;; amdgpu-corpus repo=ROCm/rocBLAS kind=compiled arch=gfx1030 opt=O3
	.amdgcn_target "amdgcn-amd-amdhsa--gfx1030"
	.amdhsa_code_object_version 6
	.section	.text._ZL30rocblas_trmm_outofplace_kernelIfLi32ELi2ELb1ELb0ELb0ELb0EPKfS0_fEv17rocblas_diagonal_iiT6_lPT7_lllS5_lllPT8_llli,"axG",@progbits,_ZL30rocblas_trmm_outofplace_kernelIfLi32ELi2ELb1ELb0ELb0ELb0EPKfS0_fEv17rocblas_diagonal_iiT6_lPT7_lllS5_lllPT8_llli,comdat
	.globl	_ZL30rocblas_trmm_outofplace_kernelIfLi32ELi2ELb1ELb0ELb0ELb0EPKfS0_fEv17rocblas_diagonal_iiT6_lPT7_lllS5_lllPT8_llli ; -- Begin function _ZL30rocblas_trmm_outofplace_kernelIfLi32ELi2ELb1ELb0ELb0ELb0EPKfS0_fEv17rocblas_diagonal_iiT6_lPT7_lllS5_lllPT8_llli
	.p2align	8
	.type	_ZL30rocblas_trmm_outofplace_kernelIfLi32ELi2ELb1ELb0ELb0ELb0EPKfS0_fEv17rocblas_diagonal_iiT6_lPT7_lllS5_lllPT8_llli,@function
_ZL30rocblas_trmm_outofplace_kernelIfLi32ELi2ELb1ELb0ELb0ELb0EPKfS0_fEv17rocblas_diagonal_iiT6_lPT7_lllS5_lllPT8_llli: ; @_ZL30rocblas_trmm_outofplace_kernelIfLi32ELi2ELb1ELb0ELb0ELb0EPKfS0_fEv17rocblas_diagonal_iiT6_lPT7_lllS5_lllPT8_llli
; %bb.0:
	s_load_dwordx16 s[12:27], s[4:5], 0x10
	s_waitcnt lgkmcnt(0)
	s_mul_i32 s0, s15, s8
	s_mul_hi_u32 s1, s14, s8
	s_add_i32 s1, s1, s0
	s_mul_i32 s0, s14, s8
	s_lshl_b64 s[0:1], s[0:1], 2
	s_add_u32 s0, s12, s0
	s_addc_u32 s1, s13, s1
	s_load_dword s33, s[0:1], 0x0
	s_waitcnt lgkmcnt(0)
	v_cmp_eq_f32_e64 s0, s33, 0
	s_and_b32 vcc_lo, exec_lo, s0
	s_cbranch_vccnz .LBB0_51
; %bb.1:
	s_load_dwordx4 s[12:15], s[4:5], 0x0
	s_waitcnt lgkmcnt(0)
	s_add_i32 s0, s14, -1
	s_ashr_i32 s1, s0, 31
	s_lshr_b32 s1, s1, 27
	s_add_i32 s0, s0, s1
	s_ashr_i32 s15, s0, 5
	s_cmp_gt_i32 s7, s15
	s_cbranch_scc1 .LBB0_51
; %bb.2:
	s_clause 0x1
	s_load_dwordx4 s[28:31], s[4:5], 0x70
	s_load_dwordx8 s[36:43], s[4:5], 0x50
	s_mul_i32 s1, s23, s8
	s_mul_hi_u32 s2, s22, s8
	s_mul_i32 s0, s22, s8
	s_add_i32 s1, s2, s1
	s_load_dword s44, s[4:5], 0x8c
	s_lshl_b64 s[34:35], s[0:1], 2
	v_mad_u64_u32 v[2:3], null, s20, v1, 0
	s_add_u32 s0, s16, s34
	s_addc_u32 s1, s17, s35
	s_lshl_b64 s[46:47], s[18:19], 2
	v_lshl_add_u32 v5, v1, 2, 64
	s_add_u32 s2, s0, s46
	s_addc_u32 s3, s1, s47
	v_mad_u64_u32 v[3:4], null, s21, v1, v[3:4]
	v_lshlrev_b32_e32 v4, 7, v1
	v_lshlrev_b32_e32 v41, 2, v0
	s_waitcnt lgkmcnt(0)
	s_mul_i32 s1, s31, s8
	s_mul_hi_u32 s4, s30, s8
	s_mul_i32 s0, s30, s8
	s_add_i32 s1, s4, s1
	v_lshlrev_b64 v[2:3], 2, v[2:3]
	s_lshl_b64 s[0:1], s[0:1], 2
	v_add_nc_u32_e32 v42, v41, v4
	s_add_u32 s4, s40, s0
	s_addc_u32 s5, s41, s1
	s_lshl_b64 s[0:1], s[42:43], 2
	v_add_co_u32 v12, vcc_lo, s2, v2
	s_add_u32 s30, s4, s0
	s_addc_u32 s31, s5, s1
	s_lshl_b32 s40, s6, 5
	s_cmp_gt_i32 s6, -1
	v_add_nc_u32_e32 v10, s40, v0
	s_cselect_b32 s41, -1, 0
	s_cmpk_eq_i32 s12, 0x84
	v_add_co_ci_u32_e64 v13, null, s3, v3, vcc_lo
	s_cselect_b32 s42, -1, 0
	s_ashr_i32 s11, s13, 31
	s_ashr_i32 s43, s14, 31
	s_lshl_b64 s[18:19], s[20:21], 7
	s_add_u32 s22, s13, -16
	s_addc_u32 s23, s11, -1
	s_add_u32 s4, s16, s46
	s_addc_u32 s5, s17, s47
	s_add_u32 s4, s4, s34
	s_addc_u32 s5, s5, s35
	v_ashrrev_i32_e32 v11, 31, v10
	v_mad_u64_u32 v[18:19], null, s20, v5, s[4:5]
	s_mul_i32 s4, s39, s8
	s_mul_hi_u32 s5, s38, s8
	v_add_nc_u32_e32 v43, 0x1000, v4
	s_add_i32 s5, s5, s4
	s_mul_i32 s4, s38, s8
	v_add_co_u32 v14, vcc_lo, v10, 16
	v_mov_b32_e32 v4, v19
	s_lshl_b64 s[4:5], s[4:5], 2
	s_lshl_b64 s[8:9], s[26:27], 2
	v_add_co_ci_u32_e64 v15, null, 0, v11, vcc_lo
	v_add_nc_u32_e32 v2, 16, v10
	v_sub_co_u32 v16, vcc_lo, v10, v1
	s_add_u32 s4, s4, s8
	s_addc_u32 s5, s5, s9
	v_subrev_co_ci_u32_e64 v17, null, 0, v11, vcc_lo
	s_add_u32 s4, s24, s4
	v_mad_u64_u32 v[4:5], null, s21, v5, v[4:5]
	s_addc_u32 s5, s25, s5
	v_add_co_u32 v5, s4, s4, v41
	v_ashrrev_i32_e32 v3, 31, v2
	v_add_co_u32 v20, vcc_lo, v16, 16
	v_add_co_ci_u32_e64 v6, null, s5, 0, s4
	v_add_co_ci_u32_e64 v21, null, 0, v17, vcc_lo
	v_add_co_u32 v22, vcc_lo, v16, -16
	s_mov_b32 s10, s13
	v_add_co_ci_u32_e64 v23, null, -1, v17, vcc_lo
	v_add_co_u32 v26, vcc_lo, v5, 64
	v_cmp_le_i64_e64 s1, s[10:11], v[14:15]
	v_lshlrev_b64 v[24:25], 2, v[10:11]
	v_lshlrev_b64 v[30:31], 2, v[2:3]
	v_mov_b32_e32 v40, 0
	v_add_nc_u32_e32 v44, v43, v41
	v_cmp_le_i32_e64 s0, s13, v10
	v_cmp_gt_i32_e64 s2, s13, v10
	v_cmp_gt_i32_e64 s3, s13, v2
	v_mov_b32_e32 v19, v4
	v_add_co_ci_u32_e64 v27, null, 0, v6, vcc_lo
	v_lshl_add_u32 v28, s7, 5, v1
	v_mov_b32_e32 v45, 1.0
	v_add_nc_u32_e32 v46, 0x400, v41
	v_add_nc_u32_e32 v47, 0x800, v41
	;; [unrolled: 1-line block ×3, first 2 shown]
	s_lshl_b64 s[12:13], s[36:37], 2
	s_lshl_b32 s20, s44, 5
	s_branch .LBB0_4
.LBB0_3:                                ;   in Loop: Header=BB0_4 Depth=1
	s_or_b32 exec_lo, exec_lo, s4
	v_add_nc_u32_e32 v28, s20, v28
	s_add_i32 s7, s44, s7
	s_cmp_le_i32 s7, s15
	s_cbranch_scc0 .LBB0_51
.LBB0_4:                                ; =>This Loop Header: Depth=1
                                        ;     Child Loop BB0_7 Depth 2
	v_lshl_add_u32 v49, s7, 5, v1
	v_mov_b32_e32 v53, 0
	v_mov_b32_e32 v52, 0
	;; [unrolled: 1-line block ×4, first 2 shown]
	v_ashrrev_i32_e32 v51, 31, v49
	s_andn2_b32 vcc_lo, exec_lo, s41
	s_cbranch_vccnz .LBB0_43
; %bb.5:                                ;   in Loop: Header=BB0_4 Depth=1
	v_ashrrev_i32_e32 v29, 31, v28
	v_mad_u64_u32 v[32:33], null, s12, v28, v[26:27]
	v_mul_lo_u32 v4, s13, v28
	v_mov_b32_e32 v37, v13
	v_lshlrev_b64 v[2:3], 2, v[28:29]
	v_mul_lo_u32 v7, s12, v29
	v_mov_b32_e32 v39, v19
	v_mov_b32_e32 v29, 0
	;; [unrolled: 1-line block ×4, first 2 shown]
	v_add_co_u32 v5, vcc_lo, v2, 64
	v_add_co_ci_u32_e64 v6, null, 0, v3, vcc_lo
	v_sub_co_u32 v2, vcc_lo, s14, v49
	v_mul_lo_u32 v8, s37, v5
	v_mul_lo_u32 v6, s36, v6
	v_mad_u64_u32 v[34:35], null, s36, v5, v[26:27]
	v_sub_co_ci_u32_e64 v3, null, s43, v51, vcc_lo
	v_add3_u32 v33, v4, v33, v7
	v_mov_b32_e32 v50, 0
	v_mov_b32_e32 v52, 0
	v_cmp_lt_i64_e64 s4, 16, v[2:3]
	v_add3_u32 v35, v8, v35, v6
	v_mov_b32_e32 v53, 0
	s_mov_b64 s[16:17], 0
	v_cmp_lt_i64_e32 vcc_lo, 0, v[2:3]
	s_branch .LBB0_7
.LBB0_6:                                ;   in Loop: Header=BB0_7 Depth=2
	s_or_b32 exec_lo, exec_lo, s5
	s_waitcnt lgkmcnt(0)
	s_barrier
	buffer_gl0_inv
	ds_read_b128 v[54:57], v43
	ds_read_b128 v[58:61], v43 offset:16
	ds_read_b128 v[6:9], v43 offset:32
	;; [unrolled: 1-line block ×3, first 2 shown]
	ds_read2_b32 v[66:67], v41 offset1:16
	ds_read_b128 v[62:65], v43 offset:2048
	v_add_co_u32 v38, s5, v38, s18
	v_add_co_ci_u32_e64 v39, null, s19, v39, s5
	v_add_co_u32 v32, s5, 0x80, v32
	v_add_co_ci_u32_e64 v33, null, 0, v33, s5
	;; [unrolled: 2-line block ×3, first 2 shown]
	v_add_co_u32 v34, s5, 0x80, v34
	s_add_u32 s16, s16, 32
	v_add_co_ci_u32_e64 v35, null, 0, v35, s5
	s_addc_u32 s17, s17, 0
	s_waitcnt lgkmcnt(1)
	v_fmac_f32_e32 v53, v66, v54
	v_fmac_f32_e32 v52, v67, v54
	s_waitcnt lgkmcnt(0)
	v_fmac_f32_e32 v50, v66, v62
	v_fmac_f32_e32 v29, v67, v62
	ds_read2_b32 v[66:67], v41 offset0:32 offset1:48
	s_sub_i32 s6, s16, 32
	s_cmp_ge_i32 s6, s40
	s_waitcnt lgkmcnt(0)
	v_fmac_f32_e32 v53, v66, v55
	v_fmac_f32_e32 v52, v67, v55
	ds_read2_b32 v[54:55], v41 offset0:64 offset1:80
	v_fmac_f32_e32 v50, v66, v63
	v_fmac_f32_e32 v29, v67, v63
	ds_read2_b32 v[62:63], v41 offset0:128 offset1:144
	s_waitcnt lgkmcnt(1)
	v_fmac_f32_e32 v53, v54, v56
	v_fmac_f32_e32 v52, v55, v56
	;; [unrolled: 1-line block ×4, first 2 shown]
	ds_read2_b32 v[54:55], v41 offset0:96 offset1:112
	s_waitcnt lgkmcnt(0)
	v_fmac_f32_e32 v53, v54, v57
	v_fmac_f32_e32 v52, v55, v57
	;; [unrolled: 1-line block ×4, first 2 shown]
	ds_read_b128 v[54:57], v43 offset:2064
	v_fmac_f32_e32 v53, v62, v58
	v_fmac_f32_e32 v52, v63, v58
	s_waitcnt lgkmcnt(0)
	v_fmac_f32_e32 v50, v62, v54
	v_fmac_f32_e32 v29, v63, v54
	ds_read2_b32 v[62:63], v41 offset0:160 offset1:176
	s_waitcnt lgkmcnt(0)
	v_fmac_f32_e32 v50, v62, v55
	v_fmac_f32_e32 v29, v63, v55
	ds_read2_b32 v[54:55], v41 offset0:192 offset1:208
	v_fmac_f32_e32 v53, v62, v59
	v_fmac_f32_e32 v52, v63, v59
	ds_read2_b32 v[58:59], v46 offset1:16
	s_waitcnt lgkmcnt(1)
	v_fmac_f32_e32 v53, v54, v60
	v_fmac_f32_e32 v52, v55, v60
	;; [unrolled: 1-line block ×4, first 2 shown]
	ds_read2_b32 v[54:55], v41 offset0:224 offset1:240
	s_waitcnt lgkmcnt(0)
	v_fmac_f32_e32 v53, v54, v61
	v_fmac_f32_e32 v52, v55, v61
	;; [unrolled: 1-line block ×4, first 2 shown]
	ds_read_b128 v[54:57], v43 offset:2080
	v_fmac_f32_e32 v53, v58, v6
	v_fmac_f32_e32 v52, v59, v6
	s_waitcnt lgkmcnt(0)
	v_fmac_f32_e32 v50, v58, v54
	v_fmac_f32_e32 v29, v59, v54
	ds_read2_b32 v[58:59], v46 offset0:32 offset1:48
	s_waitcnt lgkmcnt(0)
	v_fmac_f32_e32 v53, v58, v7
	v_fmac_f32_e32 v52, v59, v7
	ds_read2_b32 v[6:7], v46 offset0:64 offset1:80
	v_fmac_f32_e32 v50, v58, v55
	v_fmac_f32_e32 v29, v59, v55
	ds_read2_b32 v[54:55], v46 offset0:128 offset1:144
	s_waitcnt lgkmcnt(1)
	v_fmac_f32_e32 v53, v6, v8
	v_fmac_f32_e32 v52, v7, v8
	;; [unrolled: 1-line block ×4, first 2 shown]
	ds_read2_b32 v[6:7], v46 offset0:96 offset1:112
	s_waitcnt lgkmcnt(0)
	v_fmac_f32_e32 v53, v6, v9
	v_fmac_f32_e32 v52, v7, v9
	;; [unrolled: 1-line block ×4, first 2 shown]
	ds_read_b128 v[6:9], v43 offset:2096
	v_fmac_f32_e32 v53, v54, v2
	v_fmac_f32_e32 v52, v55, v2
	s_waitcnt lgkmcnt(0)
	v_fmac_f32_e32 v50, v54, v6
	v_fmac_f32_e32 v29, v55, v6
	ds_read2_b32 v[54:55], v46 offset0:160 offset1:176
	s_waitcnt lgkmcnt(0)
	v_fmac_f32_e32 v53, v54, v3
	v_fmac_f32_e32 v52, v55, v3
	ds_read2_b32 v[2:3], v46 offset0:192 offset1:208
	v_fmac_f32_e32 v50, v54, v7
	v_fmac_f32_e32 v29, v55, v7
	s_waitcnt lgkmcnt(0)
	v_fmac_f32_e32 v53, v2, v4
	v_fmac_f32_e32 v52, v3, v4
	;; [unrolled: 1-line block ×4, first 2 shown]
	ds_read2_b32 v[2:3], v46 offset0:224 offset1:240
	s_waitcnt lgkmcnt(0)
	v_fmac_f32_e32 v53, v2, v5
	v_fmac_f32_e32 v52, v3, v5
	v_fmac_f32_e32 v50, v2, v9
	v_fmac_f32_e32 v29, v3, v9
	ds_read_b128 v[2:5], v43 offset:64
	ds_read2_b32 v[54:55], v47 offset1:16
	ds_read_b128 v[6:9], v43 offset:2112
	s_waitcnt lgkmcnt(1)
	v_fmac_f32_e32 v53, v54, v2
	v_fmac_f32_e32 v52, v55, v2
	s_waitcnt lgkmcnt(0)
	v_fmac_f32_e32 v50, v54, v6
	v_fmac_f32_e32 v29, v55, v6
	ds_read2_b32 v[54:55], v47 offset0:32 offset1:48
	s_waitcnt lgkmcnt(0)
	v_fmac_f32_e32 v53, v54, v3
	v_fmac_f32_e32 v52, v55, v3
	ds_read2_b32 v[2:3], v47 offset0:64 offset1:80
	v_fmac_f32_e32 v50, v54, v7
	v_fmac_f32_e32 v29, v55, v7
	s_waitcnt lgkmcnt(0)
	v_fmac_f32_e32 v53, v2, v4
	v_fmac_f32_e32 v52, v3, v4
	;; [unrolled: 1-line block ×4, first 2 shown]
	ds_read2_b32 v[2:3], v47 offset0:96 offset1:112
	s_waitcnt lgkmcnt(0)
	v_fmac_f32_e32 v53, v2, v5
	v_fmac_f32_e32 v52, v3, v5
	;; [unrolled: 1-line block ×4, first 2 shown]
	ds_read_b128 v[2:5], v43 offset:80
	ds_read2_b32 v[54:55], v47 offset0:128 offset1:144
	ds_read_b128 v[6:9], v43 offset:2128
	s_waitcnt lgkmcnt(1)
	v_fmac_f32_e32 v53, v54, v2
	v_fmac_f32_e32 v52, v55, v2
	s_waitcnt lgkmcnt(0)
	v_fmac_f32_e32 v50, v54, v6
	v_fmac_f32_e32 v29, v55, v6
	ds_read2_b32 v[54:55], v47 offset0:160 offset1:176
	s_waitcnt lgkmcnt(0)
	v_fmac_f32_e32 v53, v54, v3
	v_fmac_f32_e32 v52, v55, v3
	ds_read2_b32 v[2:3], v47 offset0:192 offset1:208
	v_fmac_f32_e32 v50, v54, v7
	v_fmac_f32_e32 v29, v55, v7
	s_waitcnt lgkmcnt(0)
	v_fmac_f32_e32 v53, v2, v4
	v_fmac_f32_e32 v52, v3, v4
	;; [unrolled: 1-line block ×4, first 2 shown]
	ds_read2_b32 v[2:3], v47 offset0:224 offset1:240
	s_waitcnt lgkmcnt(0)
	v_fmac_f32_e32 v53, v2, v5
	v_fmac_f32_e32 v52, v3, v5
	;; [unrolled: 1-line block ×4, first 2 shown]
	ds_read_b128 v[2:5], v43 offset:96
	ds_read2_b32 v[54:55], v48 offset1:16
	ds_read_b128 v[6:9], v43 offset:2144
	s_waitcnt lgkmcnt(1)
	v_fmac_f32_e32 v53, v54, v2
	v_fmac_f32_e32 v52, v55, v2
	s_waitcnt lgkmcnt(0)
	v_fmac_f32_e32 v50, v54, v6
	v_fmac_f32_e32 v29, v55, v6
	ds_read2_b32 v[54:55], v48 offset0:32 offset1:48
	s_waitcnt lgkmcnt(0)
	v_fmac_f32_e32 v53, v54, v3
	v_fmac_f32_e32 v52, v55, v3
	ds_read2_b32 v[2:3], v48 offset0:64 offset1:80
	v_fmac_f32_e32 v50, v54, v7
	v_fmac_f32_e32 v29, v55, v7
	s_waitcnt lgkmcnt(0)
	v_fmac_f32_e32 v53, v2, v4
	v_fmac_f32_e32 v52, v3, v4
	v_fmac_f32_e32 v50, v2, v8
	v_fmac_f32_e32 v29, v3, v8
	ds_read2_b32 v[2:3], v48 offset0:96 offset1:112
	s_waitcnt lgkmcnt(0)
	v_fmac_f32_e32 v53, v2, v5
	v_fmac_f32_e32 v52, v3, v5
	;; [unrolled: 1-line block ×4, first 2 shown]
	ds_read_b128 v[2:5], v43 offset:112
	ds_read2_b32 v[54:55], v48 offset0:128 offset1:144
	ds_read_b128 v[6:9], v43 offset:2160
	s_waitcnt lgkmcnt(1)
	v_fmac_f32_e32 v53, v54, v2
	v_fmac_f32_e32 v52, v55, v2
	s_waitcnt lgkmcnt(0)
	v_fmac_f32_e32 v50, v54, v6
	v_fmac_f32_e32 v29, v55, v6
	ds_read2_b32 v[54:55], v48 offset0:160 offset1:176
	s_waitcnt lgkmcnt(0)
	v_fmac_f32_e32 v53, v54, v3
	v_fmac_f32_e32 v52, v55, v3
	ds_read2_b32 v[2:3], v48 offset0:192 offset1:208
	v_fmac_f32_e32 v50, v54, v7
	v_fmac_f32_e32 v29, v55, v7
	s_waitcnt lgkmcnt(0)
	v_fmac_f32_e32 v53, v2, v4
	v_fmac_f32_e32 v52, v3, v4
	;; [unrolled: 1-line block ×4, first 2 shown]
	ds_read2_b32 v[2:3], v48 offset0:224 offset1:240
	s_waitcnt lgkmcnt(0)
	s_barrier
	buffer_gl0_inv
	v_fmac_f32_e32 v53, v2, v5
	v_fmac_f32_e32 v52, v3, v5
	;; [unrolled: 1-line block ×4, first 2 shown]
	s_cbranch_scc1 .LBB0_43
.LBB0_7:                                ;   Parent Loop BB0_4 Depth=1
                                        ; =>  This Inner Loop Header: Depth=2
	v_add_co_u32 v2, s5, v1, s16
	v_add_co_ci_u32_e64 v3, null, 0, s17, s5
	v_cmp_eq_u64_e64 s8, s[16:17], v[16:17]
                                        ; implicit-def: $vgpr6
	v_cmp_le_i64_e64 s6, s[10:11], v[2:3]
	v_cmp_gt_i64_e64 s5, v[2:3], v[10:11]
	s_and_b32 s21, s42, s8
	v_add_co_u32 v4, s8, v36, v24
	v_add_co_ci_u32_e64 v5, null, v37, v25, s8
	s_or_b32 s9, s6, s5
	s_or_b32 s8, s9, s21
	s_nor_b32 s8, s0, s8
	s_and_saveexec_b32 s9, s8
	s_xor_b32 s8, exec_lo, s9
	s_cbranch_execz .LBB0_9
; %bb.8:                                ;   in Loop: Header=BB0_7 Depth=2
	global_load_dword v6, v[4:5], off
.LBB0_9:                                ;   in Loop: Header=BB0_7 Depth=2
	s_andn2_saveexec_b32 s8, s8
	s_cbranch_execz .LBB0_11
; %bb.10:                               ;   in Loop: Header=BB0_7 Depth=2
	s_waitcnt vmcnt(0)
	v_cndmask_b32_e64 v6, 0, 1.0, s21
.LBB0_11:                               ;   in Loop: Header=BB0_7 Depth=2
	s_or_b32 exec_lo, exec_lo, s8
	v_cmp_eq_u64_e64 s8, s[16:17], v[20:21]
	v_cmp_lt_i64_e64 s9, v[14:15], v[2:3]
	s_waitcnt vmcnt(0)
	ds_write_b32 v42, v6
	s_and_b32 s8, s42, s8
	s_or_b32 s6, s6, s9
	s_or_b32 s6, s6, s8
	s_nor_b32 s6, s1, s6
	s_and_saveexec_b32 s9, s6
	s_xor_b32 s6, exec_lo, s9
	s_cbranch_execz .LBB0_13
; %bb.12:                               ;   in Loop: Header=BB0_7 Depth=2
	global_load_dword v4, v[4:5], off offset:64
	s_waitcnt vmcnt(0)
	ds_write_b32 v42, v4 offset:64
.LBB0_13:                               ;   in Loop: Header=BB0_7 Depth=2
	s_andn2_saveexec_b32 s6, s6
	s_cbranch_execz .LBB0_19
; %bb.14:                               ;   in Loop: Header=BB0_7 Depth=2
	s_xor_b32 s8, s8, -1
	s_and_saveexec_b32 s9, s8
	s_xor_b32 s8, exec_lo, s9
; %bb.15:                               ;   in Loop: Header=BB0_7 Depth=2
	ds_write_b32 v42, v40 offset:64
; %bb.16:                               ;   in Loop: Header=BB0_7 Depth=2
	s_andn2_saveexec_b32 s8, s8
; %bb.17:                               ;   in Loop: Header=BB0_7 Depth=2
	ds_write_b32 v42, v45 offset:64
; %bb.18:                               ;   in Loop: Header=BB0_7 Depth=2
	s_or_b32 exec_lo, exec_lo, s8
.LBB0_19:                               ;   in Loop: Header=BB0_7 Depth=2
	s_or_b32 exec_lo, exec_lo, s6
	v_add_co_u32 v2, s6, v2, 16
	v_add_co_ci_u32_e64 v3, null, 0, v3, s6
	v_cmp_eq_u64_e64 s8, s[16:17], v[22:23]
                                        ; implicit-def: $vgpr4
	v_cmp_le_i64_e64 s6, s[10:11], v[2:3]
	v_cmp_gt_i64_e64 s9, v[2:3], v[10:11]
	s_and_b32 s24, s42, s8
	v_add_co_u32 v2, s8, v38, v24
	v_add_co_ci_u32_e64 v3, null, v39, v25, s8
	s_or_b32 s9, s6, s9
	s_or_b32 s8, s9, s24
	s_nor_b32 s8, s0, s8
	s_and_saveexec_b32 s9, s8
	s_xor_b32 s8, exec_lo, s9
	s_cbranch_execz .LBB0_21
; %bb.20:                               ;   in Loop: Header=BB0_7 Depth=2
	global_load_dword v4, v[2:3], off
.LBB0_21:                               ;   in Loop: Header=BB0_7 Depth=2
	s_andn2_saveexec_b32 s8, s8
	s_cbranch_execz .LBB0_23
; %bb.22:                               ;   in Loop: Header=BB0_7 Depth=2
	s_waitcnt vmcnt(0)
	v_cndmask_b32_e64 v4, 0, 1.0, s24
.LBB0_23:                               ;   in Loop: Header=BB0_7 Depth=2
	s_or_b32 exec_lo, exec_lo, s8
	s_or_b32 s5, s6, s5
	s_waitcnt vmcnt(0)
	ds_write_b32 v42, v4 offset:2048
	s_or_b32 s5, s5, s21
	s_nor_b32 s5, s1, s5
	s_and_saveexec_b32 s6, s5
	s_xor_b32 s5, exec_lo, s6
	s_cbranch_execz .LBB0_25
; %bb.24:                               ;   in Loop: Header=BB0_7 Depth=2
	global_load_dword v2, v[2:3], off offset:64
	s_waitcnt vmcnt(0)
	ds_write_b32 v42, v2 offset:2112
.LBB0_25:                               ;   in Loop: Header=BB0_7 Depth=2
	s_andn2_saveexec_b32 s5, s5
	s_cbranch_execz .LBB0_31
; %bb.26:                               ;   in Loop: Header=BB0_7 Depth=2
	s_xor_b32 s6, s21, -1
	s_and_saveexec_b32 s8, s6
	s_xor_b32 s6, exec_lo, s8
; %bb.27:                               ;   in Loop: Header=BB0_7 Depth=2
	ds_write_b32 v42, v40 offset:2112
; %bb.28:                               ;   in Loop: Header=BB0_7 Depth=2
	s_andn2_saveexec_b32 s6, s6
; %bb.29:                               ;   in Loop: Header=BB0_7 Depth=2
	ds_write_b32 v42, v45 offset:2112
; %bb.30:                               ;   in Loop: Header=BB0_7 Depth=2
	s_or_b32 exec_lo, exec_lo, s6
.LBB0_31:                               ;   in Loop: Header=BB0_7 Depth=2
	s_or_b32 exec_lo, exec_lo, s5
	v_add_co_u32 v2, s5, v0, s16
	v_add_co_ci_u32_e64 v3, null, 0, s17, s5
	v_mov_b32_e32 v4, 0
	v_cmp_gt_i64_e64 s5, s[10:11], v[2:3]
	s_and_b32 s8, vcc_lo, s5
	s_and_saveexec_b32 s6, s8
	s_cbranch_execz .LBB0_33
; %bb.32:                               ;   in Loop: Header=BB0_7 Depth=2
	global_load_dword v4, v[32:33], off offset:-64
.LBB0_33:                               ;   in Loop: Header=BB0_7 Depth=2
	s_or_b32 exec_lo, exec_lo, s6
	v_cmp_gt_i64_e64 s6, s[22:23], v[2:3]
	s_waitcnt vmcnt(0)
	ds_write_b32 v44, v4
	s_and_b32 s8, vcc_lo, s6
	s_xor_b32 s8, s8, -1
	s_and_saveexec_b32 s9, s8
	s_xor_b32 s8, exec_lo, s9
; %bb.34:                               ;   in Loop: Header=BB0_7 Depth=2
	ds_write_b32 v44, v40 offset:64
; %bb.35:                               ;   in Loop: Header=BB0_7 Depth=2
	s_andn2_saveexec_b32 s8, s8
	s_cbranch_execz .LBB0_37
; %bb.36:                               ;   in Loop: Header=BB0_7 Depth=2
	global_load_dword v2, v[32:33], off
	s_waitcnt vmcnt(0)
	ds_write_b32 v44, v2 offset:64
.LBB0_37:                               ;   in Loop: Header=BB0_7 Depth=2
	s_or_b32 exec_lo, exec_lo, s8
	v_mov_b32_e32 v2, 0
	s_and_b32 s8, s4, s5
	s_and_saveexec_b32 s5, s8
	s_cbranch_execz .LBB0_39
; %bb.38:                               ;   in Loop: Header=BB0_7 Depth=2
	global_load_dword v2, v[34:35], off offset:-64
.LBB0_39:                               ;   in Loop: Header=BB0_7 Depth=2
	s_or_b32 exec_lo, exec_lo, s5
	s_and_b32 s5, s4, s6
	s_waitcnt vmcnt(0)
	ds_write_b32 v44, v2 offset:2048
	s_xor_b32 s5, s5, -1
	s_and_saveexec_b32 s6, s5
	s_xor_b32 s5, exec_lo, s6
; %bb.40:                               ;   in Loop: Header=BB0_7 Depth=2
	ds_write_b32 v44, v40 offset:2112
; %bb.41:                               ;   in Loop: Header=BB0_7 Depth=2
	s_andn2_saveexec_b32 s5, s5
	s_cbranch_execz .LBB0_6
; %bb.42:                               ;   in Loop: Header=BB0_7 Depth=2
	global_load_dword v2, v[34:35], off
	s_waitcnt vmcnt(0)
	ds_write_b32 v44, v2 offset:2112
	s_branch .LBB0_6
.LBB0_43:                               ;   in Loop: Header=BB0_4 Depth=1
	v_mul_lo_u32 v4, s29, v49
	v_mul_lo_u32 v5, s28, v51
	v_mad_u64_u32 v[2:3], null, s28, v49, 0
	v_cmp_gt_i32_e32 vcc_lo, s14, v49
	v_add3_u32 v3, v3, v5, v4
	v_lshlrev_b64 v[2:3], 2, v[2:3]
	v_add_co_u32 v2, s4, s30, v2
	v_add_co_ci_u32_e64 v3, null, s31, v3, s4
	s_and_b32 s4, s2, vcc_lo
	s_and_saveexec_b32 s5, s4
	s_cbranch_execz .LBB0_45
; %bb.44:                               ;   in Loop: Header=BB0_4 Depth=1
	v_add_co_u32 v4, s4, v2, v24
	v_add_co_ci_u32_e64 v5, null, v3, v25, s4
	global_load_dword v6, v[4:5], off
	s_waitcnt vmcnt(0)
	v_fmac_f32_e32 v6, s33, v53
	global_store_dword v[4:5], v6, off
.LBB0_45:                               ;   in Loop: Header=BB0_4 Depth=1
	s_or_b32 exec_lo, exec_lo, s5
	s_and_b32 s5, s3, vcc_lo
	s_and_saveexec_b32 s4, s5
	s_cbranch_execz .LBB0_47
; %bb.46:                               ;   in Loop: Header=BB0_4 Depth=1
	v_add_co_u32 v2, vcc_lo, v2, v30
	v_add_co_ci_u32_e64 v3, null, v3, v31, vcc_lo
	global_load_dword v4, v[2:3], off
	s_waitcnt vmcnt(0)
	v_fmac_f32_e32 v4, s33, v52
	global_store_dword v[2:3], v4, off
.LBB0_47:                               ;   in Loop: Header=BB0_4 Depth=1
	s_or_b32 exec_lo, exec_lo, s4
	v_add_nc_u32_e32 v4, 16, v49
	v_ashrrev_i32_e32 v5, 31, v4
	v_mul_lo_u32 v6, s29, v4
	v_mad_u64_u32 v[2:3], null, s28, v4, 0
	v_cmp_gt_i32_e32 vcc_lo, s14, v4
	v_mul_lo_u32 v5, s28, v5
	v_add3_u32 v3, v3, v5, v6
	v_lshlrev_b64 v[2:3], 2, v[2:3]
	v_add_co_u32 v2, s4, s30, v2
	v_add_co_ci_u32_e64 v3, null, s31, v3, s4
	s_and_b32 s4, s2, vcc_lo
	s_and_saveexec_b32 s5, s4
	s_cbranch_execz .LBB0_49
; %bb.48:                               ;   in Loop: Header=BB0_4 Depth=1
	v_add_co_u32 v4, s4, v2, v24
	v_add_co_ci_u32_e64 v5, null, v3, v25, s4
	global_load_dword v6, v[4:5], off
	s_waitcnt vmcnt(0)
	v_fmac_f32_e32 v6, s33, v50
	global_store_dword v[4:5], v6, off
.LBB0_49:                               ;   in Loop: Header=BB0_4 Depth=1
	s_or_b32 exec_lo, exec_lo, s5
	s_and_b32 s5, s3, vcc_lo
	s_and_saveexec_b32 s4, s5
	s_cbranch_execz .LBB0_3
; %bb.50:                               ;   in Loop: Header=BB0_4 Depth=1
	v_add_co_u32 v2, vcc_lo, v2, v30
	v_add_co_ci_u32_e64 v3, null, v3, v31, vcc_lo
	global_load_dword v4, v[2:3], off
	s_waitcnt vmcnt(0)
	v_fmac_f32_e32 v4, s33, v29
	global_store_dword v[2:3], v4, off
	s_branch .LBB0_3
.LBB0_51:
	s_endpgm
	.section	.rodata,"a",@progbits
	.p2align	6, 0x0
	.amdhsa_kernel _ZL30rocblas_trmm_outofplace_kernelIfLi32ELi2ELb1ELb0ELb0ELb0EPKfS0_fEv17rocblas_diagonal_iiT6_lPT7_lllS5_lllPT8_llli
		.amdhsa_group_segment_fixed_size 8192
		.amdhsa_private_segment_fixed_size 0
		.amdhsa_kernarg_size 392
		.amdhsa_user_sgpr_count 6
		.amdhsa_user_sgpr_private_segment_buffer 1
		.amdhsa_user_sgpr_dispatch_ptr 0
		.amdhsa_user_sgpr_queue_ptr 0
		.amdhsa_user_sgpr_kernarg_segment_ptr 1
		.amdhsa_user_sgpr_dispatch_id 0
		.amdhsa_user_sgpr_flat_scratch_init 0
		.amdhsa_user_sgpr_private_segment_size 0
		.amdhsa_wavefront_size32 1
		.amdhsa_uses_dynamic_stack 0
		.amdhsa_system_sgpr_private_segment_wavefront_offset 0
		.amdhsa_system_sgpr_workgroup_id_x 1
		.amdhsa_system_sgpr_workgroup_id_y 1
		.amdhsa_system_sgpr_workgroup_id_z 1
		.amdhsa_system_sgpr_workgroup_info 0
		.amdhsa_system_vgpr_workitem_id 1
		.amdhsa_next_free_vgpr 68
		.amdhsa_next_free_sgpr 48
		.amdhsa_reserve_vcc 1
		.amdhsa_reserve_flat_scratch 0
		.amdhsa_float_round_mode_32 0
		.amdhsa_float_round_mode_16_64 0
		.amdhsa_float_denorm_mode_32 3
		.amdhsa_float_denorm_mode_16_64 3
		.amdhsa_dx10_clamp 1
		.amdhsa_ieee_mode 1
		.amdhsa_fp16_overflow 0
		.amdhsa_workgroup_processor_mode 1
		.amdhsa_memory_ordered 1
		.amdhsa_forward_progress 1
		.amdhsa_shared_vgpr_count 0
		.amdhsa_exception_fp_ieee_invalid_op 0
		.amdhsa_exception_fp_denorm_src 0
		.amdhsa_exception_fp_ieee_div_zero 0
		.amdhsa_exception_fp_ieee_overflow 0
		.amdhsa_exception_fp_ieee_underflow 0
		.amdhsa_exception_fp_ieee_inexact 0
		.amdhsa_exception_int_div_zero 0
	.end_amdhsa_kernel
	.section	.text._ZL30rocblas_trmm_outofplace_kernelIfLi32ELi2ELb1ELb0ELb0ELb0EPKfS0_fEv17rocblas_diagonal_iiT6_lPT7_lllS5_lllPT8_llli,"axG",@progbits,_ZL30rocblas_trmm_outofplace_kernelIfLi32ELi2ELb1ELb0ELb0ELb0EPKfS0_fEv17rocblas_diagonal_iiT6_lPT7_lllS5_lllPT8_llli,comdat
.Lfunc_end0:
	.size	_ZL30rocblas_trmm_outofplace_kernelIfLi32ELi2ELb1ELb0ELb0ELb0EPKfS0_fEv17rocblas_diagonal_iiT6_lPT7_lllS5_lllPT8_llli, .Lfunc_end0-_ZL30rocblas_trmm_outofplace_kernelIfLi32ELi2ELb1ELb0ELb0ELb0EPKfS0_fEv17rocblas_diagonal_iiT6_lPT7_lllS5_lllPT8_llli
                                        ; -- End function
	.set _ZL30rocblas_trmm_outofplace_kernelIfLi32ELi2ELb1ELb0ELb0ELb0EPKfS0_fEv17rocblas_diagonal_iiT6_lPT7_lllS5_lllPT8_llli.num_vgpr, 68
	.set _ZL30rocblas_trmm_outofplace_kernelIfLi32ELi2ELb1ELb0ELb0ELb0EPKfS0_fEv17rocblas_diagonal_iiT6_lPT7_lllS5_lllPT8_llli.num_agpr, 0
	.set _ZL30rocblas_trmm_outofplace_kernelIfLi32ELi2ELb1ELb0ELb0ELb0EPKfS0_fEv17rocblas_diagonal_iiT6_lPT7_lllS5_lllPT8_llli.numbered_sgpr, 48
	.set _ZL30rocblas_trmm_outofplace_kernelIfLi32ELi2ELb1ELb0ELb0ELb0EPKfS0_fEv17rocblas_diagonal_iiT6_lPT7_lllS5_lllPT8_llli.num_named_barrier, 0
	.set _ZL30rocblas_trmm_outofplace_kernelIfLi32ELi2ELb1ELb0ELb0ELb0EPKfS0_fEv17rocblas_diagonal_iiT6_lPT7_lllS5_lllPT8_llli.private_seg_size, 0
	.set _ZL30rocblas_trmm_outofplace_kernelIfLi32ELi2ELb1ELb0ELb0ELb0EPKfS0_fEv17rocblas_diagonal_iiT6_lPT7_lllS5_lllPT8_llli.uses_vcc, 1
	.set _ZL30rocblas_trmm_outofplace_kernelIfLi32ELi2ELb1ELb0ELb0ELb0EPKfS0_fEv17rocblas_diagonal_iiT6_lPT7_lllS5_lllPT8_llli.uses_flat_scratch, 0
	.set _ZL30rocblas_trmm_outofplace_kernelIfLi32ELi2ELb1ELb0ELb0ELb0EPKfS0_fEv17rocblas_diagonal_iiT6_lPT7_lllS5_lllPT8_llli.has_dyn_sized_stack, 0
	.set _ZL30rocblas_trmm_outofplace_kernelIfLi32ELi2ELb1ELb0ELb0ELb0EPKfS0_fEv17rocblas_diagonal_iiT6_lPT7_lllS5_lllPT8_llli.has_recursion, 0
	.set _ZL30rocblas_trmm_outofplace_kernelIfLi32ELi2ELb1ELb0ELb0ELb0EPKfS0_fEv17rocblas_diagonal_iiT6_lPT7_lllS5_lllPT8_llli.has_indirect_call, 0
	.section	.AMDGPU.csdata,"",@progbits
; Kernel info:
; codeLenInByte = 3052
; TotalNumSgprs: 50
; NumVgprs: 68
; ScratchSize: 0
; MemoryBound: 0
; FloatMode: 240
; IeeeMode: 1
; LDSByteSize: 8192 bytes/workgroup (compile time only)
; SGPRBlocks: 0
; VGPRBlocks: 8
; NumSGPRsForWavesPerEU: 50
; NumVGPRsForWavesPerEU: 68
; Occupancy: 12
; WaveLimiterHint : 0
; COMPUTE_PGM_RSRC2:SCRATCH_EN: 0
; COMPUTE_PGM_RSRC2:USER_SGPR: 6
; COMPUTE_PGM_RSRC2:TRAP_HANDLER: 0
; COMPUTE_PGM_RSRC2:TGID_X_EN: 1
; COMPUTE_PGM_RSRC2:TGID_Y_EN: 1
; COMPUTE_PGM_RSRC2:TGID_Z_EN: 1
; COMPUTE_PGM_RSRC2:TIDIG_COMP_CNT: 1
	.section	.text._ZL30rocblas_trmm_outofplace_kernelIfLi32ELi2ELb1ELb0ELb0ELb0EfKffEv17rocblas_diagonal_iiT6_lPT7_lllS4_lllPT8_llli,"axG",@progbits,_ZL30rocblas_trmm_outofplace_kernelIfLi32ELi2ELb1ELb0ELb0ELb0EfKffEv17rocblas_diagonal_iiT6_lPT7_lllS4_lllPT8_llli,comdat
	.globl	_ZL30rocblas_trmm_outofplace_kernelIfLi32ELi2ELb1ELb0ELb0ELb0EfKffEv17rocblas_diagonal_iiT6_lPT7_lllS4_lllPT8_llli ; -- Begin function _ZL30rocblas_trmm_outofplace_kernelIfLi32ELi2ELb1ELb0ELb0ELb0EfKffEv17rocblas_diagonal_iiT6_lPT7_lllS4_lllPT8_llli
	.p2align	8
	.type	_ZL30rocblas_trmm_outofplace_kernelIfLi32ELi2ELb1ELb0ELb0ELb0EfKffEv17rocblas_diagonal_iiT6_lPT7_lllS4_lllPT8_llli,@function
_ZL30rocblas_trmm_outofplace_kernelIfLi32ELi2ELb1ELb0ELb0ELb0EfKffEv17rocblas_diagonal_iiT6_lPT7_lllS4_lllPT8_llli: ; @_ZL30rocblas_trmm_outofplace_kernelIfLi32ELi2ELb1ELb0ELb0ELb0EfKffEv17rocblas_diagonal_iiT6_lPT7_lllS4_lllPT8_llli
; %bb.0:
	s_load_dwordx4 s[28:31], s[4:5], 0x0
	s_waitcnt lgkmcnt(0)
	v_cmp_eq_f32_e64 s0, s31, 0
	s_and_b32 vcc_lo, exec_lo, s0
	s_cbranch_vccnz .LBB1_51
; %bb.1:
	s_add_i32 s0, s30, -1
	s_ashr_i32 s1, s0, 31
	s_lshr_b32 s1, s1, 27
	s_add_i32 s0, s0, s1
	s_ashr_i32 s33, s0, 5
	s_cmp_gt_i32 s7, s33
	s_cbranch_scc1 .LBB1_51
; %bb.2:
	s_clause 0x1
	s_load_dwordx16 s[12:27], s[4:5], 0x18
	s_load_dwordx8 s[36:43], s[4:5], 0x58
	v_lshlrev_b32_e32 v2, 7, v1
	v_lshlrev_b32_e32 v40, 2, v0
	v_lshl_add_u32 v5, v1, 2, 64
	s_mov_b32 s10, s29
	v_mov_b32_e32 v41, 0
	v_add_nc_u32_e32 v43, 0x1000, v2
	v_add_nc_u32_e32 v42, v40, v2
	v_lshl_add_u32 v28, s7, 5, v1
	v_mov_b32_e32 v45, 1.0
	v_add_nc_u32_e32 v46, 0x400, v40
	v_add_nc_u32_e32 v44, v43, v40
	;; [unrolled: 1-line block ×4, first 2 shown]
	s_waitcnt lgkmcnt(0)
	s_mul_i32 s1, s19, s8
	s_mul_hi_u32 s2, s18, s8
	s_mul_i32 s0, s18, s8
	s_add_i32 s1, s2, s1
	s_mul_i32 s3, s43, s8
	s_lshl_b64 s[44:45], s[0:1], 2
	s_mul_hi_u32 s2, s42, s8
	s_add_u32 s1, s12, s44
	s_addc_u32 s9, s13, s45
	s_lshl_b64 s[46:47], s[14:15], 2
	v_mad_u64_u32 v[2:3], null, s16, v1, 0
	s_add_u32 s14, s1, s46
	s_mul_i32 s0, s42, s8
	s_addc_u32 s9, s9, s47
	s_add_i32 s1, s2, s3
	s_lshl_b64 s[0:1], s[0:1], 2
	v_mad_u64_u32 v[3:4], null, s17, v1, v[3:4]
	s_add_u32 s2, s36, s0
	s_addc_u32 s3, s37, s1
	s_lshl_b64 s[0:1], s[38:39], 2
	s_load_dword s39, s[4:5], 0x84
	s_add_u32 s34, s2, s0
	s_addc_u32 s35, s3, s1
	s_lshl_b32 s36, s6, 5
	v_lshlrev_b64 v[2:3], 2, v[2:3]
	v_add_nc_u32_e32 v10, s36, v0
	s_cmp_gt_i32 s6, -1
	s_cselect_b32 s37, -1, 0
	s_cmpk_eq_i32 s28, 0x84
	v_ashrrev_i32_e32 v11, 31, v10
	v_add_co_u32 v12, vcc_lo, v10, 16
	s_cselect_b32 s28, -1, 0
	s_ashr_i32 s11, s29, 31
	s_ashr_i32 s38, s30, 31
	v_add_co_ci_u32_e64 v13, null, 0, v11, vcc_lo
	v_add_co_u32 v14, vcc_lo, s14, v2
	s_lshl_b64 s[14:15], s[16:17], 7
	s_add_u32 s18, s29, -16
	s_addc_u32 s19, s11, -1
	s_add_u32 s4, s12, s46
	s_addc_u32 s5, s13, s47
	s_add_u32 s4, s4, s44
	s_addc_u32 s5, s5, s45
	v_add_co_ci_u32_e64 v15, null, s9, v3, vcc_lo
	v_mad_u64_u32 v[18:19], null, s16, v5, s[4:5]
	s_mul_i32 s4, s27, s8
	s_mul_hi_u32 s5, s26, s8
	v_add_nc_u32_e32 v2, 16, v10
	s_add_i32 s5, s5, s4
	s_mul_i32 s4, s26, s8
	s_lshl_b64 s[8:9], s[22:23], 2
	v_mov_b32_e32 v4, v19
	s_lshl_b64 s[4:5], s[4:5], 2
	v_sub_co_u32 v16, vcc_lo, v10, v1
	s_add_u32 s4, s4, s8
	s_addc_u32 s5, s5, s9
	v_subrev_co_ci_u32_e64 v17, null, 0, v11, vcc_lo
	s_add_u32 s4, s20, s4
	v_mad_u64_u32 v[4:5], null, s17, v5, v[4:5]
	s_addc_u32 s5, s21, s5
	v_add_co_u32 v5, s4, s4, v40
	v_ashrrev_i32_e32 v3, 31, v2
	v_add_co_u32 v20, vcc_lo, v16, 16
	v_add_co_ci_u32_e64 v6, null, s5, 0, s4
	v_add_co_ci_u32_e64 v21, null, 0, v17, vcc_lo
	v_add_co_u32 v22, vcc_lo, v16, -16
	v_add_co_ci_u32_e64 v23, null, -1, v17, vcc_lo
	v_add_co_u32 v26, vcc_lo, v5, 64
	v_cmp_le_i64_e64 s1, s[10:11], v[12:13]
	v_lshlrev_b64 v[24:25], 2, v[10:11]
	v_lshlrev_b64 v[30:31], 2, v[2:3]
	v_cmp_le_i32_e64 s0, s29, v10
	v_cmp_gt_i32_e64 s2, s29, v10
	v_cmp_gt_i32_e64 s3, s29, v2
	v_mov_b32_e32 v19, v4
	v_add_co_ci_u32_e64 v27, null, 0, v6, vcc_lo
	s_mov_b32 s20, s30
	s_lshl_b64 s[12:13], s[24:25], 2
	s_waitcnt lgkmcnt(0)
	s_lshl_b32 s21, s39, 5
	s_branch .LBB1_4
.LBB1_3:                                ;   in Loop: Header=BB1_4 Depth=1
	s_or_b32 exec_lo, exec_lo, s4
	v_add_nc_u32_e32 v28, s21, v28
	s_add_i32 s7, s39, s7
	s_cmp_le_i32 s7, s33
	s_cbranch_scc0 .LBB1_51
.LBB1_4:                                ; =>This Loop Header: Depth=1
                                        ;     Child Loop BB1_7 Depth 2
	v_lshl_add_u32 v49, s7, 5, v1
	v_mov_b32_e32 v53, 0
	v_mov_b32_e32 v52, 0
	;; [unrolled: 1-line block ×4, first 2 shown]
	v_ashrrev_i32_e32 v51, 31, v49
	s_andn2_b32 vcc_lo, exec_lo, s37
	s_cbranch_vccnz .LBB1_43
; %bb.5:                                ;   in Loop: Header=BB1_4 Depth=1
	v_ashrrev_i32_e32 v29, 31, v28
	v_mad_u64_u32 v[32:33], null, s12, v28, v[26:27]
	v_mul_lo_u32 v4, s13, v28
	v_mov_b32_e32 v37, v15
	v_lshlrev_b64 v[2:3], 2, v[28:29]
	v_mul_lo_u32 v7, s12, v29
	v_mov_b32_e32 v39, v19
	v_mov_b32_e32 v29, 0
	v_mov_b32_e32 v36, v14
	v_mov_b32_e32 v38, v18
	v_add_co_u32 v5, vcc_lo, v2, 64
	v_add_co_ci_u32_e64 v6, null, 0, v3, vcc_lo
	v_sub_co_u32 v2, vcc_lo, s20, v49
	v_mul_lo_u32 v8, s25, v5
	v_mul_lo_u32 v6, s24, v6
	v_mad_u64_u32 v[34:35], null, s24, v5, v[26:27]
	v_sub_co_ci_u32_e64 v3, null, s38, v51, vcc_lo
	v_add3_u32 v33, v4, v33, v7
	v_mov_b32_e32 v50, 0
	v_mov_b32_e32 v52, 0
	v_cmp_lt_i64_e64 s4, 16, v[2:3]
	v_add3_u32 v35, v8, v35, v6
	v_mov_b32_e32 v53, 0
	s_mov_b64 s[16:17], 0
	v_cmp_lt_i64_e32 vcc_lo, 0, v[2:3]
	s_branch .LBB1_7
.LBB1_6:                                ;   in Loop: Header=BB1_7 Depth=2
	s_or_b32 exec_lo, exec_lo, s5
	s_waitcnt lgkmcnt(0)
	s_barrier
	buffer_gl0_inv
	ds_read_b128 v[54:57], v43
	ds_read_b128 v[58:61], v43 offset:16
	ds_read_b128 v[6:9], v43 offset:32
	;; [unrolled: 1-line block ×3, first 2 shown]
	ds_read2_b32 v[66:67], v40 offset1:16
	ds_read_b128 v[62:65], v43 offset:2048
	v_add_co_u32 v38, s5, v38, s14
	v_add_co_ci_u32_e64 v39, null, s15, v39, s5
	v_add_co_u32 v32, s5, 0x80, v32
	v_add_co_ci_u32_e64 v33, null, 0, v33, s5
	;; [unrolled: 2-line block ×3, first 2 shown]
	v_add_co_u32 v34, s5, 0x80, v34
	s_add_u32 s16, s16, 32
	v_add_co_ci_u32_e64 v35, null, 0, v35, s5
	s_addc_u32 s17, s17, 0
	s_waitcnt lgkmcnt(1)
	v_fmac_f32_e32 v53, v66, v54
	v_fmac_f32_e32 v52, v67, v54
	s_waitcnt lgkmcnt(0)
	v_fmac_f32_e32 v50, v66, v62
	v_fmac_f32_e32 v29, v67, v62
	ds_read2_b32 v[66:67], v40 offset0:32 offset1:48
	s_sub_i32 s6, s16, 32
	s_cmp_ge_i32 s6, s36
	s_waitcnt lgkmcnt(0)
	v_fmac_f32_e32 v53, v66, v55
	v_fmac_f32_e32 v52, v67, v55
	ds_read2_b32 v[54:55], v40 offset0:64 offset1:80
	v_fmac_f32_e32 v50, v66, v63
	v_fmac_f32_e32 v29, v67, v63
	ds_read2_b32 v[62:63], v40 offset0:128 offset1:144
	s_waitcnt lgkmcnt(1)
	v_fmac_f32_e32 v53, v54, v56
	v_fmac_f32_e32 v52, v55, v56
	;; [unrolled: 1-line block ×4, first 2 shown]
	ds_read2_b32 v[54:55], v40 offset0:96 offset1:112
	s_waitcnt lgkmcnt(0)
	v_fmac_f32_e32 v53, v54, v57
	v_fmac_f32_e32 v52, v55, v57
	;; [unrolled: 1-line block ×4, first 2 shown]
	ds_read_b128 v[54:57], v43 offset:2064
	v_fmac_f32_e32 v53, v62, v58
	v_fmac_f32_e32 v52, v63, v58
	s_waitcnt lgkmcnt(0)
	v_fmac_f32_e32 v50, v62, v54
	v_fmac_f32_e32 v29, v63, v54
	ds_read2_b32 v[62:63], v40 offset0:160 offset1:176
	s_waitcnt lgkmcnt(0)
	v_fmac_f32_e32 v50, v62, v55
	v_fmac_f32_e32 v29, v63, v55
	ds_read2_b32 v[54:55], v40 offset0:192 offset1:208
	v_fmac_f32_e32 v53, v62, v59
	v_fmac_f32_e32 v52, v63, v59
	ds_read2_b32 v[58:59], v46 offset1:16
	s_waitcnt lgkmcnt(1)
	v_fmac_f32_e32 v53, v54, v60
	v_fmac_f32_e32 v52, v55, v60
	;; [unrolled: 1-line block ×4, first 2 shown]
	ds_read2_b32 v[54:55], v40 offset0:224 offset1:240
	s_waitcnt lgkmcnt(0)
	v_fmac_f32_e32 v53, v54, v61
	v_fmac_f32_e32 v52, v55, v61
	;; [unrolled: 1-line block ×4, first 2 shown]
	ds_read_b128 v[54:57], v43 offset:2080
	v_fmac_f32_e32 v53, v58, v6
	v_fmac_f32_e32 v52, v59, v6
	s_waitcnt lgkmcnt(0)
	v_fmac_f32_e32 v50, v58, v54
	v_fmac_f32_e32 v29, v59, v54
	ds_read2_b32 v[58:59], v46 offset0:32 offset1:48
	s_waitcnt lgkmcnt(0)
	v_fmac_f32_e32 v53, v58, v7
	v_fmac_f32_e32 v52, v59, v7
	ds_read2_b32 v[6:7], v46 offset0:64 offset1:80
	v_fmac_f32_e32 v50, v58, v55
	v_fmac_f32_e32 v29, v59, v55
	ds_read2_b32 v[54:55], v46 offset0:128 offset1:144
	s_waitcnt lgkmcnt(1)
	v_fmac_f32_e32 v53, v6, v8
	v_fmac_f32_e32 v52, v7, v8
	;; [unrolled: 1-line block ×4, first 2 shown]
	ds_read2_b32 v[6:7], v46 offset0:96 offset1:112
	s_waitcnt lgkmcnt(0)
	v_fmac_f32_e32 v53, v6, v9
	v_fmac_f32_e32 v52, v7, v9
	;; [unrolled: 1-line block ×4, first 2 shown]
	ds_read_b128 v[6:9], v43 offset:2096
	v_fmac_f32_e32 v53, v54, v2
	v_fmac_f32_e32 v52, v55, v2
	s_waitcnt lgkmcnt(0)
	v_fmac_f32_e32 v50, v54, v6
	v_fmac_f32_e32 v29, v55, v6
	ds_read2_b32 v[54:55], v46 offset0:160 offset1:176
	s_waitcnt lgkmcnt(0)
	v_fmac_f32_e32 v53, v54, v3
	v_fmac_f32_e32 v52, v55, v3
	ds_read2_b32 v[2:3], v46 offset0:192 offset1:208
	v_fmac_f32_e32 v50, v54, v7
	v_fmac_f32_e32 v29, v55, v7
	s_waitcnt lgkmcnt(0)
	v_fmac_f32_e32 v53, v2, v4
	v_fmac_f32_e32 v52, v3, v4
	;; [unrolled: 1-line block ×4, first 2 shown]
	ds_read2_b32 v[2:3], v46 offset0:224 offset1:240
	s_waitcnt lgkmcnt(0)
	v_fmac_f32_e32 v53, v2, v5
	v_fmac_f32_e32 v52, v3, v5
	;; [unrolled: 1-line block ×4, first 2 shown]
	ds_read_b128 v[2:5], v43 offset:64
	ds_read2_b32 v[54:55], v47 offset1:16
	ds_read_b128 v[6:9], v43 offset:2112
	s_waitcnt lgkmcnt(1)
	v_fmac_f32_e32 v53, v54, v2
	v_fmac_f32_e32 v52, v55, v2
	s_waitcnt lgkmcnt(0)
	v_fmac_f32_e32 v50, v54, v6
	v_fmac_f32_e32 v29, v55, v6
	ds_read2_b32 v[54:55], v47 offset0:32 offset1:48
	s_waitcnt lgkmcnt(0)
	v_fmac_f32_e32 v53, v54, v3
	v_fmac_f32_e32 v52, v55, v3
	ds_read2_b32 v[2:3], v47 offset0:64 offset1:80
	v_fmac_f32_e32 v50, v54, v7
	v_fmac_f32_e32 v29, v55, v7
	s_waitcnt lgkmcnt(0)
	v_fmac_f32_e32 v53, v2, v4
	v_fmac_f32_e32 v52, v3, v4
	v_fmac_f32_e32 v50, v2, v8
	v_fmac_f32_e32 v29, v3, v8
	ds_read2_b32 v[2:3], v47 offset0:96 offset1:112
	s_waitcnt lgkmcnt(0)
	v_fmac_f32_e32 v53, v2, v5
	v_fmac_f32_e32 v52, v3, v5
	;; [unrolled: 1-line block ×4, first 2 shown]
	ds_read_b128 v[2:5], v43 offset:80
	ds_read2_b32 v[54:55], v47 offset0:128 offset1:144
	ds_read_b128 v[6:9], v43 offset:2128
	s_waitcnt lgkmcnt(1)
	v_fmac_f32_e32 v53, v54, v2
	v_fmac_f32_e32 v52, v55, v2
	s_waitcnt lgkmcnt(0)
	v_fmac_f32_e32 v50, v54, v6
	v_fmac_f32_e32 v29, v55, v6
	ds_read2_b32 v[54:55], v47 offset0:160 offset1:176
	s_waitcnt lgkmcnt(0)
	v_fmac_f32_e32 v53, v54, v3
	v_fmac_f32_e32 v52, v55, v3
	ds_read2_b32 v[2:3], v47 offset0:192 offset1:208
	v_fmac_f32_e32 v50, v54, v7
	v_fmac_f32_e32 v29, v55, v7
	s_waitcnt lgkmcnt(0)
	v_fmac_f32_e32 v53, v2, v4
	v_fmac_f32_e32 v52, v3, v4
	;; [unrolled: 1-line block ×4, first 2 shown]
	ds_read2_b32 v[2:3], v47 offset0:224 offset1:240
	s_waitcnt lgkmcnt(0)
	v_fmac_f32_e32 v53, v2, v5
	v_fmac_f32_e32 v52, v3, v5
	v_fmac_f32_e32 v50, v2, v9
	v_fmac_f32_e32 v29, v3, v9
	ds_read_b128 v[2:5], v43 offset:96
	ds_read2_b32 v[54:55], v48 offset1:16
	ds_read_b128 v[6:9], v43 offset:2144
	s_waitcnt lgkmcnt(1)
	v_fmac_f32_e32 v53, v54, v2
	v_fmac_f32_e32 v52, v55, v2
	s_waitcnt lgkmcnt(0)
	v_fmac_f32_e32 v50, v54, v6
	v_fmac_f32_e32 v29, v55, v6
	ds_read2_b32 v[54:55], v48 offset0:32 offset1:48
	s_waitcnt lgkmcnt(0)
	v_fmac_f32_e32 v53, v54, v3
	v_fmac_f32_e32 v52, v55, v3
	ds_read2_b32 v[2:3], v48 offset0:64 offset1:80
	v_fmac_f32_e32 v50, v54, v7
	v_fmac_f32_e32 v29, v55, v7
	s_waitcnt lgkmcnt(0)
	v_fmac_f32_e32 v53, v2, v4
	v_fmac_f32_e32 v52, v3, v4
	;; [unrolled: 1-line block ×4, first 2 shown]
	ds_read2_b32 v[2:3], v48 offset0:96 offset1:112
	s_waitcnt lgkmcnt(0)
	v_fmac_f32_e32 v53, v2, v5
	v_fmac_f32_e32 v52, v3, v5
	;; [unrolled: 1-line block ×4, first 2 shown]
	ds_read_b128 v[2:5], v43 offset:112
	ds_read2_b32 v[54:55], v48 offset0:128 offset1:144
	ds_read_b128 v[6:9], v43 offset:2160
	s_waitcnt lgkmcnt(1)
	v_fmac_f32_e32 v53, v54, v2
	v_fmac_f32_e32 v52, v55, v2
	s_waitcnt lgkmcnt(0)
	v_fmac_f32_e32 v50, v54, v6
	v_fmac_f32_e32 v29, v55, v6
	ds_read2_b32 v[54:55], v48 offset0:160 offset1:176
	s_waitcnt lgkmcnt(0)
	v_fmac_f32_e32 v53, v54, v3
	v_fmac_f32_e32 v52, v55, v3
	ds_read2_b32 v[2:3], v48 offset0:192 offset1:208
	v_fmac_f32_e32 v50, v54, v7
	v_fmac_f32_e32 v29, v55, v7
	s_waitcnt lgkmcnt(0)
	v_fmac_f32_e32 v53, v2, v4
	v_fmac_f32_e32 v52, v3, v4
	;; [unrolled: 1-line block ×4, first 2 shown]
	ds_read2_b32 v[2:3], v48 offset0:224 offset1:240
	s_waitcnt lgkmcnt(0)
	s_barrier
	buffer_gl0_inv
	v_fmac_f32_e32 v53, v2, v5
	v_fmac_f32_e32 v52, v3, v5
	;; [unrolled: 1-line block ×4, first 2 shown]
	s_cbranch_scc1 .LBB1_43
.LBB1_7:                                ;   Parent Loop BB1_4 Depth=1
                                        ; =>  This Inner Loop Header: Depth=2
	v_add_co_u32 v2, s5, v1, s16
	v_add_co_ci_u32_e64 v3, null, 0, s17, s5
	v_cmp_eq_u64_e64 s8, s[16:17], v[16:17]
                                        ; implicit-def: $vgpr6
	v_cmp_le_i64_e64 s6, s[10:11], v[2:3]
	v_cmp_gt_i64_e64 s5, v[2:3], v[10:11]
	s_and_b32 s22, s28, s8
	v_add_co_u32 v4, s8, v36, v24
	v_add_co_ci_u32_e64 v5, null, v37, v25, s8
	s_or_b32 s9, s6, s5
	s_or_b32 s8, s9, s22
	s_nor_b32 s8, s0, s8
	s_and_saveexec_b32 s9, s8
	s_xor_b32 s8, exec_lo, s9
	s_cbranch_execz .LBB1_9
; %bb.8:                                ;   in Loop: Header=BB1_7 Depth=2
	global_load_dword v6, v[4:5], off
.LBB1_9:                                ;   in Loop: Header=BB1_7 Depth=2
	s_andn2_saveexec_b32 s8, s8
	s_cbranch_execz .LBB1_11
; %bb.10:                               ;   in Loop: Header=BB1_7 Depth=2
	s_waitcnt vmcnt(0)
	v_cndmask_b32_e64 v6, 0, 1.0, s22
.LBB1_11:                               ;   in Loop: Header=BB1_7 Depth=2
	s_or_b32 exec_lo, exec_lo, s8
	v_cmp_eq_u64_e64 s8, s[16:17], v[20:21]
	v_cmp_lt_i64_e64 s9, v[12:13], v[2:3]
	s_waitcnt vmcnt(0)
	ds_write_b32 v42, v6
	s_and_b32 s8, s28, s8
	s_or_b32 s6, s6, s9
	s_or_b32 s6, s6, s8
	s_nor_b32 s6, s1, s6
	s_and_saveexec_b32 s9, s6
	s_xor_b32 s6, exec_lo, s9
	s_cbranch_execz .LBB1_13
; %bb.12:                               ;   in Loop: Header=BB1_7 Depth=2
	global_load_dword v4, v[4:5], off offset:64
	s_waitcnt vmcnt(0)
	ds_write_b32 v42, v4 offset:64
.LBB1_13:                               ;   in Loop: Header=BB1_7 Depth=2
	s_andn2_saveexec_b32 s6, s6
	s_cbranch_execz .LBB1_19
; %bb.14:                               ;   in Loop: Header=BB1_7 Depth=2
	s_xor_b32 s8, s8, -1
	s_and_saveexec_b32 s9, s8
	s_xor_b32 s8, exec_lo, s9
; %bb.15:                               ;   in Loop: Header=BB1_7 Depth=2
	ds_write_b32 v42, v41 offset:64
; %bb.16:                               ;   in Loop: Header=BB1_7 Depth=2
	s_andn2_saveexec_b32 s8, s8
; %bb.17:                               ;   in Loop: Header=BB1_7 Depth=2
	ds_write_b32 v42, v45 offset:64
; %bb.18:                               ;   in Loop: Header=BB1_7 Depth=2
	s_or_b32 exec_lo, exec_lo, s8
.LBB1_19:                               ;   in Loop: Header=BB1_7 Depth=2
	s_or_b32 exec_lo, exec_lo, s6
	v_add_co_u32 v2, s6, v2, 16
	v_add_co_ci_u32_e64 v3, null, 0, v3, s6
	v_cmp_eq_u64_e64 s8, s[16:17], v[22:23]
                                        ; implicit-def: $vgpr4
	v_cmp_le_i64_e64 s6, s[10:11], v[2:3]
	v_cmp_gt_i64_e64 s9, v[2:3], v[10:11]
	s_and_b32 s23, s28, s8
	v_add_co_u32 v2, s8, v38, v24
	v_add_co_ci_u32_e64 v3, null, v39, v25, s8
	s_or_b32 s9, s6, s9
	s_or_b32 s8, s9, s23
	s_nor_b32 s8, s0, s8
	s_and_saveexec_b32 s9, s8
	s_xor_b32 s8, exec_lo, s9
	s_cbranch_execz .LBB1_21
; %bb.20:                               ;   in Loop: Header=BB1_7 Depth=2
	global_load_dword v4, v[2:3], off
.LBB1_21:                               ;   in Loop: Header=BB1_7 Depth=2
	s_andn2_saveexec_b32 s8, s8
	s_cbranch_execz .LBB1_23
; %bb.22:                               ;   in Loop: Header=BB1_7 Depth=2
	s_waitcnt vmcnt(0)
	v_cndmask_b32_e64 v4, 0, 1.0, s23
.LBB1_23:                               ;   in Loop: Header=BB1_7 Depth=2
	s_or_b32 exec_lo, exec_lo, s8
	s_or_b32 s5, s6, s5
	s_waitcnt vmcnt(0)
	ds_write_b32 v42, v4 offset:2048
	s_or_b32 s5, s5, s22
	s_nor_b32 s5, s1, s5
	s_and_saveexec_b32 s6, s5
	s_xor_b32 s5, exec_lo, s6
	s_cbranch_execz .LBB1_25
; %bb.24:                               ;   in Loop: Header=BB1_7 Depth=2
	global_load_dword v2, v[2:3], off offset:64
	s_waitcnt vmcnt(0)
	ds_write_b32 v42, v2 offset:2112
.LBB1_25:                               ;   in Loop: Header=BB1_7 Depth=2
	s_andn2_saveexec_b32 s5, s5
	s_cbranch_execz .LBB1_31
; %bb.26:                               ;   in Loop: Header=BB1_7 Depth=2
	s_xor_b32 s6, s22, -1
	s_and_saveexec_b32 s8, s6
	s_xor_b32 s6, exec_lo, s8
; %bb.27:                               ;   in Loop: Header=BB1_7 Depth=2
	ds_write_b32 v42, v41 offset:2112
; %bb.28:                               ;   in Loop: Header=BB1_7 Depth=2
	s_andn2_saveexec_b32 s6, s6
; %bb.29:                               ;   in Loop: Header=BB1_7 Depth=2
	ds_write_b32 v42, v45 offset:2112
; %bb.30:                               ;   in Loop: Header=BB1_7 Depth=2
	s_or_b32 exec_lo, exec_lo, s6
.LBB1_31:                               ;   in Loop: Header=BB1_7 Depth=2
	s_or_b32 exec_lo, exec_lo, s5
	v_add_co_u32 v2, s5, v0, s16
	v_add_co_ci_u32_e64 v3, null, 0, s17, s5
	v_mov_b32_e32 v4, 0
	v_cmp_gt_i64_e64 s5, s[10:11], v[2:3]
	s_and_b32 s8, vcc_lo, s5
	s_and_saveexec_b32 s6, s8
	s_cbranch_execz .LBB1_33
; %bb.32:                               ;   in Loop: Header=BB1_7 Depth=2
	global_load_dword v4, v[32:33], off offset:-64
.LBB1_33:                               ;   in Loop: Header=BB1_7 Depth=2
	s_or_b32 exec_lo, exec_lo, s6
	v_cmp_gt_i64_e64 s6, s[18:19], v[2:3]
	s_waitcnt vmcnt(0)
	ds_write_b32 v44, v4
	s_and_b32 s8, vcc_lo, s6
	s_xor_b32 s8, s8, -1
	s_and_saveexec_b32 s9, s8
	s_xor_b32 s8, exec_lo, s9
; %bb.34:                               ;   in Loop: Header=BB1_7 Depth=2
	ds_write_b32 v44, v41 offset:64
; %bb.35:                               ;   in Loop: Header=BB1_7 Depth=2
	s_andn2_saveexec_b32 s8, s8
	s_cbranch_execz .LBB1_37
; %bb.36:                               ;   in Loop: Header=BB1_7 Depth=2
	global_load_dword v2, v[32:33], off
	s_waitcnt vmcnt(0)
	ds_write_b32 v44, v2 offset:64
.LBB1_37:                               ;   in Loop: Header=BB1_7 Depth=2
	s_or_b32 exec_lo, exec_lo, s8
	v_mov_b32_e32 v2, 0
	s_and_b32 s8, s4, s5
	s_and_saveexec_b32 s5, s8
	s_cbranch_execz .LBB1_39
; %bb.38:                               ;   in Loop: Header=BB1_7 Depth=2
	global_load_dword v2, v[34:35], off offset:-64
.LBB1_39:                               ;   in Loop: Header=BB1_7 Depth=2
	s_or_b32 exec_lo, exec_lo, s5
	s_and_b32 s5, s4, s6
	s_waitcnt vmcnt(0)
	ds_write_b32 v44, v2 offset:2048
	s_xor_b32 s5, s5, -1
	s_and_saveexec_b32 s6, s5
	s_xor_b32 s5, exec_lo, s6
; %bb.40:                               ;   in Loop: Header=BB1_7 Depth=2
	ds_write_b32 v44, v41 offset:2112
; %bb.41:                               ;   in Loop: Header=BB1_7 Depth=2
	s_andn2_saveexec_b32 s5, s5
	s_cbranch_execz .LBB1_6
; %bb.42:                               ;   in Loop: Header=BB1_7 Depth=2
	global_load_dword v2, v[34:35], off
	s_waitcnt vmcnt(0)
	ds_write_b32 v44, v2 offset:2112
	s_branch .LBB1_6
.LBB1_43:                               ;   in Loop: Header=BB1_4 Depth=1
	v_mul_lo_u32 v4, s41, v49
	v_mul_lo_u32 v5, s40, v51
	v_mad_u64_u32 v[2:3], null, s40, v49, 0
	v_cmp_gt_i32_e32 vcc_lo, s30, v49
	v_add3_u32 v3, v3, v5, v4
	v_lshlrev_b64 v[2:3], 2, v[2:3]
	v_add_co_u32 v2, s4, s34, v2
	v_add_co_ci_u32_e64 v3, null, s35, v3, s4
	s_and_b32 s4, s2, vcc_lo
	s_and_saveexec_b32 s5, s4
	s_cbranch_execz .LBB1_45
; %bb.44:                               ;   in Loop: Header=BB1_4 Depth=1
	v_add_co_u32 v4, s4, v2, v24
	v_add_co_ci_u32_e64 v5, null, v3, v25, s4
	global_load_dword v6, v[4:5], off
	s_waitcnt vmcnt(0)
	v_fmac_f32_e32 v6, s31, v53
	global_store_dword v[4:5], v6, off
.LBB1_45:                               ;   in Loop: Header=BB1_4 Depth=1
	s_or_b32 exec_lo, exec_lo, s5
	s_and_b32 s5, s3, vcc_lo
	s_and_saveexec_b32 s4, s5
	s_cbranch_execz .LBB1_47
; %bb.46:                               ;   in Loop: Header=BB1_4 Depth=1
	v_add_co_u32 v2, vcc_lo, v2, v30
	v_add_co_ci_u32_e64 v3, null, v3, v31, vcc_lo
	global_load_dword v4, v[2:3], off
	s_waitcnt vmcnt(0)
	v_fmac_f32_e32 v4, s31, v52
	global_store_dword v[2:3], v4, off
.LBB1_47:                               ;   in Loop: Header=BB1_4 Depth=1
	s_or_b32 exec_lo, exec_lo, s4
	v_add_nc_u32_e32 v4, 16, v49
	v_ashrrev_i32_e32 v5, 31, v4
	v_mul_lo_u32 v6, s41, v4
	v_mad_u64_u32 v[2:3], null, s40, v4, 0
	v_cmp_gt_i32_e32 vcc_lo, s30, v4
	v_mul_lo_u32 v5, s40, v5
	v_add3_u32 v3, v3, v5, v6
	v_lshlrev_b64 v[2:3], 2, v[2:3]
	v_add_co_u32 v2, s4, s34, v2
	v_add_co_ci_u32_e64 v3, null, s35, v3, s4
	s_and_b32 s4, s2, vcc_lo
	s_and_saveexec_b32 s5, s4
	s_cbranch_execz .LBB1_49
; %bb.48:                               ;   in Loop: Header=BB1_4 Depth=1
	v_add_co_u32 v4, s4, v2, v24
	v_add_co_ci_u32_e64 v5, null, v3, v25, s4
	global_load_dword v6, v[4:5], off
	s_waitcnt vmcnt(0)
	v_fmac_f32_e32 v6, s31, v50
	global_store_dword v[4:5], v6, off
.LBB1_49:                               ;   in Loop: Header=BB1_4 Depth=1
	s_or_b32 exec_lo, exec_lo, s5
	s_and_b32 s5, s3, vcc_lo
	s_and_saveexec_b32 s4, s5
	s_cbranch_execz .LBB1_3
; %bb.50:                               ;   in Loop: Header=BB1_4 Depth=1
	v_add_co_u32 v2, vcc_lo, v2, v30
	v_add_co_ci_u32_e64 v3, null, v3, v31, vcc_lo
	global_load_dword v4, v[2:3], off
	s_waitcnt vmcnt(0)
	v_fmac_f32_e32 v4, s31, v29
	global_store_dword v[2:3], v4, off
	s_branch .LBB1_3
.LBB1_51:
	s_endpgm
	.section	.rodata,"a",@progbits
	.p2align	6, 0x0
	.amdhsa_kernel _ZL30rocblas_trmm_outofplace_kernelIfLi32ELi2ELb1ELb0ELb0ELb0EfKffEv17rocblas_diagonal_iiT6_lPT7_lllS4_lllPT8_llli
		.amdhsa_group_segment_fixed_size 8192
		.amdhsa_private_segment_fixed_size 0
		.amdhsa_kernarg_size 384
		.amdhsa_user_sgpr_count 6
		.amdhsa_user_sgpr_private_segment_buffer 1
		.amdhsa_user_sgpr_dispatch_ptr 0
		.amdhsa_user_sgpr_queue_ptr 0
		.amdhsa_user_sgpr_kernarg_segment_ptr 1
		.amdhsa_user_sgpr_dispatch_id 0
		.amdhsa_user_sgpr_flat_scratch_init 0
		.amdhsa_user_sgpr_private_segment_size 0
		.amdhsa_wavefront_size32 1
		.amdhsa_uses_dynamic_stack 0
		.amdhsa_system_sgpr_private_segment_wavefront_offset 0
		.amdhsa_system_sgpr_workgroup_id_x 1
		.amdhsa_system_sgpr_workgroup_id_y 1
		.amdhsa_system_sgpr_workgroup_id_z 1
		.amdhsa_system_sgpr_workgroup_info 0
		.amdhsa_system_vgpr_workitem_id 1
		.amdhsa_next_free_vgpr 68
		.amdhsa_next_free_sgpr 48
		.amdhsa_reserve_vcc 1
		.amdhsa_reserve_flat_scratch 0
		.amdhsa_float_round_mode_32 0
		.amdhsa_float_round_mode_16_64 0
		.amdhsa_float_denorm_mode_32 3
		.amdhsa_float_denorm_mode_16_64 3
		.amdhsa_dx10_clamp 1
		.amdhsa_ieee_mode 1
		.amdhsa_fp16_overflow 0
		.amdhsa_workgroup_processor_mode 1
		.amdhsa_memory_ordered 1
		.amdhsa_forward_progress 1
		.amdhsa_shared_vgpr_count 0
		.amdhsa_exception_fp_ieee_invalid_op 0
		.amdhsa_exception_fp_denorm_src 0
		.amdhsa_exception_fp_ieee_div_zero 0
		.amdhsa_exception_fp_ieee_overflow 0
		.amdhsa_exception_fp_ieee_underflow 0
		.amdhsa_exception_fp_ieee_inexact 0
		.amdhsa_exception_int_div_zero 0
	.end_amdhsa_kernel
	.section	.text._ZL30rocblas_trmm_outofplace_kernelIfLi32ELi2ELb1ELb0ELb0ELb0EfKffEv17rocblas_diagonal_iiT6_lPT7_lllS4_lllPT8_llli,"axG",@progbits,_ZL30rocblas_trmm_outofplace_kernelIfLi32ELi2ELb1ELb0ELb0ELb0EfKffEv17rocblas_diagonal_iiT6_lPT7_lllS4_lllPT8_llli,comdat
.Lfunc_end1:
	.size	_ZL30rocblas_trmm_outofplace_kernelIfLi32ELi2ELb1ELb0ELb0ELb0EfKffEv17rocblas_diagonal_iiT6_lPT7_lllS4_lllPT8_llli, .Lfunc_end1-_ZL30rocblas_trmm_outofplace_kernelIfLi32ELi2ELb1ELb0ELb0ELb0EfKffEv17rocblas_diagonal_iiT6_lPT7_lllS4_lllPT8_llli
                                        ; -- End function
	.set _ZL30rocblas_trmm_outofplace_kernelIfLi32ELi2ELb1ELb0ELb0ELb0EfKffEv17rocblas_diagonal_iiT6_lPT7_lllS4_lllPT8_llli.num_vgpr, 68
	.set _ZL30rocblas_trmm_outofplace_kernelIfLi32ELi2ELb1ELb0ELb0ELb0EfKffEv17rocblas_diagonal_iiT6_lPT7_lllS4_lllPT8_llli.num_agpr, 0
	.set _ZL30rocblas_trmm_outofplace_kernelIfLi32ELi2ELb1ELb0ELb0ELb0EfKffEv17rocblas_diagonal_iiT6_lPT7_lllS4_lllPT8_llli.numbered_sgpr, 48
	.set _ZL30rocblas_trmm_outofplace_kernelIfLi32ELi2ELb1ELb0ELb0ELb0EfKffEv17rocblas_diagonal_iiT6_lPT7_lllS4_lllPT8_llli.num_named_barrier, 0
	.set _ZL30rocblas_trmm_outofplace_kernelIfLi32ELi2ELb1ELb0ELb0ELb0EfKffEv17rocblas_diagonal_iiT6_lPT7_lllS4_lllPT8_llli.private_seg_size, 0
	.set _ZL30rocblas_trmm_outofplace_kernelIfLi32ELi2ELb1ELb0ELb0ELb0EfKffEv17rocblas_diagonal_iiT6_lPT7_lllS4_lllPT8_llli.uses_vcc, 1
	.set _ZL30rocblas_trmm_outofplace_kernelIfLi32ELi2ELb1ELb0ELb0ELb0EfKffEv17rocblas_diagonal_iiT6_lPT7_lllS4_lllPT8_llli.uses_flat_scratch, 0
	.set _ZL30rocblas_trmm_outofplace_kernelIfLi32ELi2ELb1ELb0ELb0ELb0EfKffEv17rocblas_diagonal_iiT6_lPT7_lllS4_lllPT8_llli.has_dyn_sized_stack, 0
	.set _ZL30rocblas_trmm_outofplace_kernelIfLi32ELi2ELb1ELb0ELb0ELb0EfKffEv17rocblas_diagonal_iiT6_lPT7_lllS4_lllPT8_llli.has_recursion, 0
	.set _ZL30rocblas_trmm_outofplace_kernelIfLi32ELi2ELb1ELb0ELb0ELb0EfKffEv17rocblas_diagonal_iiT6_lPT7_lllS4_lllPT8_llli.has_indirect_call, 0
	.section	.AMDGPU.csdata,"",@progbits
; Kernel info:
; codeLenInByte = 3008
; TotalNumSgprs: 50
; NumVgprs: 68
; ScratchSize: 0
; MemoryBound: 0
; FloatMode: 240
; IeeeMode: 1
; LDSByteSize: 8192 bytes/workgroup (compile time only)
; SGPRBlocks: 0
; VGPRBlocks: 8
; NumSGPRsForWavesPerEU: 50
; NumVGPRsForWavesPerEU: 68
; Occupancy: 12
; WaveLimiterHint : 0
; COMPUTE_PGM_RSRC2:SCRATCH_EN: 0
; COMPUTE_PGM_RSRC2:USER_SGPR: 6
; COMPUTE_PGM_RSRC2:TRAP_HANDLER: 0
; COMPUTE_PGM_RSRC2:TGID_X_EN: 1
; COMPUTE_PGM_RSRC2:TGID_Y_EN: 1
; COMPUTE_PGM_RSRC2:TGID_Z_EN: 1
; COMPUTE_PGM_RSRC2:TIDIG_COMP_CNT: 1
	.section	.text._ZL30rocblas_trmm_outofplace_kernelIfLi32ELi2ELb1ELb1ELb0ELb0EPKfS0_fEv17rocblas_diagonal_iiT6_lPT7_lllS5_lllPT8_llli,"axG",@progbits,_ZL30rocblas_trmm_outofplace_kernelIfLi32ELi2ELb1ELb1ELb0ELb0EPKfS0_fEv17rocblas_diagonal_iiT6_lPT7_lllS5_lllPT8_llli,comdat
	.globl	_ZL30rocblas_trmm_outofplace_kernelIfLi32ELi2ELb1ELb1ELb0ELb0EPKfS0_fEv17rocblas_diagonal_iiT6_lPT7_lllS5_lllPT8_llli ; -- Begin function _ZL30rocblas_trmm_outofplace_kernelIfLi32ELi2ELb1ELb1ELb0ELb0EPKfS0_fEv17rocblas_diagonal_iiT6_lPT7_lllS5_lllPT8_llli
	.p2align	8
	.type	_ZL30rocblas_trmm_outofplace_kernelIfLi32ELi2ELb1ELb1ELb0ELb0EPKfS0_fEv17rocblas_diagonal_iiT6_lPT7_lllS5_lllPT8_llli,@function
_ZL30rocblas_trmm_outofplace_kernelIfLi32ELi2ELb1ELb1ELb0ELb0EPKfS0_fEv17rocblas_diagonal_iiT6_lPT7_lllS5_lllPT8_llli: ; @_ZL30rocblas_trmm_outofplace_kernelIfLi32ELi2ELb1ELb1ELb0ELb0EPKfS0_fEv17rocblas_diagonal_iiT6_lPT7_lllS5_lllPT8_llli
; %bb.0:
	s_load_dwordx16 s[12:27], s[4:5], 0x10
	s_waitcnt lgkmcnt(0)
	s_mul_i32 s0, s15, s8
	s_mul_hi_u32 s1, s14, s8
	s_add_i32 s1, s1, s0
	s_mul_i32 s0, s14, s8
	s_lshl_b64 s[0:1], s[0:1], 2
	s_add_u32 s0, s12, s0
	s_addc_u32 s1, s13, s1
	s_load_dword s33, s[0:1], 0x0
	s_waitcnt lgkmcnt(0)
	v_cmp_eq_f32_e64 s0, s33, 0
	s_and_b32 vcc_lo, exec_lo, s0
	s_cbranch_vccnz .LBB2_51
; %bb.1:
	s_load_dwordx4 s[12:15], s[4:5], 0x0
	s_waitcnt lgkmcnt(0)
	s_add_i32 s0, s14, -1
	s_ashr_i32 s1, s0, 31
	s_lshr_b32 s1, s1, 27
	s_add_i32 s0, s0, s1
	s_ashr_i32 s15, s0, 5
	s_cmp_gt_i32 s7, s15
	s_cbranch_scc1 .LBB2_51
; %bb.2:
	s_clause 0x1
	s_load_dwordx4 s[28:31], s[4:5], 0x70
	s_load_dwordx8 s[36:43], s[4:5], 0x50
	s_mul_i32 s1, s23, s8
	s_mul_hi_u32 s2, s22, s8
	s_mul_i32 s0, s22, s8
	s_add_i32 s1, s2, s1
	s_load_dword s44, s[4:5], 0x8c
	s_lshl_b64 s[34:35], s[0:1], 2
	v_lshlrev_b32_e32 v2, 7, v1
	s_add_u32 s0, s16, s34
	s_addc_u32 s1, s17, s35
	s_lshl_b64 s[46:47], s[18:19], 2
	v_lshlrev_b32_e32 v40, 2, v0
	s_add_u32 s3, s0, s46
	s_addc_u32 s4, s1, s47
	v_add_nc_u32_e32 v41, 0x1000, v2
	s_mov_b32 s10, s13
	v_add_nc_u32_e32 v42, v40, v2
	v_lshl_add_u32 v30, s7, 5, v1
	v_mov_b32_e32 v44, 1.0
	s_waitcnt lgkmcnt(0)
	s_mul_i32 s1, s31, s8
	s_mul_hi_u32 s2, s30, s8
	s_mul_i32 s0, s30, s8
	s_add_i32 s1, s2, s1
	v_add_nc_u32_e32 v43, v41, v40
	s_lshl_b64 s[0:1], s[0:1], 2
	v_add_nc_u32_e32 v45, 0x400, v40
	s_add_u32 s2, s40, s0
	s_addc_u32 s5, s41, s1
	s_lshl_b64 s[0:1], s[42:43], 2
	v_add_nc_u32_e32 v46, 0x800, v40
	s_add_u32 s30, s2, s0
	s_addc_u32 s31, s5, s1
	s_lshl_b32 s0, s6, 5
	v_add_nc_u32_e32 v47, 0xc00, v40
	v_add_nc_u32_e32 v10, s0, v1
	;; [unrolled: 1-line block ×3, first 2 shown]
	s_sub_i32 s40, s13, s0
	s_cmp_gt_i32 s40, 0
	v_ashrrev_i32_e32 v11, 31, v10
	v_mul_lo_u32 v0, s21, v10
	v_mad_u64_u32 v[2:3], null, s20, v10, 0
	v_ashrrev_i32_e32 v13, 31, v12
	v_mul_lo_u32 v4, s20, v11
	v_add_co_u32 v16, vcc_lo, v12, 16
	s_cselect_b32 s41, -1, 0
	v_add_co_ci_u32_e64 v17, null, 0, v13, vcc_lo
	s_cmpk_eq_i32 s12, 0x84
	v_add_nc_u32_e32 v14, 16, v12
	v_add3_u32 v3, v3, v4, v0
	s_cselect_b32 s42, -1, 0
	s_ashr_i32 s11, s13, 31
	s_ashr_i32 s43, s14, 31
	s_lshl_b64 s[18:19], s[20:21], 7
	v_lshlrev_b64 v[2:3], 2, v[2:3]
	s_add_u32 s22, s13, -16
	s_addc_u32 s23, s11, -1
	v_cmp_le_i64_e64 s2, s[10:11], v[16:17]
	v_lshlrev_b64 v[28:29], 2, v[12:13]
	v_cmp_le_i32_e64 s0, s13, v12
	v_add_co_u32 v18, vcc_lo, s3, v2
	v_add_co_ci_u32_e64 v19, null, s4, v3, vcc_lo
	v_sub_co_u32 v20, vcc_lo, v12, v10
	v_lshlrev_b64 v[2:3], 2, v[10:11]
	v_sub_co_ci_u32_e64 v21, null, v13, v11, vcc_lo
	v_add_co_u32 v22, vcc_lo, v20, 16
	s_add_u32 s4, s16, s46
	v_add_co_ci_u32_e64 v23, null, 0, v21, vcc_lo
	v_add_co_u32 v0, vcc_lo, v2, 64
	v_add_co_ci_u32_e64 v2, null, 0, v3, vcc_lo
	s_addc_u32 s5, s17, s47
	s_add_u32 s4, s4, s34
	s_addc_u32 s5, s5, s35
	v_mul_lo_u32 v2, s20, v2
	v_mad_u64_u32 v[24:25], null, s20, v0, s[4:5]
	v_mul_lo_u32 v0, s21, v0
	s_mul_i32 s4, s39, s8
	s_mul_hi_u32 s5, s38, s8
	v_add_co_u32 v26, vcc_lo, v20, -16
	s_add_i32 s5, s5, s4
	s_mul_i32 s4, s38, s8
	s_lshl_b64 s[8:9], s[26:27], 2
	s_lshl_b64 s[4:5], s[4:5], 2
	v_cmp_gt_i32_e64 s1, s13, v12
	s_add_u32 s4, s4, s8
	s_addc_u32 s5, s5, s9
	v_cmp_gt_i32_e64 s3, s13, v14
	v_ashrrev_i32_e32 v15, 31, v14
	v_add_co_ci_u32_e64 v27, null, -1, v21, vcc_lo
	v_add3_u32 v25, v0, v25, v2
	s_add_u32 s12, s24, s4
	v_mov_b32_e32 v0, 0
	s_addc_u32 s13, s25, s5
	s_add_u32 s16, s12, 64
	s_addc_u32 s17, s13, 0
	s_lshl_b64 s[20:21], s[36:37], 2
	s_lshl_b32 s26, s44, 5
	s_branch .LBB2_4
.LBB2_3:                                ;   in Loop: Header=BB2_4 Depth=1
	s_or_b32 exec_lo, exec_lo, s4
	v_add_nc_u32_e32 v30, s26, v30
	s_add_i32 s7, s44, s7
	s_cmp_le_i32 s7, s15
	s_cbranch_scc0 .LBB2_51
.LBB2_4:                                ; =>This Loop Header: Depth=1
                                        ;     Child Loop BB2_7 Depth 2
	v_lshl_add_u32 v48, s7, 5, v1
	v_mov_b32_e32 v52, 0
	v_mov_b32_e32 v51, 0
	;; [unrolled: 1-line block ×4, first 2 shown]
	v_ashrrev_i32_e32 v50, 31, v48
	s_andn2_b32 vcc_lo, exec_lo, s41
	s_cbranch_vccnz .LBB2_43
; %bb.5:                                ;   in Loop: Header=BB2_4 Depth=1
	v_ashrrev_i32_e32 v31, 31, v30
	v_mad_u64_u32 v[32:33], null, s20, v30, s[16:17]
	v_mul_lo_u32 v4, s21, v30
	v_mov_b32_e32 v37, v19
	v_lshlrev_b64 v[2:3], 2, v[30:31]
	v_mul_lo_u32 v7, s20, v31
	v_mov_b32_e32 v39, v25
	v_mov_b32_e32 v31, 0
	;; [unrolled: 1-line block ×4, first 2 shown]
	v_add_co_u32 v5, vcc_lo, v2, 64
	v_add_co_ci_u32_e64 v6, null, 0, v3, vcc_lo
	v_sub_co_u32 v2, vcc_lo, s14, v48
	v_mul_lo_u32 v8, s37, v5
	v_mul_lo_u32 v6, s36, v6
	v_mad_u64_u32 v[34:35], null, s36, v5, s[12:13]
	v_sub_co_ci_u32_e64 v3, null, s43, v50, vcc_lo
	v_add3_u32 v33, v4, v33, v7
	v_mov_b32_e32 v49, 0
	v_mov_b32_e32 v51, 0
	v_cmp_lt_i64_e64 s4, 16, v[2:3]
	v_add3_u32 v35, v8, v35, v6
	v_mov_b32_e32 v52, 0
	s_mov_b64 s[24:25], 0
	v_cmp_lt_i64_e32 vcc_lo, 0, v[2:3]
	s_branch .LBB2_7
.LBB2_6:                                ;   in Loop: Header=BB2_7 Depth=2
	s_or_b32 exec_lo, exec_lo, s5
	s_waitcnt lgkmcnt(0)
	s_barrier
	buffer_gl0_inv
	ds_read_b128 v[53:56], v41
	ds_read_b128 v[57:60], v41 offset:16
	ds_read_b128 v[6:9], v41 offset:32
	;; [unrolled: 1-line block ×3, first 2 shown]
	ds_read2_b32 v[65:66], v40 offset1:16
	ds_read_b128 v[61:64], v41 offset:2048
	v_add_co_u32 v38, s5, v38, s18
	v_add_co_ci_u32_e64 v39, null, s19, v39, s5
	v_add_co_u32 v32, s5, 0x80, v32
	v_add_co_ci_u32_e64 v33, null, 0, v33, s5
	;; [unrolled: 2-line block ×4, first 2 shown]
	s_add_u32 s24, s24, 32
	s_addc_u32 s25, s25, 0
	s_waitcnt lgkmcnt(1)
	v_fmac_f32_e32 v52, v65, v53
	v_fmac_f32_e32 v51, v66, v53
	s_waitcnt lgkmcnt(0)
	v_fmac_f32_e32 v49, v65, v61
	v_fmac_f32_e32 v31, v66, v61
	ds_read2_b32 v[65:66], v40 offset0:32 offset1:48
	s_cmp_ge_i32 s24, s40
	s_waitcnt lgkmcnt(0)
	v_fmac_f32_e32 v52, v65, v54
	v_fmac_f32_e32 v51, v66, v54
	ds_read2_b32 v[53:54], v40 offset0:64 offset1:80
	v_fmac_f32_e32 v49, v65, v62
	v_fmac_f32_e32 v31, v66, v62
	ds_read2_b32 v[61:62], v40 offset0:128 offset1:144
	s_waitcnt lgkmcnt(1)
	v_fmac_f32_e32 v52, v53, v55
	v_fmac_f32_e32 v51, v54, v55
	;; [unrolled: 1-line block ×4, first 2 shown]
	ds_read2_b32 v[53:54], v40 offset0:96 offset1:112
	s_waitcnt lgkmcnt(0)
	v_fmac_f32_e32 v52, v53, v56
	v_fmac_f32_e32 v51, v54, v56
	;; [unrolled: 1-line block ×4, first 2 shown]
	ds_read_b128 v[53:56], v41 offset:2064
	v_fmac_f32_e32 v52, v61, v57
	v_fmac_f32_e32 v51, v62, v57
	s_waitcnt lgkmcnt(0)
	v_fmac_f32_e32 v49, v61, v53
	v_fmac_f32_e32 v31, v62, v53
	ds_read2_b32 v[61:62], v40 offset0:160 offset1:176
	s_waitcnt lgkmcnt(0)
	v_fmac_f32_e32 v49, v61, v54
	v_fmac_f32_e32 v31, v62, v54
	ds_read2_b32 v[53:54], v40 offset0:192 offset1:208
	v_fmac_f32_e32 v52, v61, v58
	v_fmac_f32_e32 v51, v62, v58
	ds_read2_b32 v[57:58], v45 offset1:16
	s_waitcnt lgkmcnt(1)
	v_fmac_f32_e32 v52, v53, v59
	v_fmac_f32_e32 v51, v54, v59
	;; [unrolled: 1-line block ×4, first 2 shown]
	ds_read2_b32 v[53:54], v40 offset0:224 offset1:240
	s_waitcnt lgkmcnt(0)
	v_fmac_f32_e32 v52, v53, v60
	v_fmac_f32_e32 v51, v54, v60
	;; [unrolled: 1-line block ×4, first 2 shown]
	ds_read_b128 v[53:56], v41 offset:2080
	v_fmac_f32_e32 v52, v57, v6
	v_fmac_f32_e32 v51, v58, v6
	s_waitcnt lgkmcnt(0)
	v_fmac_f32_e32 v49, v57, v53
	v_fmac_f32_e32 v31, v58, v53
	ds_read2_b32 v[57:58], v45 offset0:32 offset1:48
	s_waitcnt lgkmcnt(0)
	v_fmac_f32_e32 v52, v57, v7
	v_fmac_f32_e32 v51, v58, v7
	ds_read2_b32 v[6:7], v45 offset0:64 offset1:80
	v_fmac_f32_e32 v49, v57, v54
	v_fmac_f32_e32 v31, v58, v54
	ds_read2_b32 v[53:54], v45 offset0:128 offset1:144
	s_waitcnt lgkmcnt(1)
	v_fmac_f32_e32 v52, v6, v8
	v_fmac_f32_e32 v51, v7, v8
	;; [unrolled: 1-line block ×4, first 2 shown]
	ds_read2_b32 v[6:7], v45 offset0:96 offset1:112
	s_waitcnt lgkmcnt(0)
	v_fmac_f32_e32 v52, v6, v9
	v_fmac_f32_e32 v51, v7, v9
	;; [unrolled: 1-line block ×4, first 2 shown]
	ds_read_b128 v[6:9], v41 offset:2096
	v_fmac_f32_e32 v52, v53, v2
	v_fmac_f32_e32 v51, v54, v2
	s_waitcnt lgkmcnt(0)
	v_fmac_f32_e32 v49, v53, v6
	v_fmac_f32_e32 v31, v54, v6
	ds_read2_b32 v[53:54], v45 offset0:160 offset1:176
	s_waitcnt lgkmcnt(0)
	v_fmac_f32_e32 v52, v53, v3
	v_fmac_f32_e32 v51, v54, v3
	ds_read2_b32 v[2:3], v45 offset0:192 offset1:208
	v_fmac_f32_e32 v49, v53, v7
	v_fmac_f32_e32 v31, v54, v7
	s_waitcnt lgkmcnt(0)
	v_fmac_f32_e32 v52, v2, v4
	v_fmac_f32_e32 v51, v3, v4
	;; [unrolled: 1-line block ×4, first 2 shown]
	ds_read2_b32 v[2:3], v45 offset0:224 offset1:240
	s_waitcnt lgkmcnt(0)
	v_fmac_f32_e32 v52, v2, v5
	v_fmac_f32_e32 v51, v3, v5
	;; [unrolled: 1-line block ×4, first 2 shown]
	ds_read_b128 v[2:5], v41 offset:64
	ds_read2_b32 v[53:54], v46 offset1:16
	ds_read_b128 v[6:9], v41 offset:2112
	s_waitcnt lgkmcnt(1)
	v_fmac_f32_e32 v52, v53, v2
	v_fmac_f32_e32 v51, v54, v2
	s_waitcnt lgkmcnt(0)
	v_fmac_f32_e32 v49, v53, v6
	v_fmac_f32_e32 v31, v54, v6
	ds_read2_b32 v[53:54], v46 offset0:32 offset1:48
	s_waitcnt lgkmcnt(0)
	v_fmac_f32_e32 v52, v53, v3
	v_fmac_f32_e32 v51, v54, v3
	ds_read2_b32 v[2:3], v46 offset0:64 offset1:80
	v_fmac_f32_e32 v49, v53, v7
	v_fmac_f32_e32 v31, v54, v7
	s_waitcnt lgkmcnt(0)
	v_fmac_f32_e32 v52, v2, v4
	v_fmac_f32_e32 v51, v3, v4
	;; [unrolled: 1-line block ×4, first 2 shown]
	ds_read2_b32 v[2:3], v46 offset0:96 offset1:112
	s_waitcnt lgkmcnt(0)
	v_fmac_f32_e32 v52, v2, v5
	v_fmac_f32_e32 v51, v3, v5
	;; [unrolled: 1-line block ×4, first 2 shown]
	ds_read_b128 v[2:5], v41 offset:80
	ds_read2_b32 v[53:54], v46 offset0:128 offset1:144
	ds_read_b128 v[6:9], v41 offset:2128
	s_waitcnt lgkmcnt(1)
	v_fmac_f32_e32 v52, v53, v2
	v_fmac_f32_e32 v51, v54, v2
	s_waitcnt lgkmcnt(0)
	v_fmac_f32_e32 v49, v53, v6
	v_fmac_f32_e32 v31, v54, v6
	ds_read2_b32 v[53:54], v46 offset0:160 offset1:176
	s_waitcnt lgkmcnt(0)
	v_fmac_f32_e32 v52, v53, v3
	v_fmac_f32_e32 v51, v54, v3
	ds_read2_b32 v[2:3], v46 offset0:192 offset1:208
	v_fmac_f32_e32 v49, v53, v7
	v_fmac_f32_e32 v31, v54, v7
	s_waitcnt lgkmcnt(0)
	v_fmac_f32_e32 v52, v2, v4
	v_fmac_f32_e32 v51, v3, v4
	;; [unrolled: 1-line block ×4, first 2 shown]
	ds_read2_b32 v[2:3], v46 offset0:224 offset1:240
	s_waitcnt lgkmcnt(0)
	v_fmac_f32_e32 v52, v2, v5
	v_fmac_f32_e32 v51, v3, v5
	v_fmac_f32_e32 v49, v2, v9
	v_fmac_f32_e32 v31, v3, v9
	ds_read_b128 v[2:5], v41 offset:96
	ds_read2_b32 v[53:54], v47 offset1:16
	ds_read_b128 v[6:9], v41 offset:2144
	s_waitcnt lgkmcnt(1)
	v_fmac_f32_e32 v52, v53, v2
	v_fmac_f32_e32 v51, v54, v2
	s_waitcnt lgkmcnt(0)
	v_fmac_f32_e32 v49, v53, v6
	v_fmac_f32_e32 v31, v54, v6
	ds_read2_b32 v[53:54], v47 offset0:32 offset1:48
	s_waitcnt lgkmcnt(0)
	v_fmac_f32_e32 v52, v53, v3
	v_fmac_f32_e32 v51, v54, v3
	ds_read2_b32 v[2:3], v47 offset0:64 offset1:80
	v_fmac_f32_e32 v49, v53, v7
	v_fmac_f32_e32 v31, v54, v7
	s_waitcnt lgkmcnt(0)
	v_fmac_f32_e32 v52, v2, v4
	v_fmac_f32_e32 v51, v3, v4
	;; [unrolled: 1-line block ×4, first 2 shown]
	ds_read2_b32 v[2:3], v47 offset0:96 offset1:112
	s_waitcnt lgkmcnt(0)
	v_fmac_f32_e32 v52, v2, v5
	v_fmac_f32_e32 v51, v3, v5
	;; [unrolled: 1-line block ×4, first 2 shown]
	ds_read_b128 v[2:5], v41 offset:112
	ds_read2_b32 v[53:54], v47 offset0:128 offset1:144
	ds_read_b128 v[6:9], v41 offset:2160
	s_waitcnt lgkmcnt(1)
	v_fmac_f32_e32 v52, v53, v2
	v_fmac_f32_e32 v51, v54, v2
	s_waitcnt lgkmcnt(0)
	v_fmac_f32_e32 v49, v53, v6
	v_fmac_f32_e32 v31, v54, v6
	ds_read2_b32 v[53:54], v47 offset0:160 offset1:176
	s_waitcnt lgkmcnt(0)
	v_fmac_f32_e32 v52, v53, v3
	v_fmac_f32_e32 v51, v54, v3
	ds_read2_b32 v[2:3], v47 offset0:192 offset1:208
	v_fmac_f32_e32 v49, v53, v7
	v_fmac_f32_e32 v31, v54, v7
	s_waitcnt lgkmcnt(0)
	v_fmac_f32_e32 v52, v2, v4
	v_fmac_f32_e32 v51, v3, v4
	;; [unrolled: 1-line block ×4, first 2 shown]
	ds_read2_b32 v[2:3], v47 offset0:224 offset1:240
	s_waitcnt lgkmcnt(0)
	s_barrier
	buffer_gl0_inv
	v_fmac_f32_e32 v52, v2, v5
	v_fmac_f32_e32 v51, v3, v5
	;; [unrolled: 1-line block ×4, first 2 shown]
	s_cbranch_scc1 .LBB2_43
.LBB2_7:                                ;   Parent Loop BB2_4 Depth=1
                                        ; =>  This Inner Loop Header: Depth=2
	v_add_co_u32 v2, s5, v10, s24
	v_add_co_ci_u32_e64 v3, null, s25, v11, s5
	v_cmp_eq_u64_e64 s8, s[24:25], v[20:21]
                                        ; implicit-def: $vgpr6
	v_cmp_le_i64_e64 s6, s[10:11], v[2:3]
	v_cmp_lt_i64_e64 s5, v[2:3], v[12:13]
	s_and_b32 s27, s42, s8
	v_add_co_u32 v4, s8, v36, v28
	v_add_co_ci_u32_e64 v5, null, v37, v29, s8
	s_or_b32 s9, s6, s5
	s_or_b32 s8, s9, s27
	s_nor_b32 s8, s0, s8
	s_and_saveexec_b32 s9, s8
	s_xor_b32 s8, exec_lo, s9
	s_cbranch_execz .LBB2_9
; %bb.8:                                ;   in Loop: Header=BB2_7 Depth=2
	global_load_dword v6, v[4:5], off
.LBB2_9:                                ;   in Loop: Header=BB2_7 Depth=2
	s_andn2_saveexec_b32 s8, s8
	s_cbranch_execz .LBB2_11
; %bb.10:                               ;   in Loop: Header=BB2_7 Depth=2
	s_waitcnt vmcnt(0)
	v_cndmask_b32_e64 v6, 0, 1.0, s27
.LBB2_11:                               ;   in Loop: Header=BB2_7 Depth=2
	s_or_b32 exec_lo, exec_lo, s8
	v_cmp_eq_u64_e64 s8, s[24:25], v[22:23]
	v_cmp_gt_i64_e64 s9, v[16:17], v[2:3]
	s_waitcnt vmcnt(0)
	ds_write_b32 v42, v6
	s_and_b32 s8, s42, s8
	s_or_b32 s6, s6, s9
	s_or_b32 s6, s6, s8
	s_nor_b32 s6, s2, s6
	s_and_saveexec_b32 s9, s6
	s_xor_b32 s6, exec_lo, s9
	s_cbranch_execz .LBB2_13
; %bb.12:                               ;   in Loop: Header=BB2_7 Depth=2
	global_load_dword v4, v[4:5], off offset:64
	s_waitcnt vmcnt(0)
	ds_write_b32 v42, v4 offset:64
.LBB2_13:                               ;   in Loop: Header=BB2_7 Depth=2
	s_andn2_saveexec_b32 s6, s6
	s_cbranch_execz .LBB2_19
; %bb.14:                               ;   in Loop: Header=BB2_7 Depth=2
	s_xor_b32 s8, s8, -1
	s_and_saveexec_b32 s9, s8
	s_xor_b32 s8, exec_lo, s9
; %bb.15:                               ;   in Loop: Header=BB2_7 Depth=2
	ds_write_b32 v42, v0 offset:64
; %bb.16:                               ;   in Loop: Header=BB2_7 Depth=2
	s_andn2_saveexec_b32 s8, s8
; %bb.17:                               ;   in Loop: Header=BB2_7 Depth=2
	ds_write_b32 v42, v44 offset:64
; %bb.18:                               ;   in Loop: Header=BB2_7 Depth=2
	s_or_b32 exec_lo, exec_lo, s8
.LBB2_19:                               ;   in Loop: Header=BB2_7 Depth=2
	s_or_b32 exec_lo, exec_lo, s6
	v_add_co_u32 v2, s6, v2, 16
	v_add_co_ci_u32_e64 v3, null, 0, v3, s6
	v_cmp_eq_u64_e64 s8, s[24:25], v[26:27]
                                        ; implicit-def: $vgpr4
	v_cmp_le_i64_e64 s6, s[10:11], v[2:3]
	v_cmp_lt_i64_e64 s9, v[2:3], v[12:13]
	s_and_b32 s34, s42, s8
	v_add_co_u32 v2, s8, v38, v28
	v_add_co_ci_u32_e64 v3, null, v39, v29, s8
	s_or_b32 s9, s6, s9
	s_or_b32 s8, s9, s34
	s_nor_b32 s8, s0, s8
	s_and_saveexec_b32 s9, s8
	s_xor_b32 s8, exec_lo, s9
	s_cbranch_execz .LBB2_21
; %bb.20:                               ;   in Loop: Header=BB2_7 Depth=2
	global_load_dword v4, v[2:3], off
.LBB2_21:                               ;   in Loop: Header=BB2_7 Depth=2
	s_andn2_saveexec_b32 s8, s8
	s_cbranch_execz .LBB2_23
; %bb.22:                               ;   in Loop: Header=BB2_7 Depth=2
	s_waitcnt vmcnt(0)
	v_cndmask_b32_e64 v4, 0, 1.0, s34
.LBB2_23:                               ;   in Loop: Header=BB2_7 Depth=2
	s_or_b32 exec_lo, exec_lo, s8
	s_or_b32 s5, s6, s5
	s_waitcnt vmcnt(0)
	ds_write_b32 v42, v4 offset:2048
	s_or_b32 s5, s5, s27
	s_nor_b32 s5, s2, s5
	s_and_saveexec_b32 s6, s5
	s_xor_b32 s5, exec_lo, s6
	s_cbranch_execz .LBB2_25
; %bb.24:                               ;   in Loop: Header=BB2_7 Depth=2
	global_load_dword v2, v[2:3], off offset:64
	s_waitcnt vmcnt(0)
	ds_write_b32 v42, v2 offset:2112
.LBB2_25:                               ;   in Loop: Header=BB2_7 Depth=2
	s_andn2_saveexec_b32 s5, s5
	s_cbranch_execz .LBB2_31
; %bb.26:                               ;   in Loop: Header=BB2_7 Depth=2
	s_xor_b32 s6, s27, -1
	s_and_saveexec_b32 s8, s6
	s_xor_b32 s6, exec_lo, s8
; %bb.27:                               ;   in Loop: Header=BB2_7 Depth=2
	ds_write_b32 v42, v0 offset:2112
; %bb.28:                               ;   in Loop: Header=BB2_7 Depth=2
	s_andn2_saveexec_b32 s6, s6
; %bb.29:                               ;   in Loop: Header=BB2_7 Depth=2
	ds_write_b32 v42, v44 offset:2112
; %bb.30:                               ;   in Loop: Header=BB2_7 Depth=2
	s_or_b32 exec_lo, exec_lo, s6
.LBB2_31:                               ;   in Loop: Header=BB2_7 Depth=2
	s_or_b32 exec_lo, exec_lo, s5
	v_add_co_u32 v4, s5, v12, s24
	v_add_co_ci_u32_e64 v5, null, s25, v13, s5
	v_add_co_u32 v2, s6, v32, v28
	v_add_co_ci_u32_e64 v3, null, v33, v29, s6
	v_cmp_gt_i64_e64 s5, s[10:11], v[4:5]
	v_mov_b32_e32 v6, 0
	s_and_b32 s8, vcc_lo, s5
	s_and_saveexec_b32 s6, s8
	s_cbranch_execz .LBB2_33
; %bb.32:                               ;   in Loop: Header=BB2_7 Depth=2
	global_load_dword v6, v[2:3], off offset:-64
.LBB2_33:                               ;   in Loop: Header=BB2_7 Depth=2
	s_or_b32 exec_lo, exec_lo, s6
	v_cmp_gt_i64_e64 s6, s[22:23], v[4:5]
	s_waitcnt vmcnt(0)
	ds_write_b32 v43, v6
	s_and_b32 s8, vcc_lo, s6
	s_xor_b32 s8, s8, -1
	s_and_saveexec_b32 s9, s8
	s_xor_b32 s8, exec_lo, s9
; %bb.34:                               ;   in Loop: Header=BB2_7 Depth=2
	ds_write_b32 v43, v0 offset:64
                                        ; implicit-def: $vgpr2_vgpr3
; %bb.35:                               ;   in Loop: Header=BB2_7 Depth=2
	s_andn2_saveexec_b32 s8, s8
	s_cbranch_execz .LBB2_37
; %bb.36:                               ;   in Loop: Header=BB2_7 Depth=2
	global_load_dword v2, v[2:3], off
	s_waitcnt vmcnt(0)
	ds_write_b32 v43, v2 offset:64
.LBB2_37:                               ;   in Loop: Header=BB2_7 Depth=2
	s_or_b32 exec_lo, exec_lo, s8
	v_add_co_u32 v2, s8, v34, v28
	v_add_co_ci_u32_e64 v3, null, v35, v29, s8
	v_mov_b32_e32 v4, 0
	s_and_b32 s8, s4, s5
	s_and_saveexec_b32 s5, s8
	s_cbranch_execz .LBB2_39
; %bb.38:                               ;   in Loop: Header=BB2_7 Depth=2
	global_load_dword v4, v[2:3], off
.LBB2_39:                               ;   in Loop: Header=BB2_7 Depth=2
	s_or_b32 exec_lo, exec_lo, s5
	s_and_b32 s5, s4, s6
	s_waitcnt vmcnt(0)
	ds_write_b32 v43, v4 offset:2048
	s_xor_b32 s5, s5, -1
	s_and_saveexec_b32 s6, s5
	s_xor_b32 s5, exec_lo, s6
; %bb.40:                               ;   in Loop: Header=BB2_7 Depth=2
	ds_write_b32 v43, v0 offset:2112
                                        ; implicit-def: $vgpr2_vgpr3
; %bb.41:                               ;   in Loop: Header=BB2_7 Depth=2
	s_andn2_saveexec_b32 s5, s5
	s_cbranch_execz .LBB2_6
; %bb.42:                               ;   in Loop: Header=BB2_7 Depth=2
	global_load_dword v2, v[2:3], off offset:64
	s_waitcnt vmcnt(0)
	ds_write_b32 v43, v2 offset:2112
	s_branch .LBB2_6
.LBB2_43:                               ;   in Loop: Header=BB2_4 Depth=1
	v_mul_lo_u32 v4, s29, v48
	v_mul_lo_u32 v5, s28, v50
	v_mad_u64_u32 v[2:3], null, s28, v48, 0
	v_cmp_gt_i32_e32 vcc_lo, s14, v48
	v_add3_u32 v3, v3, v5, v4
	v_lshlrev_b64 v[2:3], 2, v[2:3]
	v_add_co_u32 v2, s4, s30, v2
	v_add_co_ci_u32_e64 v3, null, s31, v3, s4
	s_and_b32 s4, s1, vcc_lo
	s_and_saveexec_b32 s5, s4
	s_cbranch_execz .LBB2_45
; %bb.44:                               ;   in Loop: Header=BB2_4 Depth=1
	v_add_co_u32 v4, s4, v2, v28
	v_add_co_ci_u32_e64 v5, null, v3, v29, s4
	global_load_dword v6, v[4:5], off
	s_waitcnt vmcnt(0)
	v_fmac_f32_e32 v6, s33, v52
	global_store_dword v[4:5], v6, off
.LBB2_45:                               ;   in Loop: Header=BB2_4 Depth=1
	s_or_b32 exec_lo, exec_lo, s5
	s_and_b32 s5, s3, vcc_lo
	s_and_saveexec_b32 s4, s5
	s_cbranch_execz .LBB2_47
; %bb.46:                               ;   in Loop: Header=BB2_4 Depth=1
	v_lshlrev_b64 v[4:5], 2, v[14:15]
	v_add_co_u32 v2, vcc_lo, v2, v4
	v_add_co_ci_u32_e64 v3, null, v3, v5, vcc_lo
	global_load_dword v4, v[2:3], off
	s_waitcnt vmcnt(0)
	v_fmac_f32_e32 v4, s33, v51
	global_store_dword v[2:3], v4, off
.LBB2_47:                               ;   in Loop: Header=BB2_4 Depth=1
	s_or_b32 exec_lo, exec_lo, s4
	v_add_nc_u32_e32 v4, 16, v48
	v_ashrrev_i32_e32 v5, 31, v4
	v_mul_lo_u32 v6, s29, v4
	v_mad_u64_u32 v[2:3], null, s28, v4, 0
	v_cmp_gt_i32_e32 vcc_lo, s14, v4
	v_mul_lo_u32 v5, s28, v5
	v_add3_u32 v3, v3, v5, v6
	v_lshlrev_b64 v[2:3], 2, v[2:3]
	v_add_co_u32 v2, s4, s30, v2
	v_add_co_ci_u32_e64 v3, null, s31, v3, s4
	s_and_b32 s4, s1, vcc_lo
	s_and_saveexec_b32 s5, s4
	s_cbranch_execz .LBB2_49
; %bb.48:                               ;   in Loop: Header=BB2_4 Depth=1
	v_add_co_u32 v4, s4, v2, v28
	v_add_co_ci_u32_e64 v5, null, v3, v29, s4
	global_load_dword v6, v[4:5], off
	s_waitcnt vmcnt(0)
	v_fmac_f32_e32 v6, s33, v49
	global_store_dword v[4:5], v6, off
.LBB2_49:                               ;   in Loop: Header=BB2_4 Depth=1
	s_or_b32 exec_lo, exec_lo, s5
	s_and_b32 s5, s3, vcc_lo
	s_and_saveexec_b32 s4, s5
	s_cbranch_execz .LBB2_3
; %bb.50:                               ;   in Loop: Header=BB2_4 Depth=1
	v_lshlrev_b64 v[4:5], 2, v[14:15]
	v_add_co_u32 v2, vcc_lo, v2, v4
	v_add_co_ci_u32_e64 v3, null, v3, v5, vcc_lo
	global_load_dword v4, v[2:3], off
	s_waitcnt vmcnt(0)
	v_fmac_f32_e32 v4, s33, v31
	global_store_dword v[2:3], v4, off
	s_branch .LBB2_3
.LBB2_51:
	s_endpgm
	.section	.rodata,"a",@progbits
	.p2align	6, 0x0
	.amdhsa_kernel _ZL30rocblas_trmm_outofplace_kernelIfLi32ELi2ELb1ELb1ELb0ELb0EPKfS0_fEv17rocblas_diagonal_iiT6_lPT7_lllS5_lllPT8_llli
		.amdhsa_group_segment_fixed_size 8192
		.amdhsa_private_segment_fixed_size 0
		.amdhsa_kernarg_size 392
		.amdhsa_user_sgpr_count 6
		.amdhsa_user_sgpr_private_segment_buffer 1
		.amdhsa_user_sgpr_dispatch_ptr 0
		.amdhsa_user_sgpr_queue_ptr 0
		.amdhsa_user_sgpr_kernarg_segment_ptr 1
		.amdhsa_user_sgpr_dispatch_id 0
		.amdhsa_user_sgpr_flat_scratch_init 0
		.amdhsa_user_sgpr_private_segment_size 0
		.amdhsa_wavefront_size32 1
		.amdhsa_uses_dynamic_stack 0
		.amdhsa_system_sgpr_private_segment_wavefront_offset 0
		.amdhsa_system_sgpr_workgroup_id_x 1
		.amdhsa_system_sgpr_workgroup_id_y 1
		.amdhsa_system_sgpr_workgroup_id_z 1
		.amdhsa_system_sgpr_workgroup_info 0
		.amdhsa_system_vgpr_workitem_id 1
		.amdhsa_next_free_vgpr 67
		.amdhsa_next_free_sgpr 48
		.amdhsa_reserve_vcc 1
		.amdhsa_reserve_flat_scratch 0
		.amdhsa_float_round_mode_32 0
		.amdhsa_float_round_mode_16_64 0
		.amdhsa_float_denorm_mode_32 3
		.amdhsa_float_denorm_mode_16_64 3
		.amdhsa_dx10_clamp 1
		.amdhsa_ieee_mode 1
		.amdhsa_fp16_overflow 0
		.amdhsa_workgroup_processor_mode 1
		.amdhsa_memory_ordered 1
		.amdhsa_forward_progress 1
		.amdhsa_shared_vgpr_count 0
		.amdhsa_exception_fp_ieee_invalid_op 0
		.amdhsa_exception_fp_denorm_src 0
		.amdhsa_exception_fp_ieee_div_zero 0
		.amdhsa_exception_fp_ieee_overflow 0
		.amdhsa_exception_fp_ieee_underflow 0
		.amdhsa_exception_fp_ieee_inexact 0
		.amdhsa_exception_int_div_zero 0
	.end_amdhsa_kernel
	.section	.text._ZL30rocblas_trmm_outofplace_kernelIfLi32ELi2ELb1ELb1ELb0ELb0EPKfS0_fEv17rocblas_diagonal_iiT6_lPT7_lllS5_lllPT8_llli,"axG",@progbits,_ZL30rocblas_trmm_outofplace_kernelIfLi32ELi2ELb1ELb1ELb0ELb0EPKfS0_fEv17rocblas_diagonal_iiT6_lPT7_lllS5_lllPT8_llli,comdat
.Lfunc_end2:
	.size	_ZL30rocblas_trmm_outofplace_kernelIfLi32ELi2ELb1ELb1ELb0ELb0EPKfS0_fEv17rocblas_diagonal_iiT6_lPT7_lllS5_lllPT8_llli, .Lfunc_end2-_ZL30rocblas_trmm_outofplace_kernelIfLi32ELi2ELb1ELb1ELb0ELb0EPKfS0_fEv17rocblas_diagonal_iiT6_lPT7_lllS5_lllPT8_llli
                                        ; -- End function
	.set _ZL30rocblas_trmm_outofplace_kernelIfLi32ELi2ELb1ELb1ELb0ELb0EPKfS0_fEv17rocblas_diagonal_iiT6_lPT7_lllS5_lllPT8_llli.num_vgpr, 67
	.set _ZL30rocblas_trmm_outofplace_kernelIfLi32ELi2ELb1ELb1ELb0ELb0EPKfS0_fEv17rocblas_diagonal_iiT6_lPT7_lllS5_lllPT8_llli.num_agpr, 0
	.set _ZL30rocblas_trmm_outofplace_kernelIfLi32ELi2ELb1ELb1ELb0ELb0EPKfS0_fEv17rocblas_diagonal_iiT6_lPT7_lllS5_lllPT8_llli.numbered_sgpr, 48
	.set _ZL30rocblas_trmm_outofplace_kernelIfLi32ELi2ELb1ELb1ELb0ELb0EPKfS0_fEv17rocblas_diagonal_iiT6_lPT7_lllS5_lllPT8_llli.num_named_barrier, 0
	.set _ZL30rocblas_trmm_outofplace_kernelIfLi32ELi2ELb1ELb1ELb0ELb0EPKfS0_fEv17rocblas_diagonal_iiT6_lPT7_lllS5_lllPT8_llli.private_seg_size, 0
	.set _ZL30rocblas_trmm_outofplace_kernelIfLi32ELi2ELb1ELb1ELb0ELb0EPKfS0_fEv17rocblas_diagonal_iiT6_lPT7_lllS5_lllPT8_llli.uses_vcc, 1
	.set _ZL30rocblas_trmm_outofplace_kernelIfLi32ELi2ELb1ELb1ELb0ELb0EPKfS0_fEv17rocblas_diagonal_iiT6_lPT7_lllS5_lllPT8_llli.uses_flat_scratch, 0
	.set _ZL30rocblas_trmm_outofplace_kernelIfLi32ELi2ELb1ELb1ELb0ELb0EPKfS0_fEv17rocblas_diagonal_iiT6_lPT7_lllS5_lllPT8_llli.has_dyn_sized_stack, 0
	.set _ZL30rocblas_trmm_outofplace_kernelIfLi32ELi2ELb1ELb1ELb0ELb0EPKfS0_fEv17rocblas_diagonal_iiT6_lPT7_lllS5_lllPT8_llli.has_recursion, 0
	.set _ZL30rocblas_trmm_outofplace_kernelIfLi32ELi2ELb1ELb1ELb0ELb0EPKfS0_fEv17rocblas_diagonal_iiT6_lPT7_lllS5_lllPT8_llli.has_indirect_call, 0
	.section	.AMDGPU.csdata,"",@progbits
; Kernel info:
; codeLenInByte = 3116
; TotalNumSgprs: 50
; NumVgprs: 67
; ScratchSize: 0
; MemoryBound: 0
; FloatMode: 240
; IeeeMode: 1
; LDSByteSize: 8192 bytes/workgroup (compile time only)
; SGPRBlocks: 0
; VGPRBlocks: 8
; NumSGPRsForWavesPerEU: 50
; NumVGPRsForWavesPerEU: 67
; Occupancy: 12
; WaveLimiterHint : 0
; COMPUTE_PGM_RSRC2:SCRATCH_EN: 0
; COMPUTE_PGM_RSRC2:USER_SGPR: 6
; COMPUTE_PGM_RSRC2:TRAP_HANDLER: 0
; COMPUTE_PGM_RSRC2:TGID_X_EN: 1
; COMPUTE_PGM_RSRC2:TGID_Y_EN: 1
; COMPUTE_PGM_RSRC2:TGID_Z_EN: 1
; COMPUTE_PGM_RSRC2:TIDIG_COMP_CNT: 1
	.section	.text._ZL30rocblas_trmm_outofplace_kernelIfLi32ELi2ELb1ELb1ELb0ELb0EfKffEv17rocblas_diagonal_iiT6_lPT7_lllS4_lllPT8_llli,"axG",@progbits,_ZL30rocblas_trmm_outofplace_kernelIfLi32ELi2ELb1ELb1ELb0ELb0EfKffEv17rocblas_diagonal_iiT6_lPT7_lllS4_lllPT8_llli,comdat
	.globl	_ZL30rocblas_trmm_outofplace_kernelIfLi32ELi2ELb1ELb1ELb0ELb0EfKffEv17rocblas_diagonal_iiT6_lPT7_lllS4_lllPT8_llli ; -- Begin function _ZL30rocblas_trmm_outofplace_kernelIfLi32ELi2ELb1ELb1ELb0ELb0EfKffEv17rocblas_diagonal_iiT6_lPT7_lllS4_lllPT8_llli
	.p2align	8
	.type	_ZL30rocblas_trmm_outofplace_kernelIfLi32ELi2ELb1ELb1ELb0ELb0EfKffEv17rocblas_diagonal_iiT6_lPT7_lllS4_lllPT8_llli,@function
_ZL30rocblas_trmm_outofplace_kernelIfLi32ELi2ELb1ELb1ELb0ELb0EfKffEv17rocblas_diagonal_iiT6_lPT7_lllS4_lllPT8_llli: ; @_ZL30rocblas_trmm_outofplace_kernelIfLi32ELi2ELb1ELb1ELb0ELb0EfKffEv17rocblas_diagonal_iiT6_lPT7_lllS4_lllPT8_llli
; %bb.0:
	s_load_dwordx4 s[28:31], s[4:5], 0x0
	s_waitcnt lgkmcnt(0)
	v_cmp_eq_f32_e64 s0, s31, 0
	s_and_b32 vcc_lo, exec_lo, s0
	s_cbranch_vccnz .LBB3_51
; %bb.1:
	s_add_i32 s0, s30, -1
	s_ashr_i32 s1, s0, 31
	s_lshr_b32 s1, s1, 27
	s_add_i32 s0, s0, s1
	s_ashr_i32 s33, s0, 5
	s_cmp_gt_i32 s7, s33
	s_cbranch_scc1 .LBB3_51
; %bb.2:
	s_clause 0x1
	s_load_dwordx16 s[12:27], s[4:5], 0x18
	s_load_dwordx8 s[36:43], s[4:5], 0x58
	v_lshlrev_b32_e32 v2, 7, v1
	v_lshlrev_b32_e32 v40, 2, v0
	s_load_dword s35, s[4:5], 0x84
	s_mov_b32 s10, s29
	v_lshl_add_u32 v30, s7, 5, v1
	v_add_nc_u32_e32 v42, 0x1000, v2
	v_add_nc_u32_e32 v41, v40, v2
	v_mov_b32_e32 v43, 0
	v_mov_b32_e32 v44, 1.0
	v_add_nc_u32_e32 v45, 0x400, v40
	v_add_nc_u32_e32 v46, 0x800, v40
	;; [unrolled: 1-line block ×3, first 2 shown]
	s_mov_b32 s34, s30
	s_waitcnt lgkmcnt(0)
	s_mul_i32 s1, s19, s8
	s_mul_hi_u32 s2, s18, s8
	s_mul_i32 s0, s18, s8
	s_add_i32 s1, s2, s1
	s_mul_i32 s2, s43, s8
	s_lshl_b64 s[44:45], s[0:1], 2
	s_mul_hi_u32 s1, s42, s8
	s_add_u32 s3, s12, s44
	s_addc_u32 s9, s13, s45
	s_lshl_b64 s[46:47], s[14:15], 2
	s_mul_i32 s0, s42, s8
	s_add_u32 s43, s3, s46
	s_addc_u32 s9, s9, s47
	s_add_i32 s1, s1, s2
	s_lshl_b64 s[0:1], s[0:1], 2
	s_add_u32 s2, s36, s0
	s_addc_u32 s3, s37, s1
	s_lshl_b64 s[0:1], s[38:39], 2
	s_add_u32 s36, s2, s0
	s_addc_u32 s37, s3, s1
	s_lshl_b32 s0, s6, 5
	v_add_nc_u32_e32 v10, s0, v1
	v_add_nc_u32_e32 v12, s0, v0
	s_sub_i32 s38, s29, s0
	v_add_nc_u32_e32 v0, v42, v40
	s_cmp_gt_i32 s38, 0
	v_ashrrev_i32_e32 v11, 31, v10
	v_mul_lo_u32 v4, s17, v10
	v_mad_u64_u32 v[2:3], null, s16, v10, 0
	v_ashrrev_i32_e32 v13, 31, v12
	v_mul_lo_u32 v5, s16, v11
	v_add_co_u32 v16, vcc_lo, v12, 16
	s_cselect_b32 s39, -1, 0
	v_add_co_ci_u32_e64 v17, null, 0, v13, vcc_lo
	v_sub_co_u32 v18, vcc_lo, v12, v10
	v_add3_u32 v3, v3, v5, v4
	v_lshlrev_b64 v[4:5], 2, v[10:11]
	v_sub_co_ci_u32_e64 v19, null, v13, v11, vcc_lo
	s_cmpk_eq_i32 s28, 0x84
	v_lshlrev_b64 v[2:3], 2, v[2:3]
	s_cselect_b32 s28, -1, 0
	s_ashr_i32 s11, s29, 31
	s_ashr_i32 s42, s30, 31
	s_lshl_b64 s[14:15], s[16:17], 7
	s_add_u32 s18, s29, -16
	v_add_co_u32 v20, vcc_lo, s43, v2
	v_add_co_ci_u32_e64 v21, null, s9, v3, vcc_lo
	v_add_co_u32 v22, vcc_lo, v18, 16
	v_add_co_ci_u32_e64 v23, null, 0, v19, vcc_lo
	v_add_co_u32 v2, vcc_lo, v4, 64
	s_addc_u32 s19, s11, -1
	v_add_co_ci_u32_e64 v3, null, 0, v5, vcc_lo
	s_add_u32 s4, s12, s46
	s_addc_u32 s5, s13, s47
	s_add_u32 s4, s4, s44
	s_addc_u32 s5, s5, s45
	v_mul_lo_u32 v3, s16, v3
	v_mad_u64_u32 v[24:25], null, s16, v2, s[4:5]
	v_mul_lo_u32 v2, s17, v2
	s_mul_i32 s4, s27, s8
	s_mul_hi_u32 s5, s26, s8
	v_add_nc_u32_e32 v14, 16, v12
	s_add_i32 s5, s5, s4
	s_mul_i32 s4, s26, s8
	s_lshl_b64 s[8:9], s[22:23], 2
	s_lshl_b64 s[4:5], s[4:5], 2
	v_add_co_u32 v26, vcc_lo, v18, -16
	s_add_u32 s4, s4, s8
	v_cmp_le_i64_e64 s3, s[10:11], v[16:17]
	v_lshlrev_b64 v[28:29], 2, v[12:13]
	s_addc_u32 s5, s5, s9
	v_cmp_le_i32_e64 s0, s29, v12
	v_cmp_gt_i32_e64 s1, s29, v12
	v_cmp_gt_i32_e64 s2, s29, v14
	v_ashrrev_i32_e32 v15, 31, v14
	v_add_co_ci_u32_e64 v27, null, -1, v19, vcc_lo
	v_add3_u32 v25, v2, v25, v3
	s_add_u32 s12, s20, s4
	s_addc_u32 s13, s21, s5
	s_add_u32 s16, s12, 64
	s_addc_u32 s17, s13, 0
	s_lshl_b64 s[20:21], s[24:25], 2
	s_lshl_b32 s26, s35, 5
	s_branch .LBB3_4
.LBB3_3:                                ;   in Loop: Header=BB3_4 Depth=1
	s_or_b32 exec_lo, exec_lo, s4
	v_add_nc_u32_e32 v30, s26, v30
	s_add_i32 s7, s35, s7
	s_cmp_le_i32 s7, s33
	s_cbranch_scc0 .LBB3_51
.LBB3_4:                                ; =>This Loop Header: Depth=1
                                        ;     Child Loop BB3_7 Depth 2
	v_lshl_add_u32 v48, s7, 5, v1
	v_mov_b32_e32 v52, 0
	v_mov_b32_e32 v51, 0
	;; [unrolled: 1-line block ×4, first 2 shown]
	v_ashrrev_i32_e32 v50, 31, v48
	s_andn2_b32 vcc_lo, exec_lo, s39
	s_cbranch_vccnz .LBB3_43
; %bb.5:                                ;   in Loop: Header=BB3_4 Depth=1
	v_ashrrev_i32_e32 v31, 31, v30
	v_mad_u64_u32 v[32:33], null, s20, v30, s[16:17]
	v_mul_lo_u32 v4, s21, v30
	v_mov_b32_e32 v37, v21
	v_lshlrev_b64 v[2:3], 2, v[30:31]
	v_mul_lo_u32 v7, s20, v31
	v_mov_b32_e32 v39, v25
	v_mov_b32_e32 v31, 0
	;; [unrolled: 1-line block ×4, first 2 shown]
	v_add_co_u32 v5, vcc_lo, v2, 64
	v_add_co_ci_u32_e64 v6, null, 0, v3, vcc_lo
	v_sub_co_u32 v2, vcc_lo, s34, v48
	v_mul_lo_u32 v8, s25, v5
	v_mul_lo_u32 v6, s24, v6
	v_mad_u64_u32 v[34:35], null, s24, v5, s[12:13]
	v_sub_co_ci_u32_e64 v3, null, s42, v50, vcc_lo
	v_add3_u32 v33, v4, v33, v7
	v_mov_b32_e32 v49, 0
	v_mov_b32_e32 v51, 0
	v_cmp_lt_i64_e64 s4, 16, v[2:3]
	v_add3_u32 v35, v8, v35, v6
	v_mov_b32_e32 v52, 0
	s_mov_b64 s[22:23], 0
	v_cmp_lt_i64_e32 vcc_lo, 0, v[2:3]
	s_branch .LBB3_7
.LBB3_6:                                ;   in Loop: Header=BB3_7 Depth=2
	s_or_b32 exec_lo, exec_lo, s5
	s_waitcnt lgkmcnt(0)
	s_barrier
	buffer_gl0_inv
	ds_read_b128 v[53:56], v42
	ds_read_b128 v[57:60], v42 offset:16
	ds_read_b128 v[6:9], v42 offset:32
	ds_read_b128 v[2:5], v42 offset:48
	ds_read2_b32 v[65:66], v40 offset1:16
	ds_read_b128 v[61:64], v42 offset:2048
	v_add_co_u32 v38, s5, v38, s14
	v_add_co_ci_u32_e64 v39, null, s15, v39, s5
	v_add_co_u32 v32, s5, 0x80, v32
	v_add_co_ci_u32_e64 v33, null, 0, v33, s5
	;; [unrolled: 2-line block ×4, first 2 shown]
	s_add_u32 s22, s22, 32
	s_addc_u32 s23, s23, 0
	s_waitcnt lgkmcnt(1)
	v_fmac_f32_e32 v52, v65, v53
	v_fmac_f32_e32 v51, v66, v53
	s_waitcnt lgkmcnt(0)
	v_fmac_f32_e32 v49, v65, v61
	v_fmac_f32_e32 v31, v66, v61
	ds_read2_b32 v[65:66], v40 offset0:32 offset1:48
	s_cmp_ge_i32 s22, s38
	s_waitcnt lgkmcnt(0)
	v_fmac_f32_e32 v52, v65, v54
	v_fmac_f32_e32 v51, v66, v54
	ds_read2_b32 v[53:54], v40 offset0:64 offset1:80
	v_fmac_f32_e32 v49, v65, v62
	v_fmac_f32_e32 v31, v66, v62
	ds_read2_b32 v[61:62], v40 offset0:128 offset1:144
	s_waitcnt lgkmcnt(1)
	v_fmac_f32_e32 v52, v53, v55
	v_fmac_f32_e32 v51, v54, v55
	;; [unrolled: 1-line block ×4, first 2 shown]
	ds_read2_b32 v[53:54], v40 offset0:96 offset1:112
	s_waitcnt lgkmcnt(0)
	v_fmac_f32_e32 v52, v53, v56
	v_fmac_f32_e32 v51, v54, v56
	v_fmac_f32_e32 v49, v53, v64
	v_fmac_f32_e32 v31, v54, v64
	ds_read_b128 v[53:56], v42 offset:2064
	v_fmac_f32_e32 v52, v61, v57
	v_fmac_f32_e32 v51, v62, v57
	s_waitcnt lgkmcnt(0)
	v_fmac_f32_e32 v49, v61, v53
	v_fmac_f32_e32 v31, v62, v53
	ds_read2_b32 v[61:62], v40 offset0:160 offset1:176
	s_waitcnt lgkmcnt(0)
	v_fmac_f32_e32 v49, v61, v54
	v_fmac_f32_e32 v31, v62, v54
	ds_read2_b32 v[53:54], v40 offset0:192 offset1:208
	v_fmac_f32_e32 v52, v61, v58
	v_fmac_f32_e32 v51, v62, v58
	ds_read2_b32 v[57:58], v45 offset1:16
	s_waitcnt lgkmcnt(1)
	v_fmac_f32_e32 v52, v53, v59
	v_fmac_f32_e32 v51, v54, v59
	;; [unrolled: 1-line block ×4, first 2 shown]
	ds_read2_b32 v[53:54], v40 offset0:224 offset1:240
	s_waitcnt lgkmcnt(0)
	v_fmac_f32_e32 v52, v53, v60
	v_fmac_f32_e32 v51, v54, v60
	;; [unrolled: 1-line block ×4, first 2 shown]
	ds_read_b128 v[53:56], v42 offset:2080
	v_fmac_f32_e32 v52, v57, v6
	v_fmac_f32_e32 v51, v58, v6
	s_waitcnt lgkmcnt(0)
	v_fmac_f32_e32 v49, v57, v53
	v_fmac_f32_e32 v31, v58, v53
	ds_read2_b32 v[57:58], v45 offset0:32 offset1:48
	s_waitcnt lgkmcnt(0)
	v_fmac_f32_e32 v52, v57, v7
	v_fmac_f32_e32 v51, v58, v7
	ds_read2_b32 v[6:7], v45 offset0:64 offset1:80
	v_fmac_f32_e32 v49, v57, v54
	v_fmac_f32_e32 v31, v58, v54
	ds_read2_b32 v[53:54], v45 offset0:128 offset1:144
	s_waitcnt lgkmcnt(1)
	v_fmac_f32_e32 v52, v6, v8
	v_fmac_f32_e32 v51, v7, v8
	;; [unrolled: 1-line block ×4, first 2 shown]
	ds_read2_b32 v[6:7], v45 offset0:96 offset1:112
	s_waitcnt lgkmcnt(0)
	v_fmac_f32_e32 v52, v6, v9
	v_fmac_f32_e32 v51, v7, v9
	;; [unrolled: 1-line block ×4, first 2 shown]
	ds_read_b128 v[6:9], v42 offset:2096
	v_fmac_f32_e32 v52, v53, v2
	v_fmac_f32_e32 v51, v54, v2
	s_waitcnt lgkmcnt(0)
	v_fmac_f32_e32 v49, v53, v6
	v_fmac_f32_e32 v31, v54, v6
	ds_read2_b32 v[53:54], v45 offset0:160 offset1:176
	s_waitcnt lgkmcnt(0)
	v_fmac_f32_e32 v52, v53, v3
	v_fmac_f32_e32 v51, v54, v3
	ds_read2_b32 v[2:3], v45 offset0:192 offset1:208
	v_fmac_f32_e32 v49, v53, v7
	v_fmac_f32_e32 v31, v54, v7
	s_waitcnt lgkmcnt(0)
	v_fmac_f32_e32 v52, v2, v4
	v_fmac_f32_e32 v51, v3, v4
	;; [unrolled: 1-line block ×4, first 2 shown]
	ds_read2_b32 v[2:3], v45 offset0:224 offset1:240
	s_waitcnt lgkmcnt(0)
	v_fmac_f32_e32 v52, v2, v5
	v_fmac_f32_e32 v51, v3, v5
	;; [unrolled: 1-line block ×4, first 2 shown]
	ds_read_b128 v[2:5], v42 offset:64
	ds_read2_b32 v[53:54], v46 offset1:16
	ds_read_b128 v[6:9], v42 offset:2112
	s_waitcnt lgkmcnt(1)
	v_fmac_f32_e32 v52, v53, v2
	v_fmac_f32_e32 v51, v54, v2
	s_waitcnt lgkmcnt(0)
	v_fmac_f32_e32 v49, v53, v6
	v_fmac_f32_e32 v31, v54, v6
	ds_read2_b32 v[53:54], v46 offset0:32 offset1:48
	s_waitcnt lgkmcnt(0)
	v_fmac_f32_e32 v52, v53, v3
	v_fmac_f32_e32 v51, v54, v3
	ds_read2_b32 v[2:3], v46 offset0:64 offset1:80
	v_fmac_f32_e32 v49, v53, v7
	v_fmac_f32_e32 v31, v54, v7
	s_waitcnt lgkmcnt(0)
	v_fmac_f32_e32 v52, v2, v4
	v_fmac_f32_e32 v51, v3, v4
	;; [unrolled: 1-line block ×4, first 2 shown]
	ds_read2_b32 v[2:3], v46 offset0:96 offset1:112
	s_waitcnt lgkmcnt(0)
	v_fmac_f32_e32 v52, v2, v5
	v_fmac_f32_e32 v51, v3, v5
	;; [unrolled: 1-line block ×4, first 2 shown]
	ds_read_b128 v[2:5], v42 offset:80
	ds_read2_b32 v[53:54], v46 offset0:128 offset1:144
	ds_read_b128 v[6:9], v42 offset:2128
	s_waitcnt lgkmcnt(1)
	v_fmac_f32_e32 v52, v53, v2
	v_fmac_f32_e32 v51, v54, v2
	s_waitcnt lgkmcnt(0)
	v_fmac_f32_e32 v49, v53, v6
	v_fmac_f32_e32 v31, v54, v6
	ds_read2_b32 v[53:54], v46 offset0:160 offset1:176
	s_waitcnt lgkmcnt(0)
	v_fmac_f32_e32 v52, v53, v3
	v_fmac_f32_e32 v51, v54, v3
	ds_read2_b32 v[2:3], v46 offset0:192 offset1:208
	v_fmac_f32_e32 v49, v53, v7
	v_fmac_f32_e32 v31, v54, v7
	s_waitcnt lgkmcnt(0)
	v_fmac_f32_e32 v52, v2, v4
	v_fmac_f32_e32 v51, v3, v4
	;; [unrolled: 1-line block ×4, first 2 shown]
	ds_read2_b32 v[2:3], v46 offset0:224 offset1:240
	s_waitcnt lgkmcnt(0)
	v_fmac_f32_e32 v52, v2, v5
	v_fmac_f32_e32 v51, v3, v5
	;; [unrolled: 1-line block ×4, first 2 shown]
	ds_read_b128 v[2:5], v42 offset:96
	ds_read2_b32 v[53:54], v47 offset1:16
	ds_read_b128 v[6:9], v42 offset:2144
	s_waitcnt lgkmcnt(1)
	v_fmac_f32_e32 v52, v53, v2
	v_fmac_f32_e32 v51, v54, v2
	s_waitcnt lgkmcnt(0)
	v_fmac_f32_e32 v49, v53, v6
	v_fmac_f32_e32 v31, v54, v6
	ds_read2_b32 v[53:54], v47 offset0:32 offset1:48
	s_waitcnt lgkmcnt(0)
	v_fmac_f32_e32 v52, v53, v3
	v_fmac_f32_e32 v51, v54, v3
	ds_read2_b32 v[2:3], v47 offset0:64 offset1:80
	v_fmac_f32_e32 v49, v53, v7
	v_fmac_f32_e32 v31, v54, v7
	s_waitcnt lgkmcnt(0)
	v_fmac_f32_e32 v52, v2, v4
	v_fmac_f32_e32 v51, v3, v4
	;; [unrolled: 1-line block ×4, first 2 shown]
	ds_read2_b32 v[2:3], v47 offset0:96 offset1:112
	s_waitcnt lgkmcnt(0)
	v_fmac_f32_e32 v52, v2, v5
	v_fmac_f32_e32 v51, v3, v5
	;; [unrolled: 1-line block ×4, first 2 shown]
	ds_read_b128 v[2:5], v42 offset:112
	ds_read2_b32 v[53:54], v47 offset0:128 offset1:144
	ds_read_b128 v[6:9], v42 offset:2160
	s_waitcnt lgkmcnt(1)
	v_fmac_f32_e32 v52, v53, v2
	v_fmac_f32_e32 v51, v54, v2
	s_waitcnt lgkmcnt(0)
	v_fmac_f32_e32 v49, v53, v6
	v_fmac_f32_e32 v31, v54, v6
	ds_read2_b32 v[53:54], v47 offset0:160 offset1:176
	s_waitcnt lgkmcnt(0)
	v_fmac_f32_e32 v52, v53, v3
	v_fmac_f32_e32 v51, v54, v3
	ds_read2_b32 v[2:3], v47 offset0:192 offset1:208
	v_fmac_f32_e32 v49, v53, v7
	v_fmac_f32_e32 v31, v54, v7
	s_waitcnt lgkmcnt(0)
	v_fmac_f32_e32 v52, v2, v4
	v_fmac_f32_e32 v51, v3, v4
	;; [unrolled: 1-line block ×4, first 2 shown]
	ds_read2_b32 v[2:3], v47 offset0:224 offset1:240
	s_waitcnt lgkmcnt(0)
	s_barrier
	buffer_gl0_inv
	v_fmac_f32_e32 v52, v2, v5
	v_fmac_f32_e32 v51, v3, v5
	;; [unrolled: 1-line block ×4, first 2 shown]
	s_cbranch_scc1 .LBB3_43
.LBB3_7:                                ;   Parent Loop BB3_4 Depth=1
                                        ; =>  This Inner Loop Header: Depth=2
	v_add_co_u32 v2, s5, v10, s22
	v_add_co_ci_u32_e64 v3, null, s23, v11, s5
	v_cmp_eq_u64_e64 s8, s[22:23], v[18:19]
                                        ; implicit-def: $vgpr6
	v_cmp_le_i64_e64 s6, s[10:11], v[2:3]
	v_cmp_lt_i64_e64 s5, v[2:3], v[12:13]
	s_and_b32 s27, s28, s8
	v_add_co_u32 v4, s8, v36, v28
	v_add_co_ci_u32_e64 v5, null, v37, v29, s8
	s_or_b32 s9, s6, s5
	s_or_b32 s8, s9, s27
	s_nor_b32 s8, s0, s8
	s_and_saveexec_b32 s9, s8
	s_xor_b32 s8, exec_lo, s9
	s_cbranch_execz .LBB3_9
; %bb.8:                                ;   in Loop: Header=BB3_7 Depth=2
	global_load_dword v6, v[4:5], off
.LBB3_9:                                ;   in Loop: Header=BB3_7 Depth=2
	s_andn2_saveexec_b32 s8, s8
	s_cbranch_execz .LBB3_11
; %bb.10:                               ;   in Loop: Header=BB3_7 Depth=2
	s_waitcnt vmcnt(0)
	v_cndmask_b32_e64 v6, 0, 1.0, s27
.LBB3_11:                               ;   in Loop: Header=BB3_7 Depth=2
	s_or_b32 exec_lo, exec_lo, s8
	v_cmp_eq_u64_e64 s8, s[22:23], v[22:23]
	v_cmp_gt_i64_e64 s9, v[16:17], v[2:3]
	s_waitcnt vmcnt(0)
	ds_write_b32 v41, v6
	s_and_b32 s8, s28, s8
	s_or_b32 s6, s6, s9
	s_or_b32 s6, s6, s8
	s_nor_b32 s6, s3, s6
	s_and_saveexec_b32 s9, s6
	s_xor_b32 s6, exec_lo, s9
	s_cbranch_execz .LBB3_13
; %bb.12:                               ;   in Loop: Header=BB3_7 Depth=2
	global_load_dword v4, v[4:5], off offset:64
	s_waitcnt vmcnt(0)
	ds_write_b32 v41, v4 offset:64
.LBB3_13:                               ;   in Loop: Header=BB3_7 Depth=2
	s_andn2_saveexec_b32 s6, s6
	s_cbranch_execz .LBB3_19
; %bb.14:                               ;   in Loop: Header=BB3_7 Depth=2
	s_xor_b32 s8, s8, -1
	s_and_saveexec_b32 s9, s8
	s_xor_b32 s8, exec_lo, s9
; %bb.15:                               ;   in Loop: Header=BB3_7 Depth=2
	ds_write_b32 v41, v43 offset:64
; %bb.16:                               ;   in Loop: Header=BB3_7 Depth=2
	s_andn2_saveexec_b32 s8, s8
; %bb.17:                               ;   in Loop: Header=BB3_7 Depth=2
	ds_write_b32 v41, v44 offset:64
; %bb.18:                               ;   in Loop: Header=BB3_7 Depth=2
	s_or_b32 exec_lo, exec_lo, s8
.LBB3_19:                               ;   in Loop: Header=BB3_7 Depth=2
	s_or_b32 exec_lo, exec_lo, s6
	v_add_co_u32 v2, s6, v2, 16
	v_add_co_ci_u32_e64 v3, null, 0, v3, s6
	v_cmp_eq_u64_e64 s8, s[22:23], v[26:27]
                                        ; implicit-def: $vgpr4
	v_cmp_le_i64_e64 s6, s[10:11], v[2:3]
	v_cmp_lt_i64_e64 s9, v[2:3], v[12:13]
	s_and_b32 s29, s28, s8
	v_add_co_u32 v2, s8, v38, v28
	v_add_co_ci_u32_e64 v3, null, v39, v29, s8
	s_or_b32 s9, s6, s9
	s_or_b32 s8, s9, s29
	s_nor_b32 s8, s0, s8
	s_and_saveexec_b32 s9, s8
	s_xor_b32 s8, exec_lo, s9
	s_cbranch_execz .LBB3_21
; %bb.20:                               ;   in Loop: Header=BB3_7 Depth=2
	global_load_dword v4, v[2:3], off
.LBB3_21:                               ;   in Loop: Header=BB3_7 Depth=2
	s_andn2_saveexec_b32 s8, s8
	s_cbranch_execz .LBB3_23
; %bb.22:                               ;   in Loop: Header=BB3_7 Depth=2
	s_waitcnt vmcnt(0)
	v_cndmask_b32_e64 v4, 0, 1.0, s29
.LBB3_23:                               ;   in Loop: Header=BB3_7 Depth=2
	s_or_b32 exec_lo, exec_lo, s8
	s_or_b32 s5, s6, s5
	s_waitcnt vmcnt(0)
	ds_write_b32 v41, v4 offset:2048
	s_or_b32 s5, s5, s27
	s_nor_b32 s5, s3, s5
	s_and_saveexec_b32 s6, s5
	s_xor_b32 s5, exec_lo, s6
	s_cbranch_execz .LBB3_25
; %bb.24:                               ;   in Loop: Header=BB3_7 Depth=2
	global_load_dword v2, v[2:3], off offset:64
	s_waitcnt vmcnt(0)
	ds_write_b32 v41, v2 offset:2112
.LBB3_25:                               ;   in Loop: Header=BB3_7 Depth=2
	s_andn2_saveexec_b32 s5, s5
	s_cbranch_execz .LBB3_31
; %bb.26:                               ;   in Loop: Header=BB3_7 Depth=2
	s_xor_b32 s6, s27, -1
	s_and_saveexec_b32 s8, s6
	s_xor_b32 s6, exec_lo, s8
; %bb.27:                               ;   in Loop: Header=BB3_7 Depth=2
	ds_write_b32 v41, v43 offset:2112
; %bb.28:                               ;   in Loop: Header=BB3_7 Depth=2
	s_andn2_saveexec_b32 s6, s6
; %bb.29:                               ;   in Loop: Header=BB3_7 Depth=2
	ds_write_b32 v41, v44 offset:2112
; %bb.30:                               ;   in Loop: Header=BB3_7 Depth=2
	s_or_b32 exec_lo, exec_lo, s6
.LBB3_31:                               ;   in Loop: Header=BB3_7 Depth=2
	s_or_b32 exec_lo, exec_lo, s5
	v_add_co_u32 v4, s5, v12, s22
	v_add_co_ci_u32_e64 v5, null, s23, v13, s5
	v_add_co_u32 v2, s6, v32, v28
	v_add_co_ci_u32_e64 v3, null, v33, v29, s6
	v_cmp_gt_i64_e64 s5, s[10:11], v[4:5]
	v_mov_b32_e32 v6, 0
	s_and_b32 s8, vcc_lo, s5
	s_and_saveexec_b32 s6, s8
	s_cbranch_execz .LBB3_33
; %bb.32:                               ;   in Loop: Header=BB3_7 Depth=2
	global_load_dword v6, v[2:3], off offset:-64
.LBB3_33:                               ;   in Loop: Header=BB3_7 Depth=2
	s_or_b32 exec_lo, exec_lo, s6
	v_cmp_gt_i64_e64 s6, s[18:19], v[4:5]
	s_waitcnt vmcnt(0)
	ds_write_b32 v0, v6
	s_and_b32 s8, vcc_lo, s6
	s_xor_b32 s8, s8, -1
	s_and_saveexec_b32 s9, s8
	s_xor_b32 s8, exec_lo, s9
; %bb.34:                               ;   in Loop: Header=BB3_7 Depth=2
	ds_write_b32 v0, v43 offset:64
                                        ; implicit-def: $vgpr2_vgpr3
; %bb.35:                               ;   in Loop: Header=BB3_7 Depth=2
	s_andn2_saveexec_b32 s8, s8
	s_cbranch_execz .LBB3_37
; %bb.36:                               ;   in Loop: Header=BB3_7 Depth=2
	global_load_dword v2, v[2:3], off
	s_waitcnt vmcnt(0)
	ds_write_b32 v0, v2 offset:64
.LBB3_37:                               ;   in Loop: Header=BB3_7 Depth=2
	s_or_b32 exec_lo, exec_lo, s8
	v_add_co_u32 v2, s8, v34, v28
	v_add_co_ci_u32_e64 v3, null, v35, v29, s8
	v_mov_b32_e32 v4, 0
	s_and_b32 s8, s4, s5
	s_and_saveexec_b32 s5, s8
	s_cbranch_execz .LBB3_39
; %bb.38:                               ;   in Loop: Header=BB3_7 Depth=2
	global_load_dword v4, v[2:3], off
.LBB3_39:                               ;   in Loop: Header=BB3_7 Depth=2
	s_or_b32 exec_lo, exec_lo, s5
	s_and_b32 s5, s4, s6
	s_waitcnt vmcnt(0)
	ds_write_b32 v0, v4 offset:2048
	s_xor_b32 s5, s5, -1
	s_and_saveexec_b32 s6, s5
	s_xor_b32 s5, exec_lo, s6
; %bb.40:                               ;   in Loop: Header=BB3_7 Depth=2
	ds_write_b32 v0, v43 offset:2112
                                        ; implicit-def: $vgpr2_vgpr3
; %bb.41:                               ;   in Loop: Header=BB3_7 Depth=2
	s_andn2_saveexec_b32 s5, s5
	s_cbranch_execz .LBB3_6
; %bb.42:                               ;   in Loop: Header=BB3_7 Depth=2
	global_load_dword v2, v[2:3], off offset:64
	s_waitcnt vmcnt(0)
	ds_write_b32 v0, v2 offset:2112
	s_branch .LBB3_6
.LBB3_43:                               ;   in Loop: Header=BB3_4 Depth=1
	v_mul_lo_u32 v4, s41, v48
	v_mul_lo_u32 v5, s40, v50
	v_mad_u64_u32 v[2:3], null, s40, v48, 0
	v_cmp_gt_i32_e32 vcc_lo, s30, v48
	v_add3_u32 v3, v3, v5, v4
	v_lshlrev_b64 v[2:3], 2, v[2:3]
	v_add_co_u32 v2, s4, s36, v2
	v_add_co_ci_u32_e64 v3, null, s37, v3, s4
	s_and_b32 s4, s1, vcc_lo
	s_and_saveexec_b32 s5, s4
	s_cbranch_execz .LBB3_45
; %bb.44:                               ;   in Loop: Header=BB3_4 Depth=1
	v_add_co_u32 v4, s4, v2, v28
	v_add_co_ci_u32_e64 v5, null, v3, v29, s4
	global_load_dword v6, v[4:5], off
	s_waitcnt vmcnt(0)
	v_fmac_f32_e32 v6, s31, v52
	global_store_dword v[4:5], v6, off
.LBB3_45:                               ;   in Loop: Header=BB3_4 Depth=1
	s_or_b32 exec_lo, exec_lo, s5
	s_and_b32 s5, s2, vcc_lo
	s_and_saveexec_b32 s4, s5
	s_cbranch_execz .LBB3_47
; %bb.46:                               ;   in Loop: Header=BB3_4 Depth=1
	v_lshlrev_b64 v[4:5], 2, v[14:15]
	v_add_co_u32 v2, vcc_lo, v2, v4
	v_add_co_ci_u32_e64 v3, null, v3, v5, vcc_lo
	global_load_dword v4, v[2:3], off
	s_waitcnt vmcnt(0)
	v_fmac_f32_e32 v4, s31, v51
	global_store_dword v[2:3], v4, off
.LBB3_47:                               ;   in Loop: Header=BB3_4 Depth=1
	s_or_b32 exec_lo, exec_lo, s4
	v_add_nc_u32_e32 v4, 16, v48
	v_ashrrev_i32_e32 v5, 31, v4
	v_mul_lo_u32 v6, s41, v4
	v_mad_u64_u32 v[2:3], null, s40, v4, 0
	v_cmp_gt_i32_e32 vcc_lo, s30, v4
	v_mul_lo_u32 v5, s40, v5
	v_add3_u32 v3, v3, v5, v6
	v_lshlrev_b64 v[2:3], 2, v[2:3]
	v_add_co_u32 v2, s4, s36, v2
	v_add_co_ci_u32_e64 v3, null, s37, v3, s4
	s_and_b32 s4, s1, vcc_lo
	s_and_saveexec_b32 s5, s4
	s_cbranch_execz .LBB3_49
; %bb.48:                               ;   in Loop: Header=BB3_4 Depth=1
	v_add_co_u32 v4, s4, v2, v28
	v_add_co_ci_u32_e64 v5, null, v3, v29, s4
	global_load_dword v6, v[4:5], off
	s_waitcnt vmcnt(0)
	v_fmac_f32_e32 v6, s31, v49
	global_store_dword v[4:5], v6, off
.LBB3_49:                               ;   in Loop: Header=BB3_4 Depth=1
	s_or_b32 exec_lo, exec_lo, s5
	s_and_b32 s5, s2, vcc_lo
	s_and_saveexec_b32 s4, s5
	s_cbranch_execz .LBB3_3
; %bb.50:                               ;   in Loop: Header=BB3_4 Depth=1
	v_lshlrev_b64 v[4:5], 2, v[14:15]
	v_add_co_u32 v2, vcc_lo, v2, v4
	v_add_co_ci_u32_e64 v3, null, v3, v5, vcc_lo
	global_load_dword v4, v[2:3], off
	s_waitcnt vmcnt(0)
	v_fmac_f32_e32 v4, s31, v31
	global_store_dword v[2:3], v4, off
	s_branch .LBB3_3
.LBB3_51:
	s_endpgm
	.section	.rodata,"a",@progbits
	.p2align	6, 0x0
	.amdhsa_kernel _ZL30rocblas_trmm_outofplace_kernelIfLi32ELi2ELb1ELb1ELb0ELb0EfKffEv17rocblas_diagonal_iiT6_lPT7_lllS4_lllPT8_llli
		.amdhsa_group_segment_fixed_size 8192
		.amdhsa_private_segment_fixed_size 0
		.amdhsa_kernarg_size 384
		.amdhsa_user_sgpr_count 6
		.amdhsa_user_sgpr_private_segment_buffer 1
		.amdhsa_user_sgpr_dispatch_ptr 0
		.amdhsa_user_sgpr_queue_ptr 0
		.amdhsa_user_sgpr_kernarg_segment_ptr 1
		.amdhsa_user_sgpr_dispatch_id 0
		.amdhsa_user_sgpr_flat_scratch_init 0
		.amdhsa_user_sgpr_private_segment_size 0
		.amdhsa_wavefront_size32 1
		.amdhsa_uses_dynamic_stack 0
		.amdhsa_system_sgpr_private_segment_wavefront_offset 0
		.amdhsa_system_sgpr_workgroup_id_x 1
		.amdhsa_system_sgpr_workgroup_id_y 1
		.amdhsa_system_sgpr_workgroup_id_z 1
		.amdhsa_system_sgpr_workgroup_info 0
		.amdhsa_system_vgpr_workitem_id 1
		.amdhsa_next_free_vgpr 67
		.amdhsa_next_free_sgpr 48
		.amdhsa_reserve_vcc 1
		.amdhsa_reserve_flat_scratch 0
		.amdhsa_float_round_mode_32 0
		.amdhsa_float_round_mode_16_64 0
		.amdhsa_float_denorm_mode_32 3
		.amdhsa_float_denorm_mode_16_64 3
		.amdhsa_dx10_clamp 1
		.amdhsa_ieee_mode 1
		.amdhsa_fp16_overflow 0
		.amdhsa_workgroup_processor_mode 1
		.amdhsa_memory_ordered 1
		.amdhsa_forward_progress 1
		.amdhsa_shared_vgpr_count 0
		.amdhsa_exception_fp_ieee_invalid_op 0
		.amdhsa_exception_fp_denorm_src 0
		.amdhsa_exception_fp_ieee_div_zero 0
		.amdhsa_exception_fp_ieee_overflow 0
		.amdhsa_exception_fp_ieee_underflow 0
		.amdhsa_exception_fp_ieee_inexact 0
		.amdhsa_exception_int_div_zero 0
	.end_amdhsa_kernel
	.section	.text._ZL30rocblas_trmm_outofplace_kernelIfLi32ELi2ELb1ELb1ELb0ELb0EfKffEv17rocblas_diagonal_iiT6_lPT7_lllS4_lllPT8_llli,"axG",@progbits,_ZL30rocblas_trmm_outofplace_kernelIfLi32ELi2ELb1ELb1ELb0ELb0EfKffEv17rocblas_diagonal_iiT6_lPT7_lllS4_lllPT8_llli,comdat
.Lfunc_end3:
	.size	_ZL30rocblas_trmm_outofplace_kernelIfLi32ELi2ELb1ELb1ELb0ELb0EfKffEv17rocblas_diagonal_iiT6_lPT7_lllS4_lllPT8_llli, .Lfunc_end3-_ZL30rocblas_trmm_outofplace_kernelIfLi32ELi2ELb1ELb1ELb0ELb0EfKffEv17rocblas_diagonal_iiT6_lPT7_lllS4_lllPT8_llli
                                        ; -- End function
	.set _ZL30rocblas_trmm_outofplace_kernelIfLi32ELi2ELb1ELb1ELb0ELb0EfKffEv17rocblas_diagonal_iiT6_lPT7_lllS4_lllPT8_llli.num_vgpr, 67
	.set _ZL30rocblas_trmm_outofplace_kernelIfLi32ELi2ELb1ELb1ELb0ELb0EfKffEv17rocblas_diagonal_iiT6_lPT7_lllS4_lllPT8_llli.num_agpr, 0
	.set _ZL30rocblas_trmm_outofplace_kernelIfLi32ELi2ELb1ELb1ELb0ELb0EfKffEv17rocblas_diagonal_iiT6_lPT7_lllS4_lllPT8_llli.numbered_sgpr, 48
	.set _ZL30rocblas_trmm_outofplace_kernelIfLi32ELi2ELb1ELb1ELb0ELb0EfKffEv17rocblas_diagonal_iiT6_lPT7_lllS4_lllPT8_llli.num_named_barrier, 0
	.set _ZL30rocblas_trmm_outofplace_kernelIfLi32ELi2ELb1ELb1ELb0ELb0EfKffEv17rocblas_diagonal_iiT6_lPT7_lllS4_lllPT8_llli.private_seg_size, 0
	.set _ZL30rocblas_trmm_outofplace_kernelIfLi32ELi2ELb1ELb1ELb0ELb0EfKffEv17rocblas_diagonal_iiT6_lPT7_lllS4_lllPT8_llli.uses_vcc, 1
	.set _ZL30rocblas_trmm_outofplace_kernelIfLi32ELi2ELb1ELb1ELb0ELb0EfKffEv17rocblas_diagonal_iiT6_lPT7_lllS4_lllPT8_llli.uses_flat_scratch, 0
	.set _ZL30rocblas_trmm_outofplace_kernelIfLi32ELi2ELb1ELb1ELb0ELb0EfKffEv17rocblas_diagonal_iiT6_lPT7_lllS4_lllPT8_llli.has_dyn_sized_stack, 0
	.set _ZL30rocblas_trmm_outofplace_kernelIfLi32ELi2ELb1ELb1ELb0ELb0EfKffEv17rocblas_diagonal_iiT6_lPT7_lllS4_lllPT8_llli.has_recursion, 0
	.set _ZL30rocblas_trmm_outofplace_kernelIfLi32ELi2ELb1ELb1ELb0ELb0EfKffEv17rocblas_diagonal_iiT6_lPT7_lllS4_lllPT8_llli.has_indirect_call, 0
	.section	.AMDGPU.csdata,"",@progbits
; Kernel info:
; codeLenInByte = 3068
; TotalNumSgprs: 50
; NumVgprs: 67
; ScratchSize: 0
; MemoryBound: 0
; FloatMode: 240
; IeeeMode: 1
; LDSByteSize: 8192 bytes/workgroup (compile time only)
; SGPRBlocks: 0
; VGPRBlocks: 8
; NumSGPRsForWavesPerEU: 50
; NumVGPRsForWavesPerEU: 67
; Occupancy: 12
; WaveLimiterHint : 0
; COMPUTE_PGM_RSRC2:SCRATCH_EN: 0
; COMPUTE_PGM_RSRC2:USER_SGPR: 6
; COMPUTE_PGM_RSRC2:TRAP_HANDLER: 0
; COMPUTE_PGM_RSRC2:TGID_X_EN: 1
; COMPUTE_PGM_RSRC2:TGID_Y_EN: 1
; COMPUTE_PGM_RSRC2:TGID_Z_EN: 1
; COMPUTE_PGM_RSRC2:TIDIG_COMP_CNT: 1
	.section	.text._ZL30rocblas_trmm_outofplace_kernelIfLi32ELi2ELb1ELb0ELb1ELb0EPKfS0_fEv17rocblas_diagonal_iiT6_lPT7_lllS5_lllPT8_llli,"axG",@progbits,_ZL30rocblas_trmm_outofplace_kernelIfLi32ELi2ELb1ELb0ELb1ELb0EPKfS0_fEv17rocblas_diagonal_iiT6_lPT7_lllS5_lllPT8_llli,comdat
	.globl	_ZL30rocblas_trmm_outofplace_kernelIfLi32ELi2ELb1ELb0ELb1ELb0EPKfS0_fEv17rocblas_diagonal_iiT6_lPT7_lllS5_lllPT8_llli ; -- Begin function _ZL30rocblas_trmm_outofplace_kernelIfLi32ELi2ELb1ELb0ELb1ELb0EPKfS0_fEv17rocblas_diagonal_iiT6_lPT7_lllS5_lllPT8_llli
	.p2align	8
	.type	_ZL30rocblas_trmm_outofplace_kernelIfLi32ELi2ELb1ELb0ELb1ELb0EPKfS0_fEv17rocblas_diagonal_iiT6_lPT7_lllS5_lllPT8_llli,@function
_ZL30rocblas_trmm_outofplace_kernelIfLi32ELi2ELb1ELb0ELb1ELb0EPKfS0_fEv17rocblas_diagonal_iiT6_lPT7_lllS5_lllPT8_llli: ; @_ZL30rocblas_trmm_outofplace_kernelIfLi32ELi2ELb1ELb0ELb1ELb0EPKfS0_fEv17rocblas_diagonal_iiT6_lPT7_lllS5_lllPT8_llli
; %bb.0:
	s_load_dwordx16 s[12:27], s[4:5], 0x10
	s_waitcnt lgkmcnt(0)
	s_mul_i32 s0, s15, s8
	s_mul_hi_u32 s1, s14, s8
	s_add_i32 s1, s1, s0
	s_mul_i32 s0, s14, s8
	s_lshl_b64 s[0:1], s[0:1], 2
	s_add_u32 s0, s12, s0
	s_addc_u32 s1, s13, s1
	s_load_dword s33, s[0:1], 0x0
	s_waitcnt lgkmcnt(0)
	v_cmp_eq_f32_e64 s0, s33, 0
	s_and_b32 vcc_lo, exec_lo, s0
	s_cbranch_vccnz .LBB4_51
; %bb.1:
	s_load_dwordx4 s[12:15], s[4:5], 0x0
	s_waitcnt lgkmcnt(0)
	s_add_i32 s0, s14, -1
	s_ashr_i32 s1, s0, 31
	s_lshr_b32 s1, s1, 27
	s_add_i32 s0, s0, s1
	s_ashr_i32 s15, s0, 5
	s_cmp_gt_i32 s7, s15
	s_cbranch_scc1 .LBB4_51
; %bb.2:
	s_clause 0x1
	s_load_dwordx4 s[28:31], s[4:5], 0x70
	s_load_dwordx8 s[36:43], s[4:5], 0x50
	s_mul_i32 s1, s23, s8
	s_mul_hi_u32 s2, s22, s8
	s_mul_i32 s0, s22, s8
	s_add_i32 s1, s2, s1
	s_load_dword s44, s[4:5], 0x8c
	s_lshl_b64 s[22:23], s[0:1], 2
	v_lshlrev_b32_e32 v2, 7, v1
	s_add_u32 s0, s16, s22
	s_addc_u32 s1, s17, s23
	s_lshl_b64 s[34:35], s[18:19], 2
	v_lshlrev_b32_e32 v36, 2, v0
	s_add_u32 s3, s0, s34
	s_addc_u32 s4, s1, s35
	v_add_nc_u32_e32 v37, 0x1000, v2
	s_mov_b32 s10, s13
	v_add_nc_u32_e32 v38, v36, v2
	v_lshl_add_u32 v30, s7, 5, v1
	v_mov_b32_e32 v43, 0
	s_waitcnt lgkmcnt(0)
	s_mul_i32 s1, s31, s8
	s_mul_hi_u32 s2, s30, s8
	s_mul_i32 s0, s30, s8
	s_add_i32 s1, s2, s1
	v_mov_b32_e32 v44, 1.0
	s_lshl_b64 s[0:1], s[0:1], 2
	v_add_nc_u32_e32 v45, 0x400, v36
	s_add_u32 s2, s40, s0
	s_addc_u32 s5, s41, s1
	s_lshl_b64 s[0:1], s[42:43], 2
	v_add_nc_u32_e32 v46, 0x800, v36
	s_add_u32 s30, s2, s0
	s_addc_u32 s31, s5, s1
	s_lshl_b32 s0, s6, 5
	s_mul_hi_u32 s5, s38, s8
	v_add_nc_u32_e32 v10, s0, v0
	v_add_nc_u32_e32 v12, s0, v1
	s_sub_i32 s40, s13, s0
	v_add_nc_u32_e32 v0, v37, v36
	s_cmp_gt_i32 s40, 0
	v_ashrrev_i32_e32 v11, 31, v10
	v_mul_lo_u32 v4, s21, v10
	v_mad_u64_u32 v[2:3], null, s20, v10, 0
	v_ashrrev_i32_e32 v13, 31, v12
	v_mul_lo_u32 v5, s20, v11
	v_add_co_u32 v16, vcc_lo, v10, 16
	v_add_co_ci_u32_e64 v17, null, 0, v11, vcc_lo
	s_cselect_b32 s41, -1, 0
	s_cmpk_eq_i32 s12, 0x84
	v_lshlrev_b64 v[22:23], 2, v[10:11]
	v_add3_u32 v3, v3, v5, v4
	v_lshlrev_b64 v[4:5], 2, v[12:13]
	s_cselect_b32 s42, -1, 0
	s_ashr_i32 s11, s13, 31
	s_ashr_i32 s43, s14, 31
	v_lshlrev_b64 v[2:3], 2, v[2:3]
	s_add_u32 s18, s13, -16
	s_addc_u32 s19, s11, -1
	v_add_nc_u32_e32 v14, 16, v10
	v_cmp_le_i32_e64 s0, s13, v10
	v_cmp_gt_i32_e64 s1, s13, v10
	v_add_co_u32 v2, vcc_lo, s3, v2
	v_add_co_ci_u32_e64 v3, null, s4, v3, vcc_lo
	s_mul_i32 s4, s39, s8
	v_add_co_u32 v39, vcc_lo, v2, v4
	v_add_co_ci_u32_e64 v40, null, v3, v5, vcc_lo
	v_sub_co_u32 v18, vcc_lo, v10, v12
	v_sub_co_ci_u32_e64 v19, null, v11, v13, vcc_lo
	s_add_i32 s5, s5, s4
	s_mul_i32 s4, s38, s8
	s_lshl_b64 s[8:9], s[26:27], 2
	s_lshl_b64 s[4:5], s[4:5], 2
	v_add_co_u32 v20, vcc_lo, v18, 16
	v_add_co_ci_u32_e64 v21, null, 0, v19, vcc_lo
	s_add_u32 s4, s4, s8
	v_add_co_u32 v6, vcc_lo, v22, 64
	s_addc_u32 s5, s5, s9
	s_add_u32 s6, s24, s4
	v_add_co_ci_u32_e64 v7, null, 0, v23, vcc_lo
	v_cmp_gt_i32_e64 s2, s13, v14
	s_addc_u32 s8, s25, s5
	s_lshl_b64 s[12:13], s[36:37], 2
	s_lshl_b32 s24, s44, 5
	s_add_u32 s4, s34, s22
	s_addc_u32 s5, s35, s23
	v_mul_lo_u32 v7, s20, v7
	v_mad_u64_u32 v[2:3], null, s20, v6, s[4:5]
	v_mul_lo_u32 v6, s21, v6
	v_add_co_u32 v24, vcc_lo, v18, -16
	v_add_co_ci_u32_e64 v25, null, -1, v19, vcc_lo
	v_add_co_u32 v26, vcc_lo, s6, v22
	v_add_co_ci_u32_e64 v27, null, s8, v23, vcc_lo
	v_add3_u32 v3, v6, v3, v7
	v_add_co_u32 v28, vcc_lo, v26, 64
	v_add_co_ci_u32_e64 v29, null, 0, v27, vcc_lo
	v_add_co_u32 v2, vcc_lo, v2, v4
	v_add_co_ci_u32_e64 v3, null, v3, v5, vcc_lo
	v_cmp_le_i64_e64 s3, s[10:11], v[16:17]
	v_add_co_u32 v41, vcc_lo, s16, v2
	v_ashrrev_i32_e32 v15, 31, v14
	v_add_co_ci_u32_e64 v42, null, s17, v3, vcc_lo
	v_add_nc_u32_e32 v47, 0xc00, v36
	s_branch .LBB4_4
.LBB4_3:                                ;   in Loop: Header=BB4_4 Depth=1
	s_or_b32 exec_lo, exec_lo, s4
	v_add_nc_u32_e32 v30, s24, v30
	s_add_i32 s7, s44, s7
	s_cmp_le_i32 s7, s15
	s_cbranch_scc0 .LBB4_51
.LBB4_4:                                ; =>This Loop Header: Depth=1
                                        ;     Child Loop BB4_7 Depth 2
	v_lshl_add_u32 v48, s7, 5, v1
	v_mov_b32_e32 v52, 0
	v_mov_b32_e32 v50, 0
	;; [unrolled: 1-line block ×4, first 2 shown]
	v_ashrrev_i32_e32 v51, 31, v48
	s_andn2_b32 vcc_lo, exec_lo, s41
	s_cbranch_vccnz .LBB4_43
; %bb.5:                                ;   in Loop: Header=BB4_4 Depth=1
	v_ashrrev_i32_e32 v31, 31, v30
	v_mad_u64_u32 v[32:33], null, s12, v30, v[28:29]
	v_mul_lo_u32 v4, s13, v30
	v_mov_b32_e32 v49, 0
	v_lshlrev_b64 v[2:3], 2, v[30:31]
	v_mul_lo_u32 v7, s12, v31
	v_mov_b32_e32 v31, 0
	v_mov_b32_e32 v50, 0
	;; [unrolled: 1-line block ×3, first 2 shown]
	s_mov_b64 s[16:17], 0
	v_add_co_u32 v5, vcc_lo, v2, 64
	v_add_co_ci_u32_e64 v6, null, 0, v3, vcc_lo
	v_sub_co_u32 v2, vcc_lo, s14, v48
	v_mul_lo_u32 v8, s37, v5
	v_mul_lo_u32 v6, s36, v6
	v_mad_u64_u32 v[34:35], null, s36, v5, v[26:27]
	v_sub_co_ci_u32_e64 v3, null, s43, v51, vcc_lo
	v_add3_u32 v33, v4, v33, v7
	s_mov_b64 s[20:21], 0
	v_cmp_lt_i64_e64 s4, 16, v[2:3]
	v_add3_u32 v35, v8, v35, v6
	v_cmp_lt_i64_e32 vcc_lo, 0, v[2:3]
	s_branch .LBB4_7
.LBB4_6:                                ;   in Loop: Header=BB4_7 Depth=2
	s_or_b32 exec_lo, exec_lo, s5
	s_waitcnt lgkmcnt(0)
	s_barrier
	buffer_gl0_inv
	ds_read_b128 v[53:56], v37
	ds_read_b128 v[57:60], v37 offset:16
	ds_read_b128 v[6:9], v37 offset:32
	;; [unrolled: 1-line block ×3, first 2 shown]
	ds_read2_b32 v[65:66], v36 offset1:16
	ds_read_b128 v[61:64], v37 offset:2048
	s_add_u32 s20, s20, 32
	s_addc_u32 s21, s21, 0
	s_add_u32 s16, s16, 0x80
	s_addc_u32 s17, s17, 0
	s_cmp_ge_i32 s20, s40
	s_waitcnt lgkmcnt(1)
	v_fmac_f32_e32 v52, v65, v53
	v_fmac_f32_e32 v50, v66, v53
	s_waitcnt lgkmcnt(0)
	v_fmac_f32_e32 v49, v65, v61
	v_fmac_f32_e32 v31, v66, v61
	ds_read2_b32 v[65:66], v36 offset0:32 offset1:48
	s_waitcnt lgkmcnt(0)
	v_fmac_f32_e32 v52, v65, v54
	v_fmac_f32_e32 v50, v66, v54
	ds_read2_b32 v[53:54], v36 offset0:64 offset1:80
	v_fmac_f32_e32 v49, v65, v62
	v_fmac_f32_e32 v31, v66, v62
	ds_read2_b32 v[61:62], v36 offset0:128 offset1:144
	s_waitcnt lgkmcnt(1)
	v_fmac_f32_e32 v52, v53, v55
	v_fmac_f32_e32 v50, v54, v55
	v_fmac_f32_e32 v49, v53, v63
	v_fmac_f32_e32 v31, v54, v63
	ds_read2_b32 v[53:54], v36 offset0:96 offset1:112
	s_waitcnt lgkmcnt(0)
	v_fmac_f32_e32 v52, v53, v56
	v_fmac_f32_e32 v50, v54, v56
	;; [unrolled: 1-line block ×4, first 2 shown]
	ds_read_b128 v[53:56], v37 offset:2064
	v_fmac_f32_e32 v52, v61, v57
	v_fmac_f32_e32 v50, v62, v57
	s_waitcnt lgkmcnt(0)
	v_fmac_f32_e32 v49, v61, v53
	v_fmac_f32_e32 v31, v62, v53
	ds_read2_b32 v[61:62], v36 offset0:160 offset1:176
	s_waitcnt lgkmcnt(0)
	v_fmac_f32_e32 v49, v61, v54
	v_fmac_f32_e32 v31, v62, v54
	ds_read2_b32 v[53:54], v36 offset0:192 offset1:208
	v_fmac_f32_e32 v52, v61, v58
	v_fmac_f32_e32 v50, v62, v58
	ds_read2_b32 v[57:58], v45 offset1:16
	s_waitcnt lgkmcnt(1)
	v_fmac_f32_e32 v52, v53, v59
	v_fmac_f32_e32 v50, v54, v59
	;; [unrolled: 1-line block ×4, first 2 shown]
	ds_read2_b32 v[53:54], v36 offset0:224 offset1:240
	s_waitcnt lgkmcnt(0)
	v_fmac_f32_e32 v52, v53, v60
	v_fmac_f32_e32 v50, v54, v60
	;; [unrolled: 1-line block ×4, first 2 shown]
	ds_read_b128 v[53:56], v37 offset:2080
	v_fmac_f32_e32 v52, v57, v6
	v_fmac_f32_e32 v50, v58, v6
	s_waitcnt lgkmcnt(0)
	v_fmac_f32_e32 v49, v57, v53
	v_fmac_f32_e32 v31, v58, v53
	ds_read2_b32 v[57:58], v45 offset0:32 offset1:48
	s_waitcnt lgkmcnt(0)
	v_fmac_f32_e32 v52, v57, v7
	v_fmac_f32_e32 v50, v58, v7
	ds_read2_b32 v[6:7], v45 offset0:64 offset1:80
	v_fmac_f32_e32 v49, v57, v54
	v_fmac_f32_e32 v31, v58, v54
	ds_read2_b32 v[53:54], v45 offset0:128 offset1:144
	s_waitcnt lgkmcnt(1)
	v_fmac_f32_e32 v52, v6, v8
	v_fmac_f32_e32 v50, v7, v8
	;; [unrolled: 1-line block ×4, first 2 shown]
	ds_read2_b32 v[6:7], v45 offset0:96 offset1:112
	s_waitcnt lgkmcnt(0)
	v_fmac_f32_e32 v52, v6, v9
	v_fmac_f32_e32 v50, v7, v9
	;; [unrolled: 1-line block ×4, first 2 shown]
	ds_read_b128 v[6:9], v37 offset:2096
	v_fmac_f32_e32 v52, v53, v2
	v_fmac_f32_e32 v50, v54, v2
	s_waitcnt lgkmcnt(0)
	v_fmac_f32_e32 v49, v53, v6
	v_fmac_f32_e32 v31, v54, v6
	ds_read2_b32 v[53:54], v45 offset0:160 offset1:176
	s_waitcnt lgkmcnt(0)
	v_fmac_f32_e32 v52, v53, v3
	v_fmac_f32_e32 v50, v54, v3
	ds_read2_b32 v[2:3], v45 offset0:192 offset1:208
	v_fmac_f32_e32 v49, v53, v7
	v_fmac_f32_e32 v31, v54, v7
	s_waitcnt lgkmcnt(0)
	v_fmac_f32_e32 v52, v2, v4
	v_fmac_f32_e32 v50, v3, v4
	;; [unrolled: 1-line block ×4, first 2 shown]
	ds_read2_b32 v[2:3], v45 offset0:224 offset1:240
	s_waitcnt lgkmcnt(0)
	v_fmac_f32_e32 v52, v2, v5
	v_fmac_f32_e32 v50, v3, v5
	;; [unrolled: 1-line block ×4, first 2 shown]
	ds_read_b128 v[2:5], v37 offset:64
	ds_read2_b32 v[53:54], v46 offset1:16
	ds_read_b128 v[6:9], v37 offset:2112
	s_waitcnt lgkmcnt(1)
	v_fmac_f32_e32 v52, v53, v2
	v_fmac_f32_e32 v50, v54, v2
	s_waitcnt lgkmcnt(0)
	v_fmac_f32_e32 v49, v53, v6
	v_fmac_f32_e32 v31, v54, v6
	ds_read2_b32 v[53:54], v46 offset0:32 offset1:48
	s_waitcnt lgkmcnt(0)
	v_fmac_f32_e32 v52, v53, v3
	v_fmac_f32_e32 v50, v54, v3
	ds_read2_b32 v[2:3], v46 offset0:64 offset1:80
	v_fmac_f32_e32 v49, v53, v7
	v_fmac_f32_e32 v31, v54, v7
	s_waitcnt lgkmcnt(0)
	v_fmac_f32_e32 v52, v2, v4
	v_fmac_f32_e32 v50, v3, v4
	;; [unrolled: 1-line block ×4, first 2 shown]
	ds_read2_b32 v[2:3], v46 offset0:96 offset1:112
	s_waitcnt lgkmcnt(0)
	v_fmac_f32_e32 v52, v2, v5
	v_fmac_f32_e32 v50, v3, v5
	;; [unrolled: 1-line block ×4, first 2 shown]
	ds_read_b128 v[2:5], v37 offset:80
	ds_read2_b32 v[53:54], v46 offset0:128 offset1:144
	ds_read_b128 v[6:9], v37 offset:2128
	s_waitcnt lgkmcnt(1)
	v_fmac_f32_e32 v52, v53, v2
	v_fmac_f32_e32 v50, v54, v2
	s_waitcnt lgkmcnt(0)
	v_fmac_f32_e32 v49, v53, v6
	v_fmac_f32_e32 v31, v54, v6
	ds_read2_b32 v[53:54], v46 offset0:160 offset1:176
	s_waitcnt lgkmcnt(0)
	v_fmac_f32_e32 v52, v53, v3
	v_fmac_f32_e32 v50, v54, v3
	ds_read2_b32 v[2:3], v46 offset0:192 offset1:208
	v_fmac_f32_e32 v49, v53, v7
	v_fmac_f32_e32 v31, v54, v7
	s_waitcnt lgkmcnt(0)
	v_fmac_f32_e32 v52, v2, v4
	v_fmac_f32_e32 v50, v3, v4
	v_fmac_f32_e32 v49, v2, v8
	v_fmac_f32_e32 v31, v3, v8
	ds_read2_b32 v[2:3], v46 offset0:224 offset1:240
	s_waitcnt lgkmcnt(0)
	v_fmac_f32_e32 v52, v2, v5
	v_fmac_f32_e32 v50, v3, v5
	;; [unrolled: 1-line block ×4, first 2 shown]
	ds_read_b128 v[2:5], v37 offset:96
	ds_read2_b32 v[53:54], v47 offset1:16
	ds_read_b128 v[6:9], v37 offset:2144
	s_waitcnt lgkmcnt(1)
	v_fmac_f32_e32 v52, v53, v2
	v_fmac_f32_e32 v50, v54, v2
	s_waitcnt lgkmcnt(0)
	v_fmac_f32_e32 v49, v53, v6
	v_fmac_f32_e32 v31, v54, v6
	ds_read2_b32 v[53:54], v47 offset0:32 offset1:48
	s_waitcnt lgkmcnt(0)
	v_fmac_f32_e32 v52, v53, v3
	v_fmac_f32_e32 v50, v54, v3
	ds_read2_b32 v[2:3], v47 offset0:64 offset1:80
	v_fmac_f32_e32 v49, v53, v7
	v_fmac_f32_e32 v31, v54, v7
	s_waitcnt lgkmcnt(0)
	v_fmac_f32_e32 v52, v2, v4
	v_fmac_f32_e32 v50, v3, v4
	v_fmac_f32_e32 v49, v2, v8
	v_fmac_f32_e32 v31, v3, v8
	ds_read2_b32 v[2:3], v47 offset0:96 offset1:112
	s_waitcnt lgkmcnt(0)
	v_fmac_f32_e32 v52, v2, v5
	v_fmac_f32_e32 v50, v3, v5
	;; [unrolled: 1-line block ×4, first 2 shown]
	ds_read_b128 v[2:5], v37 offset:112
	ds_read2_b32 v[53:54], v47 offset0:128 offset1:144
	ds_read_b128 v[6:9], v37 offset:2160
	s_waitcnt lgkmcnt(1)
	v_fmac_f32_e32 v52, v53, v2
	v_fmac_f32_e32 v50, v54, v2
	s_waitcnt lgkmcnt(0)
	v_fmac_f32_e32 v49, v53, v6
	v_fmac_f32_e32 v31, v54, v6
	ds_read2_b32 v[53:54], v47 offset0:160 offset1:176
	s_waitcnt lgkmcnt(0)
	v_fmac_f32_e32 v52, v53, v3
	v_fmac_f32_e32 v50, v54, v3
	ds_read2_b32 v[2:3], v47 offset0:192 offset1:208
	v_fmac_f32_e32 v49, v53, v7
	v_fmac_f32_e32 v31, v54, v7
	s_waitcnt lgkmcnt(0)
	v_fmac_f32_e32 v52, v2, v4
	v_fmac_f32_e32 v50, v3, v4
	;; [unrolled: 1-line block ×4, first 2 shown]
	ds_read2_b32 v[2:3], v47 offset0:224 offset1:240
	s_waitcnt lgkmcnt(0)
	s_barrier
	buffer_gl0_inv
	v_fmac_f32_e32 v52, v2, v5
	v_fmac_f32_e32 v50, v3, v5
	;; [unrolled: 1-line block ×4, first 2 shown]
	s_cbranch_scc1 .LBB4_43
.LBB4_7:                                ;   Parent Loop BB4_4 Depth=1
                                        ; =>  This Inner Loop Header: Depth=2
	v_add_co_u32 v4, s5, v12, s20
	v_add_co_ci_u32_e64 v5, null, s21, v13, s5
	v_cmp_eq_u64_e64 s8, s[20:21], v[18:19]
                                        ; implicit-def: $vgpr6
	v_cmp_le_i64_e64 s6, s[10:11], v[4:5]
	v_cmp_lt_i64_e64 s5, v[4:5], v[10:11]
	s_and_b32 s22, s42, s8
	v_add_co_u32 v2, s8, v39, s16
	v_add_co_ci_u32_e64 v3, null, s17, v40, s8
	s_or_b32 s9, s6, s5
	s_or_b32 s8, s9, s22
	s_nor_b32 s8, s0, s8
	s_and_saveexec_b32 s9, s8
	s_xor_b32 s8, exec_lo, s9
	s_cbranch_execz .LBB4_9
; %bb.8:                                ;   in Loop: Header=BB4_7 Depth=2
	global_load_dword v6, v[2:3], off
.LBB4_9:                                ;   in Loop: Header=BB4_7 Depth=2
	s_andn2_saveexec_b32 s8, s8
	s_cbranch_execz .LBB4_11
; %bb.10:                               ;   in Loop: Header=BB4_7 Depth=2
	s_waitcnt vmcnt(0)
	v_cndmask_b32_e64 v6, 0, 1.0, s22
.LBB4_11:                               ;   in Loop: Header=BB4_7 Depth=2
	s_or_b32 exec_lo, exec_lo, s8
	v_cmp_eq_u64_e64 s8, s[20:21], v[20:21]
	v_cmp_gt_i64_e64 s9, v[16:17], v[4:5]
	s_waitcnt vmcnt(0)
	ds_write_b32 v38, v6
	s_and_b32 s8, s42, s8
	s_or_b32 s6, s6, s9
	s_or_b32 s6, s6, s8
	s_nor_b32 s6, s3, s6
	s_and_saveexec_b32 s9, s6
	s_xor_b32 s9, exec_lo, s9
	s_cbranch_execz .LBB4_13
; %bb.12:                               ;   in Loop: Header=BB4_7 Depth=2
	v_add_co_u32 v6, s6, v41, s16
	v_add_co_ci_u32_e64 v7, null, s17, v42, s6
	global_load_dword v6, v[6:7], off
	s_waitcnt vmcnt(0)
	ds_write_b32 v38, v6 offset:64
.LBB4_13:                               ;   in Loop: Header=BB4_7 Depth=2
	s_andn2_saveexec_b32 s6, s9
	s_cbranch_execz .LBB4_19
; %bb.14:                               ;   in Loop: Header=BB4_7 Depth=2
	s_xor_b32 s8, s8, -1
	s_and_saveexec_b32 s9, s8
	s_xor_b32 s8, exec_lo, s9
; %bb.15:                               ;   in Loop: Header=BB4_7 Depth=2
	ds_write_b32 v38, v43 offset:64
; %bb.16:                               ;   in Loop: Header=BB4_7 Depth=2
	s_andn2_saveexec_b32 s8, s8
; %bb.17:                               ;   in Loop: Header=BB4_7 Depth=2
	ds_write_b32 v38, v44 offset:64
; %bb.18:                               ;   in Loop: Header=BB4_7 Depth=2
	s_or_b32 exec_lo, exec_lo, s8
.LBB4_19:                               ;   in Loop: Header=BB4_7 Depth=2
	s_or_b32 exec_lo, exec_lo, s6
	v_add_co_u32 v4, s6, v4, 16
	v_add_co_ci_u32_e64 v5, null, 0, v5, s6
	v_cmp_eq_u64_e64 s8, s[20:21], v[24:25]
	v_cmp_le_i64_e64 s6, s[10:11], v[4:5]
	v_cmp_lt_i64_e64 s9, v[4:5], v[10:11]
                                        ; implicit-def: $vgpr4
	s_and_b32 s8, s42, s8
	s_or_b32 s9, s6, s9
	s_or_b32 s9, s9, s8
	s_nor_b32 s9, s0, s9
	s_and_saveexec_b32 s23, s9
	s_xor_b32 s9, exec_lo, s23
	s_cbranch_execz .LBB4_21
; %bb.20:                               ;   in Loop: Header=BB4_7 Depth=2
	global_load_dword v4, v[2:3], off offset:64
.LBB4_21:                               ;   in Loop: Header=BB4_7 Depth=2
	s_andn2_saveexec_b32 s9, s9
	s_cbranch_execz .LBB4_23
; %bb.22:                               ;   in Loop: Header=BB4_7 Depth=2
	s_waitcnt vmcnt(0)
	v_cndmask_b32_e64 v4, 0, 1.0, s8
.LBB4_23:                               ;   in Loop: Header=BB4_7 Depth=2
	s_or_b32 exec_lo, exec_lo, s9
	s_or_b32 s5, s6, s5
	s_waitcnt vmcnt(0)
	ds_write_b32 v38, v4 offset:2048
	s_or_b32 s5, s5, s22
	s_nor_b32 s5, s3, s5
	s_and_saveexec_b32 s6, s5
	s_xor_b32 s6, exec_lo, s6
	s_cbranch_execz .LBB4_25
; %bb.24:                               ;   in Loop: Header=BB4_7 Depth=2
	v_add_co_u32 v2, s5, v41, s16
	v_add_co_ci_u32_e64 v3, null, s17, v42, s5
	global_load_dword v2, v[2:3], off offset:64
	s_waitcnt vmcnt(0)
	ds_write_b32 v38, v2 offset:2112
.LBB4_25:                               ;   in Loop: Header=BB4_7 Depth=2
	s_andn2_saveexec_b32 s5, s6
	s_cbranch_execz .LBB4_31
; %bb.26:                               ;   in Loop: Header=BB4_7 Depth=2
	s_xor_b32 s6, s22, -1
	s_and_saveexec_b32 s8, s6
	s_xor_b32 s6, exec_lo, s8
; %bb.27:                               ;   in Loop: Header=BB4_7 Depth=2
	ds_write_b32 v38, v43 offset:2112
; %bb.28:                               ;   in Loop: Header=BB4_7 Depth=2
	s_andn2_saveexec_b32 s6, s6
; %bb.29:                               ;   in Loop: Header=BB4_7 Depth=2
	ds_write_b32 v38, v44 offset:2112
; %bb.30:                               ;   in Loop: Header=BB4_7 Depth=2
	s_or_b32 exec_lo, exec_lo, s6
.LBB4_31:                               ;   in Loop: Header=BB4_7 Depth=2
	s_or_b32 exec_lo, exec_lo, s5
	v_add_co_u32 v4, s5, v10, s20
	v_add_co_ci_u32_e64 v5, null, s21, v11, s5
	v_add_co_u32 v2, s6, v32, s16
	v_add_co_ci_u32_e64 v3, null, s17, v33, s6
	v_cmp_gt_i64_e64 s5, s[10:11], v[4:5]
	v_mov_b32_e32 v6, 0
	s_and_b32 s8, vcc_lo, s5
	s_and_saveexec_b32 s6, s8
	s_cbranch_execz .LBB4_33
; %bb.32:                               ;   in Loop: Header=BB4_7 Depth=2
	global_load_dword v6, v[2:3], off offset:-64
.LBB4_33:                               ;   in Loop: Header=BB4_7 Depth=2
	s_or_b32 exec_lo, exec_lo, s6
	v_cmp_gt_i64_e64 s6, s[18:19], v[4:5]
	s_waitcnt vmcnt(0)
	ds_write_b32 v0, v6
	s_and_b32 s8, vcc_lo, s6
	s_xor_b32 s8, s8, -1
	s_and_saveexec_b32 s9, s8
	s_xor_b32 s8, exec_lo, s9
; %bb.34:                               ;   in Loop: Header=BB4_7 Depth=2
	ds_write_b32 v0, v43 offset:64
                                        ; implicit-def: $vgpr2_vgpr3
; %bb.35:                               ;   in Loop: Header=BB4_7 Depth=2
	s_andn2_saveexec_b32 s8, s8
	s_cbranch_execz .LBB4_37
; %bb.36:                               ;   in Loop: Header=BB4_7 Depth=2
	global_load_dword v2, v[2:3], off
	s_waitcnt vmcnt(0)
	ds_write_b32 v0, v2 offset:64
.LBB4_37:                               ;   in Loop: Header=BB4_7 Depth=2
	s_or_b32 exec_lo, exec_lo, s8
	v_add_co_u32 v2, s8, v34, s16
	v_add_co_ci_u32_e64 v3, null, s17, v35, s8
	v_mov_b32_e32 v4, 0
	s_and_b32 s8, s4, s5
	s_and_saveexec_b32 s5, s8
	s_cbranch_execz .LBB4_39
; %bb.38:                               ;   in Loop: Header=BB4_7 Depth=2
	global_load_dword v4, v[2:3], off
.LBB4_39:                               ;   in Loop: Header=BB4_7 Depth=2
	s_or_b32 exec_lo, exec_lo, s5
	s_and_b32 s5, s4, s6
	s_waitcnt vmcnt(0)
	ds_write_b32 v0, v4 offset:2048
	s_xor_b32 s5, s5, -1
	s_and_saveexec_b32 s6, s5
	s_xor_b32 s5, exec_lo, s6
; %bb.40:                               ;   in Loop: Header=BB4_7 Depth=2
	ds_write_b32 v0, v43 offset:2112
                                        ; implicit-def: $vgpr2_vgpr3
; %bb.41:                               ;   in Loop: Header=BB4_7 Depth=2
	s_andn2_saveexec_b32 s5, s5
	s_cbranch_execz .LBB4_6
; %bb.42:                               ;   in Loop: Header=BB4_7 Depth=2
	global_load_dword v2, v[2:3], off offset:64
	s_waitcnt vmcnt(0)
	ds_write_b32 v0, v2 offset:2112
	s_branch .LBB4_6
.LBB4_43:                               ;   in Loop: Header=BB4_4 Depth=1
	v_mul_lo_u32 v4, s29, v48
	v_mul_lo_u32 v5, s28, v51
	v_mad_u64_u32 v[2:3], null, s28, v48, 0
	v_cmp_gt_i32_e32 vcc_lo, s14, v48
	v_add3_u32 v3, v3, v5, v4
	v_lshlrev_b64 v[2:3], 2, v[2:3]
	v_add_co_u32 v2, s4, s30, v2
	v_add_co_ci_u32_e64 v3, null, s31, v3, s4
	s_and_b32 s4, s1, vcc_lo
	s_and_saveexec_b32 s5, s4
	s_cbranch_execz .LBB4_45
; %bb.44:                               ;   in Loop: Header=BB4_4 Depth=1
	v_add_co_u32 v4, s4, v2, v22
	v_add_co_ci_u32_e64 v5, null, v3, v23, s4
	global_load_dword v6, v[4:5], off
	s_waitcnt vmcnt(0)
	v_fmac_f32_e32 v6, s33, v52
	global_store_dword v[4:5], v6, off
.LBB4_45:                               ;   in Loop: Header=BB4_4 Depth=1
	s_or_b32 exec_lo, exec_lo, s5
	s_and_b32 s5, s2, vcc_lo
	s_and_saveexec_b32 s4, s5
	s_cbranch_execz .LBB4_47
; %bb.46:                               ;   in Loop: Header=BB4_4 Depth=1
	v_lshlrev_b64 v[4:5], 2, v[14:15]
	v_add_co_u32 v2, vcc_lo, v2, v4
	v_add_co_ci_u32_e64 v3, null, v3, v5, vcc_lo
	global_load_dword v4, v[2:3], off
	s_waitcnt vmcnt(0)
	v_fmac_f32_e32 v4, s33, v50
	global_store_dword v[2:3], v4, off
.LBB4_47:                               ;   in Loop: Header=BB4_4 Depth=1
	s_or_b32 exec_lo, exec_lo, s4
	v_add_nc_u32_e32 v4, 16, v48
	v_ashrrev_i32_e32 v5, 31, v4
	v_mul_lo_u32 v6, s29, v4
	v_mad_u64_u32 v[2:3], null, s28, v4, 0
	v_cmp_gt_i32_e32 vcc_lo, s14, v4
	v_mul_lo_u32 v5, s28, v5
	v_add3_u32 v3, v3, v5, v6
	v_lshlrev_b64 v[2:3], 2, v[2:3]
	v_add_co_u32 v2, s4, s30, v2
	v_add_co_ci_u32_e64 v3, null, s31, v3, s4
	s_and_b32 s4, s1, vcc_lo
	s_and_saveexec_b32 s5, s4
	s_cbranch_execz .LBB4_49
; %bb.48:                               ;   in Loop: Header=BB4_4 Depth=1
	v_add_co_u32 v4, s4, v2, v22
	v_add_co_ci_u32_e64 v5, null, v3, v23, s4
	global_load_dword v6, v[4:5], off
	s_waitcnt vmcnt(0)
	v_fmac_f32_e32 v6, s33, v49
	global_store_dword v[4:5], v6, off
.LBB4_49:                               ;   in Loop: Header=BB4_4 Depth=1
	s_or_b32 exec_lo, exec_lo, s5
	s_and_b32 s5, s2, vcc_lo
	s_and_saveexec_b32 s4, s5
	s_cbranch_execz .LBB4_3
; %bb.50:                               ;   in Loop: Header=BB4_4 Depth=1
	v_lshlrev_b64 v[4:5], 2, v[14:15]
	v_add_co_u32 v2, vcc_lo, v2, v4
	v_add_co_ci_u32_e64 v3, null, v3, v5, vcc_lo
	global_load_dword v4, v[2:3], off
	s_waitcnt vmcnt(0)
	v_fmac_f32_e32 v4, s33, v31
	global_store_dword v[2:3], v4, off
	s_branch .LBB4_3
.LBB4_51:
	s_endpgm
	.section	.rodata,"a",@progbits
	.p2align	6, 0x0
	.amdhsa_kernel _ZL30rocblas_trmm_outofplace_kernelIfLi32ELi2ELb1ELb0ELb1ELb0EPKfS0_fEv17rocblas_diagonal_iiT6_lPT7_lllS5_lllPT8_llli
		.amdhsa_group_segment_fixed_size 8192
		.amdhsa_private_segment_fixed_size 0
		.amdhsa_kernarg_size 392
		.amdhsa_user_sgpr_count 6
		.amdhsa_user_sgpr_private_segment_buffer 1
		.amdhsa_user_sgpr_dispatch_ptr 0
		.amdhsa_user_sgpr_queue_ptr 0
		.amdhsa_user_sgpr_kernarg_segment_ptr 1
		.amdhsa_user_sgpr_dispatch_id 0
		.amdhsa_user_sgpr_flat_scratch_init 0
		.amdhsa_user_sgpr_private_segment_size 0
		.amdhsa_wavefront_size32 1
		.amdhsa_uses_dynamic_stack 0
		.amdhsa_system_sgpr_private_segment_wavefront_offset 0
		.amdhsa_system_sgpr_workgroup_id_x 1
		.amdhsa_system_sgpr_workgroup_id_y 1
		.amdhsa_system_sgpr_workgroup_id_z 1
		.amdhsa_system_sgpr_workgroup_info 0
		.amdhsa_system_vgpr_workitem_id 1
		.amdhsa_next_free_vgpr 67
		.amdhsa_next_free_sgpr 45
		.amdhsa_reserve_vcc 1
		.amdhsa_reserve_flat_scratch 0
		.amdhsa_float_round_mode_32 0
		.amdhsa_float_round_mode_16_64 0
		.amdhsa_float_denorm_mode_32 3
		.amdhsa_float_denorm_mode_16_64 3
		.amdhsa_dx10_clamp 1
		.amdhsa_ieee_mode 1
		.amdhsa_fp16_overflow 0
		.amdhsa_workgroup_processor_mode 1
		.amdhsa_memory_ordered 1
		.amdhsa_forward_progress 1
		.amdhsa_shared_vgpr_count 0
		.amdhsa_exception_fp_ieee_invalid_op 0
		.amdhsa_exception_fp_denorm_src 0
		.amdhsa_exception_fp_ieee_div_zero 0
		.amdhsa_exception_fp_ieee_overflow 0
		.amdhsa_exception_fp_ieee_underflow 0
		.amdhsa_exception_fp_ieee_inexact 0
		.amdhsa_exception_int_div_zero 0
	.end_amdhsa_kernel
	.section	.text._ZL30rocblas_trmm_outofplace_kernelIfLi32ELi2ELb1ELb0ELb1ELb0EPKfS0_fEv17rocblas_diagonal_iiT6_lPT7_lllS5_lllPT8_llli,"axG",@progbits,_ZL30rocblas_trmm_outofplace_kernelIfLi32ELi2ELb1ELb0ELb1ELb0EPKfS0_fEv17rocblas_diagonal_iiT6_lPT7_lllS5_lllPT8_llli,comdat
.Lfunc_end4:
	.size	_ZL30rocblas_trmm_outofplace_kernelIfLi32ELi2ELb1ELb0ELb1ELb0EPKfS0_fEv17rocblas_diagonal_iiT6_lPT7_lllS5_lllPT8_llli, .Lfunc_end4-_ZL30rocblas_trmm_outofplace_kernelIfLi32ELi2ELb1ELb0ELb1ELb0EPKfS0_fEv17rocblas_diagonal_iiT6_lPT7_lllS5_lllPT8_llli
                                        ; -- End function
	.set _ZL30rocblas_trmm_outofplace_kernelIfLi32ELi2ELb1ELb0ELb1ELb0EPKfS0_fEv17rocblas_diagonal_iiT6_lPT7_lllS5_lllPT8_llli.num_vgpr, 67
	.set _ZL30rocblas_trmm_outofplace_kernelIfLi32ELi2ELb1ELb0ELb1ELb0EPKfS0_fEv17rocblas_diagonal_iiT6_lPT7_lllS5_lllPT8_llli.num_agpr, 0
	.set _ZL30rocblas_trmm_outofplace_kernelIfLi32ELi2ELb1ELb0ELb1ELb0EPKfS0_fEv17rocblas_diagonal_iiT6_lPT7_lllS5_lllPT8_llli.numbered_sgpr, 45
	.set _ZL30rocblas_trmm_outofplace_kernelIfLi32ELi2ELb1ELb0ELb1ELb0EPKfS0_fEv17rocblas_diagonal_iiT6_lPT7_lllS5_lllPT8_llli.num_named_barrier, 0
	.set _ZL30rocblas_trmm_outofplace_kernelIfLi32ELi2ELb1ELb0ELb1ELb0EPKfS0_fEv17rocblas_diagonal_iiT6_lPT7_lllS5_lllPT8_llli.private_seg_size, 0
	.set _ZL30rocblas_trmm_outofplace_kernelIfLi32ELi2ELb1ELb0ELb1ELb0EPKfS0_fEv17rocblas_diagonal_iiT6_lPT7_lllS5_lllPT8_llli.uses_vcc, 1
	.set _ZL30rocblas_trmm_outofplace_kernelIfLi32ELi2ELb1ELb0ELb1ELb0EPKfS0_fEv17rocblas_diagonal_iiT6_lPT7_lllS5_lllPT8_llli.uses_flat_scratch, 0
	.set _ZL30rocblas_trmm_outofplace_kernelIfLi32ELi2ELb1ELb0ELb1ELb0EPKfS0_fEv17rocblas_diagonal_iiT6_lPT7_lllS5_lllPT8_llli.has_dyn_sized_stack, 0
	.set _ZL30rocblas_trmm_outofplace_kernelIfLi32ELi2ELb1ELb0ELb1ELb0EPKfS0_fEv17rocblas_diagonal_iiT6_lPT7_lllS5_lllPT8_llli.has_recursion, 0
	.set _ZL30rocblas_trmm_outofplace_kernelIfLi32ELi2ELb1ELb0ELb1ELb0EPKfS0_fEv17rocblas_diagonal_iiT6_lPT7_lllS5_lllPT8_llli.has_indirect_call, 0
	.section	.AMDGPU.csdata,"",@progbits
; Kernel info:
; codeLenInByte = 3120
; TotalNumSgprs: 47
; NumVgprs: 67
; ScratchSize: 0
; MemoryBound: 0
; FloatMode: 240
; IeeeMode: 1
; LDSByteSize: 8192 bytes/workgroup (compile time only)
; SGPRBlocks: 0
; VGPRBlocks: 8
; NumSGPRsForWavesPerEU: 47
; NumVGPRsForWavesPerEU: 67
; Occupancy: 12
; WaveLimiterHint : 0
; COMPUTE_PGM_RSRC2:SCRATCH_EN: 0
; COMPUTE_PGM_RSRC2:USER_SGPR: 6
; COMPUTE_PGM_RSRC2:TRAP_HANDLER: 0
; COMPUTE_PGM_RSRC2:TGID_X_EN: 1
; COMPUTE_PGM_RSRC2:TGID_Y_EN: 1
; COMPUTE_PGM_RSRC2:TGID_Z_EN: 1
; COMPUTE_PGM_RSRC2:TIDIG_COMP_CNT: 1
	.section	.text._ZL30rocblas_trmm_outofplace_kernelIfLi32ELi2ELb1ELb0ELb1ELb0EfKffEv17rocblas_diagonal_iiT6_lPT7_lllS4_lllPT8_llli,"axG",@progbits,_ZL30rocblas_trmm_outofplace_kernelIfLi32ELi2ELb1ELb0ELb1ELb0EfKffEv17rocblas_diagonal_iiT6_lPT7_lllS4_lllPT8_llli,comdat
	.globl	_ZL30rocblas_trmm_outofplace_kernelIfLi32ELi2ELb1ELb0ELb1ELb0EfKffEv17rocblas_diagonal_iiT6_lPT7_lllS4_lllPT8_llli ; -- Begin function _ZL30rocblas_trmm_outofplace_kernelIfLi32ELi2ELb1ELb0ELb1ELb0EfKffEv17rocblas_diagonal_iiT6_lPT7_lllS4_lllPT8_llli
	.p2align	8
	.type	_ZL30rocblas_trmm_outofplace_kernelIfLi32ELi2ELb1ELb0ELb1ELb0EfKffEv17rocblas_diagonal_iiT6_lPT7_lllS4_lllPT8_llli,@function
_ZL30rocblas_trmm_outofplace_kernelIfLi32ELi2ELb1ELb0ELb1ELb0EfKffEv17rocblas_diagonal_iiT6_lPT7_lllS4_lllPT8_llli: ; @_ZL30rocblas_trmm_outofplace_kernelIfLi32ELi2ELb1ELb0ELb1ELb0EfKffEv17rocblas_diagonal_iiT6_lPT7_lllS4_lllPT8_llli
; %bb.0:
	s_load_dwordx4 s[28:31], s[4:5], 0x0
	s_waitcnt lgkmcnt(0)
	v_cmp_eq_f32_e64 s0, s31, 0
	s_and_b32 vcc_lo, exec_lo, s0
	s_cbranch_vccnz .LBB5_51
; %bb.1:
	s_add_i32 s0, s30, -1
	s_ashr_i32 s1, s0, 31
	s_lshr_b32 s1, s1, 27
	s_add_i32 s0, s0, s1
	s_ashr_i32 s33, s0, 5
	s_cmp_gt_i32 s7, s33
	s_cbranch_scc1 .LBB5_51
; %bb.2:
	s_clause 0x2
	s_load_dwordx16 s[12:27], s[4:5], 0x18
	s_load_dwordx8 s[36:43], s[4:5], 0x58
	s_load_dword s44, s[4:5], 0x84
	v_lshlrev_b32_e32 v2, 7, v1
	v_lshlrev_b32_e32 v36, 2, v0
	s_mov_b32 s10, s29
	v_lshl_add_u32 v30, s7, 5, v1
	v_mov_b32_e32 v43, 0
	v_add_nc_u32_e32 v37, 0x1000, v2
	v_add_nc_u32_e32 v38, v36, v2
	v_mov_b32_e32 v44, 1.0
	v_add_nc_u32_e32 v45, 0x400, v36
	v_add_nc_u32_e32 v46, 0x800, v36
	;; [unrolled: 1-line block ×4, first 2 shown]
	s_waitcnt lgkmcnt(0)
	s_mul_i32 s1, s19, s8
	s_mul_hi_u32 s2, s18, s8
	s_mul_i32 s0, s18, s8
	s_add_i32 s1, s2, s1
	s_mul_i32 s2, s43, s8
	s_lshl_b64 s[4:5], s[0:1], 2
	s_mul_hi_u32 s1, s42, s8
	s_add_u32 s3, s12, s4
	s_addc_u32 s9, s13, s5
	s_lshl_b64 s[34:35], s[14:15], 2
	s_mul_i32 s0, s42, s8
	s_add_u32 s3, s3, s34
	s_addc_u32 s18, s9, s35
	s_add_i32 s1, s1, s2
	s_mul_i32 s19, s27, s8
	s_lshl_b64 s[0:1], s[0:1], 2
	s_add_u32 s2, s36, s0
	s_addc_u32 s9, s37, s1
	s_lshl_b64 s[0:1], s[38:39], 2
	s_add_u32 s27, s2, s0
	s_addc_u32 s36, s9, s1
	s_lshl_b32 s0, s6, 5
	s_mul_hi_u32 s2, s26, s8
	v_add_nc_u32_e32 v10, s0, v0
	v_add_nc_u32_e32 v12, s0, v1
	s_sub_i32 s37, s29, s0
	s_mul_i32 s8, s26, s8
	s_cmp_gt_i32 s37, 0
	v_ashrrev_i32_e32 v11, 31, v10
	v_mul_lo_u32 v0, s17, v10
	v_mad_u64_u32 v[2:3], null, s16, v10, 0
	v_ashrrev_i32_e32 v13, 31, v12
	v_mul_lo_u32 v4, s16, v11
	v_add_co_u32 v16, vcc_lo, v10, 16
	v_add_co_ci_u32_e64 v17, null, 0, v11, vcc_lo
	s_cselect_b32 s26, -1, 0
	s_cmpk_eq_i32 s28, 0x84
	v_lshlrev_b64 v[22:23], 2, v[10:11]
	v_add3_u32 v3, v3, v4, v0
	v_lshlrev_b64 v[4:5], 2, v[12:13]
	s_cselect_b32 s28, -1, 0
	s_ashr_i32 s11, s29, 31
	s_ashr_i32 s38, s30, 31
	v_lshlrev_b64 v[2:3], 2, v[2:3]
	s_add_u32 s14, s29, -16
	s_addc_u32 s15, s11, -1
	s_add_i32 s9, s2, s19
	v_add_nc_u32_e32 v14, 16, v10
	s_lshl_b64 s[8:9], s[8:9], 2
	v_add_co_u32 v0, vcc_lo, s3, v2
	v_add_co_ci_u32_e64 v2, null, s18, v3, vcc_lo
	s_lshl_b64 s[18:19], s[22:23], 2
	v_add_co_u32 v0, vcc_lo, v0, v4
	v_add_co_ci_u32_e64 v40, null, v2, v5, vcc_lo
	v_sub_co_u32 v18, vcc_lo, v10, v12
	v_sub_co_ci_u32_e64 v19, null, v11, v13, vcc_lo
	s_add_u32 s6, s8, s18
	v_add_co_u32 v20, vcc_lo, v18, 16
	v_add_co_ci_u32_e64 v21, null, 0, v19, vcc_lo
	v_add_co_u32 v6, vcc_lo, v22, 64
	s_addc_u32 s8, s9, s19
	s_add_u32 s6, s20, s6
	v_add_co_ci_u32_e64 v7, null, 0, v23, vcc_lo
	s_addc_u32 s8, s21, s8
	s_lshl_b64 s[18:19], s[24:25], 2
	s_lshl_b32 s20, s44, 5
	s_add_u32 s4, s34, s4
	s_addc_u32 s5, s35, s5
	v_mul_lo_u32 v7, s16, v7
	v_mad_u64_u32 v[2:3], null, s16, v6, s[4:5]
	v_mul_lo_u32 v6, s17, v6
	v_add_co_u32 v24, vcc_lo, v18, -16
	v_add_co_ci_u32_e64 v25, null, -1, v19, vcc_lo
	v_add_co_u32 v26, vcc_lo, s6, v22
	v_add_co_ci_u32_e64 v27, null, s8, v23, vcc_lo
	v_add3_u32 v3, v6, v3, v7
	v_add_co_u32 v28, vcc_lo, v26, 64
	v_add_co_ci_u32_e64 v29, null, 0, v27, vcc_lo
	v_add_co_u32 v2, vcc_lo, v2, v4
	v_add_co_ci_u32_e64 v3, null, v3, v5, vcc_lo
	v_cmp_le_i64_e64 s3, s[10:11], v[16:17]
	v_add_co_u32 v41, vcc_lo, s12, v2
	v_cmp_le_i32_e64 s0, s29, v10
	v_cmp_gt_i32_e64 s1, s29, v10
	v_cmp_gt_i32_e64 s2, s29, v14
	v_ashrrev_i32_e32 v15, 31, v14
	v_add_co_ci_u32_e64 v42, null, s13, v3, vcc_lo
	s_mov_b32 s21, s30
	s_branch .LBB5_4
.LBB5_3:                                ;   in Loop: Header=BB5_4 Depth=1
	s_or_b32 exec_lo, exec_lo, s4
	v_add_nc_u32_e32 v30, s20, v30
	s_add_i32 s7, s44, s7
	s_cmp_le_i32 s7, s33
	s_cbranch_scc0 .LBB5_51
.LBB5_4:                                ; =>This Loop Header: Depth=1
                                        ;     Child Loop BB5_7 Depth 2
	v_lshl_add_u32 v48, s7, 5, v1
	v_mov_b32_e32 v52, 0
	v_mov_b32_e32 v50, 0
	;; [unrolled: 1-line block ×4, first 2 shown]
	v_ashrrev_i32_e32 v51, 31, v48
	s_andn2_b32 vcc_lo, exec_lo, s26
	s_cbranch_vccnz .LBB5_43
; %bb.5:                                ;   in Loop: Header=BB5_4 Depth=1
	v_ashrrev_i32_e32 v31, 31, v30
	v_mad_u64_u32 v[32:33], null, s18, v30, v[28:29]
	v_mul_lo_u32 v4, s19, v30
	v_mov_b32_e32 v49, 0
	v_lshlrev_b64 v[2:3], 2, v[30:31]
	v_mul_lo_u32 v7, s18, v31
	v_mov_b32_e32 v31, 0
	v_mov_b32_e32 v50, 0
	;; [unrolled: 1-line block ×3, first 2 shown]
	s_mov_b64 s[12:13], 0
	v_add_co_u32 v5, vcc_lo, v2, 64
	v_add_co_ci_u32_e64 v6, null, 0, v3, vcc_lo
	v_sub_co_u32 v2, vcc_lo, s21, v48
	v_mul_lo_u32 v8, s25, v5
	v_mul_lo_u32 v6, s24, v6
	v_mad_u64_u32 v[34:35], null, s24, v5, v[26:27]
	v_sub_co_ci_u32_e64 v3, null, s38, v51, vcc_lo
	v_add3_u32 v33, v4, v33, v7
	s_mov_b64 s[16:17], 0
	v_cmp_lt_i64_e64 s4, 16, v[2:3]
	v_add3_u32 v35, v8, v35, v6
	v_cmp_lt_i64_e32 vcc_lo, 0, v[2:3]
	s_branch .LBB5_7
.LBB5_6:                                ;   in Loop: Header=BB5_7 Depth=2
	s_or_b32 exec_lo, exec_lo, s5
	s_waitcnt lgkmcnt(0)
	s_barrier
	buffer_gl0_inv
	ds_read_b128 v[53:56], v37
	ds_read_b128 v[57:60], v37 offset:16
	ds_read_b128 v[6:9], v37 offset:32
	;; [unrolled: 1-line block ×3, first 2 shown]
	ds_read2_b32 v[65:66], v36 offset1:16
	ds_read_b128 v[61:64], v37 offset:2048
	s_add_u32 s16, s16, 32
	s_addc_u32 s17, s17, 0
	s_add_u32 s12, s12, 0x80
	s_addc_u32 s13, s13, 0
	s_cmp_ge_i32 s16, s37
	s_waitcnt lgkmcnt(1)
	v_fmac_f32_e32 v52, v65, v53
	v_fmac_f32_e32 v50, v66, v53
	s_waitcnt lgkmcnt(0)
	v_fmac_f32_e32 v49, v65, v61
	v_fmac_f32_e32 v31, v66, v61
	ds_read2_b32 v[65:66], v36 offset0:32 offset1:48
	s_waitcnt lgkmcnt(0)
	v_fmac_f32_e32 v52, v65, v54
	v_fmac_f32_e32 v50, v66, v54
	ds_read2_b32 v[53:54], v36 offset0:64 offset1:80
	v_fmac_f32_e32 v49, v65, v62
	v_fmac_f32_e32 v31, v66, v62
	ds_read2_b32 v[61:62], v36 offset0:128 offset1:144
	s_waitcnt lgkmcnt(1)
	v_fmac_f32_e32 v52, v53, v55
	v_fmac_f32_e32 v50, v54, v55
	;; [unrolled: 1-line block ×4, first 2 shown]
	ds_read2_b32 v[53:54], v36 offset0:96 offset1:112
	s_waitcnt lgkmcnt(0)
	v_fmac_f32_e32 v52, v53, v56
	v_fmac_f32_e32 v50, v54, v56
	;; [unrolled: 1-line block ×4, first 2 shown]
	ds_read_b128 v[53:56], v37 offset:2064
	v_fmac_f32_e32 v52, v61, v57
	v_fmac_f32_e32 v50, v62, v57
	s_waitcnt lgkmcnt(0)
	v_fmac_f32_e32 v49, v61, v53
	v_fmac_f32_e32 v31, v62, v53
	ds_read2_b32 v[61:62], v36 offset0:160 offset1:176
	s_waitcnt lgkmcnt(0)
	v_fmac_f32_e32 v49, v61, v54
	v_fmac_f32_e32 v31, v62, v54
	ds_read2_b32 v[53:54], v36 offset0:192 offset1:208
	v_fmac_f32_e32 v52, v61, v58
	v_fmac_f32_e32 v50, v62, v58
	ds_read2_b32 v[57:58], v45 offset1:16
	s_waitcnt lgkmcnt(1)
	v_fmac_f32_e32 v52, v53, v59
	v_fmac_f32_e32 v50, v54, v59
	;; [unrolled: 1-line block ×4, first 2 shown]
	ds_read2_b32 v[53:54], v36 offset0:224 offset1:240
	s_waitcnt lgkmcnt(0)
	v_fmac_f32_e32 v52, v53, v60
	v_fmac_f32_e32 v50, v54, v60
	;; [unrolled: 1-line block ×4, first 2 shown]
	ds_read_b128 v[53:56], v37 offset:2080
	v_fmac_f32_e32 v52, v57, v6
	v_fmac_f32_e32 v50, v58, v6
	s_waitcnt lgkmcnt(0)
	v_fmac_f32_e32 v49, v57, v53
	v_fmac_f32_e32 v31, v58, v53
	ds_read2_b32 v[57:58], v45 offset0:32 offset1:48
	s_waitcnt lgkmcnt(0)
	v_fmac_f32_e32 v52, v57, v7
	v_fmac_f32_e32 v50, v58, v7
	ds_read2_b32 v[6:7], v45 offset0:64 offset1:80
	v_fmac_f32_e32 v49, v57, v54
	v_fmac_f32_e32 v31, v58, v54
	ds_read2_b32 v[53:54], v45 offset0:128 offset1:144
	s_waitcnt lgkmcnt(1)
	v_fmac_f32_e32 v52, v6, v8
	v_fmac_f32_e32 v50, v7, v8
	;; [unrolled: 1-line block ×4, first 2 shown]
	ds_read2_b32 v[6:7], v45 offset0:96 offset1:112
	s_waitcnt lgkmcnt(0)
	v_fmac_f32_e32 v52, v6, v9
	v_fmac_f32_e32 v50, v7, v9
	;; [unrolled: 1-line block ×4, first 2 shown]
	ds_read_b128 v[6:9], v37 offset:2096
	v_fmac_f32_e32 v52, v53, v2
	v_fmac_f32_e32 v50, v54, v2
	s_waitcnt lgkmcnt(0)
	v_fmac_f32_e32 v49, v53, v6
	v_fmac_f32_e32 v31, v54, v6
	ds_read2_b32 v[53:54], v45 offset0:160 offset1:176
	s_waitcnt lgkmcnt(0)
	v_fmac_f32_e32 v52, v53, v3
	v_fmac_f32_e32 v50, v54, v3
	ds_read2_b32 v[2:3], v45 offset0:192 offset1:208
	v_fmac_f32_e32 v49, v53, v7
	v_fmac_f32_e32 v31, v54, v7
	s_waitcnt lgkmcnt(0)
	v_fmac_f32_e32 v52, v2, v4
	v_fmac_f32_e32 v50, v3, v4
	;; [unrolled: 1-line block ×4, first 2 shown]
	ds_read2_b32 v[2:3], v45 offset0:224 offset1:240
	s_waitcnt lgkmcnt(0)
	v_fmac_f32_e32 v52, v2, v5
	v_fmac_f32_e32 v50, v3, v5
	;; [unrolled: 1-line block ×4, first 2 shown]
	ds_read_b128 v[2:5], v37 offset:64
	ds_read2_b32 v[53:54], v46 offset1:16
	ds_read_b128 v[6:9], v37 offset:2112
	s_waitcnt lgkmcnt(1)
	v_fmac_f32_e32 v52, v53, v2
	v_fmac_f32_e32 v50, v54, v2
	s_waitcnt lgkmcnt(0)
	v_fmac_f32_e32 v49, v53, v6
	v_fmac_f32_e32 v31, v54, v6
	ds_read2_b32 v[53:54], v46 offset0:32 offset1:48
	s_waitcnt lgkmcnt(0)
	v_fmac_f32_e32 v52, v53, v3
	v_fmac_f32_e32 v50, v54, v3
	ds_read2_b32 v[2:3], v46 offset0:64 offset1:80
	v_fmac_f32_e32 v49, v53, v7
	v_fmac_f32_e32 v31, v54, v7
	s_waitcnt lgkmcnt(0)
	v_fmac_f32_e32 v52, v2, v4
	v_fmac_f32_e32 v50, v3, v4
	;; [unrolled: 1-line block ×4, first 2 shown]
	ds_read2_b32 v[2:3], v46 offset0:96 offset1:112
	s_waitcnt lgkmcnt(0)
	v_fmac_f32_e32 v52, v2, v5
	v_fmac_f32_e32 v50, v3, v5
	;; [unrolled: 1-line block ×4, first 2 shown]
	ds_read_b128 v[2:5], v37 offset:80
	ds_read2_b32 v[53:54], v46 offset0:128 offset1:144
	ds_read_b128 v[6:9], v37 offset:2128
	s_waitcnt lgkmcnt(1)
	v_fmac_f32_e32 v52, v53, v2
	v_fmac_f32_e32 v50, v54, v2
	s_waitcnt lgkmcnt(0)
	v_fmac_f32_e32 v49, v53, v6
	v_fmac_f32_e32 v31, v54, v6
	ds_read2_b32 v[53:54], v46 offset0:160 offset1:176
	s_waitcnt lgkmcnt(0)
	v_fmac_f32_e32 v52, v53, v3
	v_fmac_f32_e32 v50, v54, v3
	ds_read2_b32 v[2:3], v46 offset0:192 offset1:208
	v_fmac_f32_e32 v49, v53, v7
	v_fmac_f32_e32 v31, v54, v7
	s_waitcnt lgkmcnt(0)
	v_fmac_f32_e32 v52, v2, v4
	v_fmac_f32_e32 v50, v3, v4
	;; [unrolled: 1-line block ×4, first 2 shown]
	ds_read2_b32 v[2:3], v46 offset0:224 offset1:240
	s_waitcnt lgkmcnt(0)
	v_fmac_f32_e32 v52, v2, v5
	v_fmac_f32_e32 v50, v3, v5
	;; [unrolled: 1-line block ×4, first 2 shown]
	ds_read_b128 v[2:5], v37 offset:96
	ds_read2_b32 v[53:54], v47 offset1:16
	ds_read_b128 v[6:9], v37 offset:2144
	s_waitcnt lgkmcnt(1)
	v_fmac_f32_e32 v52, v53, v2
	v_fmac_f32_e32 v50, v54, v2
	s_waitcnt lgkmcnt(0)
	v_fmac_f32_e32 v49, v53, v6
	v_fmac_f32_e32 v31, v54, v6
	ds_read2_b32 v[53:54], v47 offset0:32 offset1:48
	s_waitcnt lgkmcnt(0)
	v_fmac_f32_e32 v52, v53, v3
	v_fmac_f32_e32 v50, v54, v3
	ds_read2_b32 v[2:3], v47 offset0:64 offset1:80
	v_fmac_f32_e32 v49, v53, v7
	v_fmac_f32_e32 v31, v54, v7
	s_waitcnt lgkmcnt(0)
	v_fmac_f32_e32 v52, v2, v4
	v_fmac_f32_e32 v50, v3, v4
	;; [unrolled: 1-line block ×4, first 2 shown]
	ds_read2_b32 v[2:3], v47 offset0:96 offset1:112
	s_waitcnt lgkmcnt(0)
	v_fmac_f32_e32 v52, v2, v5
	v_fmac_f32_e32 v50, v3, v5
	;; [unrolled: 1-line block ×4, first 2 shown]
	ds_read_b128 v[2:5], v37 offset:112
	ds_read2_b32 v[53:54], v47 offset0:128 offset1:144
	ds_read_b128 v[6:9], v37 offset:2160
	s_waitcnt lgkmcnt(1)
	v_fmac_f32_e32 v52, v53, v2
	v_fmac_f32_e32 v50, v54, v2
	s_waitcnt lgkmcnt(0)
	v_fmac_f32_e32 v49, v53, v6
	v_fmac_f32_e32 v31, v54, v6
	ds_read2_b32 v[53:54], v47 offset0:160 offset1:176
	s_waitcnt lgkmcnt(0)
	v_fmac_f32_e32 v52, v53, v3
	v_fmac_f32_e32 v50, v54, v3
	ds_read2_b32 v[2:3], v47 offset0:192 offset1:208
	v_fmac_f32_e32 v49, v53, v7
	v_fmac_f32_e32 v31, v54, v7
	s_waitcnt lgkmcnt(0)
	v_fmac_f32_e32 v52, v2, v4
	v_fmac_f32_e32 v50, v3, v4
	;; [unrolled: 1-line block ×4, first 2 shown]
	ds_read2_b32 v[2:3], v47 offset0:224 offset1:240
	s_waitcnt lgkmcnt(0)
	s_barrier
	buffer_gl0_inv
	v_fmac_f32_e32 v52, v2, v5
	v_fmac_f32_e32 v50, v3, v5
	;; [unrolled: 1-line block ×4, first 2 shown]
	s_cbranch_scc1 .LBB5_43
.LBB5_7:                                ;   Parent Loop BB5_4 Depth=1
                                        ; =>  This Inner Loop Header: Depth=2
	v_add_co_u32 v4, s5, v12, s16
	v_add_co_ci_u32_e64 v5, null, s17, v13, s5
	v_cmp_eq_u64_e64 s8, s[16:17], v[18:19]
                                        ; implicit-def: $vgpr6
	v_cmp_le_i64_e64 s6, s[10:11], v[4:5]
	v_cmp_lt_i64_e64 s5, v[4:5], v[10:11]
	s_and_b32 s22, s28, s8
	v_add_co_u32 v2, s8, v0, s12
	v_add_co_ci_u32_e64 v3, null, s13, v40, s8
	s_or_b32 s9, s6, s5
	s_or_b32 s8, s9, s22
	s_nor_b32 s8, s0, s8
	s_and_saveexec_b32 s9, s8
	s_xor_b32 s8, exec_lo, s9
	s_cbranch_execz .LBB5_9
; %bb.8:                                ;   in Loop: Header=BB5_7 Depth=2
	global_load_dword v6, v[2:3], off
.LBB5_9:                                ;   in Loop: Header=BB5_7 Depth=2
	s_andn2_saveexec_b32 s8, s8
	s_cbranch_execz .LBB5_11
; %bb.10:                               ;   in Loop: Header=BB5_7 Depth=2
	s_waitcnt vmcnt(0)
	v_cndmask_b32_e64 v6, 0, 1.0, s22
.LBB5_11:                               ;   in Loop: Header=BB5_7 Depth=2
	s_or_b32 exec_lo, exec_lo, s8
	v_cmp_eq_u64_e64 s8, s[16:17], v[20:21]
	v_cmp_gt_i64_e64 s9, v[16:17], v[4:5]
	s_waitcnt vmcnt(0)
	ds_write_b32 v38, v6
	s_and_b32 s8, s28, s8
	s_or_b32 s6, s6, s9
	s_or_b32 s6, s6, s8
	s_nor_b32 s6, s3, s6
	s_and_saveexec_b32 s9, s6
	s_xor_b32 s9, exec_lo, s9
	s_cbranch_execz .LBB5_13
; %bb.12:                               ;   in Loop: Header=BB5_7 Depth=2
	v_add_co_u32 v6, s6, v41, s12
	v_add_co_ci_u32_e64 v7, null, s13, v42, s6
	global_load_dword v6, v[6:7], off
	s_waitcnt vmcnt(0)
	ds_write_b32 v38, v6 offset:64
.LBB5_13:                               ;   in Loop: Header=BB5_7 Depth=2
	s_andn2_saveexec_b32 s6, s9
	s_cbranch_execz .LBB5_19
; %bb.14:                               ;   in Loop: Header=BB5_7 Depth=2
	s_xor_b32 s8, s8, -1
	s_and_saveexec_b32 s9, s8
	s_xor_b32 s8, exec_lo, s9
; %bb.15:                               ;   in Loop: Header=BB5_7 Depth=2
	ds_write_b32 v38, v43 offset:64
; %bb.16:                               ;   in Loop: Header=BB5_7 Depth=2
	s_andn2_saveexec_b32 s8, s8
; %bb.17:                               ;   in Loop: Header=BB5_7 Depth=2
	ds_write_b32 v38, v44 offset:64
; %bb.18:                               ;   in Loop: Header=BB5_7 Depth=2
	s_or_b32 exec_lo, exec_lo, s8
.LBB5_19:                               ;   in Loop: Header=BB5_7 Depth=2
	s_or_b32 exec_lo, exec_lo, s6
	v_add_co_u32 v4, s6, v4, 16
	v_add_co_ci_u32_e64 v5, null, 0, v5, s6
	v_cmp_eq_u64_e64 s8, s[16:17], v[24:25]
	v_cmp_le_i64_e64 s6, s[10:11], v[4:5]
	v_cmp_lt_i64_e64 s9, v[4:5], v[10:11]
                                        ; implicit-def: $vgpr4
	s_and_b32 s8, s28, s8
	s_or_b32 s9, s6, s9
	s_or_b32 s9, s9, s8
	s_nor_b32 s9, s0, s9
	s_and_saveexec_b32 s23, s9
	s_xor_b32 s9, exec_lo, s23
	s_cbranch_execz .LBB5_21
; %bb.20:                               ;   in Loop: Header=BB5_7 Depth=2
	global_load_dword v4, v[2:3], off offset:64
.LBB5_21:                               ;   in Loop: Header=BB5_7 Depth=2
	s_andn2_saveexec_b32 s9, s9
	s_cbranch_execz .LBB5_23
; %bb.22:                               ;   in Loop: Header=BB5_7 Depth=2
	s_waitcnt vmcnt(0)
	v_cndmask_b32_e64 v4, 0, 1.0, s8
.LBB5_23:                               ;   in Loop: Header=BB5_7 Depth=2
	s_or_b32 exec_lo, exec_lo, s9
	s_or_b32 s5, s6, s5
	s_waitcnt vmcnt(0)
	ds_write_b32 v38, v4 offset:2048
	s_or_b32 s5, s5, s22
	s_nor_b32 s5, s3, s5
	s_and_saveexec_b32 s6, s5
	s_xor_b32 s6, exec_lo, s6
	s_cbranch_execz .LBB5_25
; %bb.24:                               ;   in Loop: Header=BB5_7 Depth=2
	v_add_co_u32 v2, s5, v41, s12
	v_add_co_ci_u32_e64 v3, null, s13, v42, s5
	global_load_dword v2, v[2:3], off offset:64
	s_waitcnt vmcnt(0)
	ds_write_b32 v38, v2 offset:2112
.LBB5_25:                               ;   in Loop: Header=BB5_7 Depth=2
	s_andn2_saveexec_b32 s5, s6
	s_cbranch_execz .LBB5_31
; %bb.26:                               ;   in Loop: Header=BB5_7 Depth=2
	s_xor_b32 s6, s22, -1
	s_and_saveexec_b32 s8, s6
	s_xor_b32 s6, exec_lo, s8
; %bb.27:                               ;   in Loop: Header=BB5_7 Depth=2
	ds_write_b32 v38, v43 offset:2112
; %bb.28:                               ;   in Loop: Header=BB5_7 Depth=2
	s_andn2_saveexec_b32 s6, s6
; %bb.29:                               ;   in Loop: Header=BB5_7 Depth=2
	ds_write_b32 v38, v44 offset:2112
; %bb.30:                               ;   in Loop: Header=BB5_7 Depth=2
	s_or_b32 exec_lo, exec_lo, s6
.LBB5_31:                               ;   in Loop: Header=BB5_7 Depth=2
	s_or_b32 exec_lo, exec_lo, s5
	v_add_co_u32 v4, s5, v10, s16
	v_add_co_ci_u32_e64 v5, null, s17, v11, s5
	v_add_co_u32 v2, s6, v32, s12
	v_add_co_ci_u32_e64 v3, null, s13, v33, s6
	v_cmp_gt_i64_e64 s5, s[10:11], v[4:5]
	v_mov_b32_e32 v6, 0
	s_and_b32 s8, vcc_lo, s5
	s_and_saveexec_b32 s6, s8
	s_cbranch_execz .LBB5_33
; %bb.32:                               ;   in Loop: Header=BB5_7 Depth=2
	global_load_dword v6, v[2:3], off offset:-64
.LBB5_33:                               ;   in Loop: Header=BB5_7 Depth=2
	s_or_b32 exec_lo, exec_lo, s6
	v_cmp_gt_i64_e64 s6, s[14:15], v[4:5]
	s_waitcnt vmcnt(0)
	ds_write_b32 v39, v6
	s_and_b32 s8, vcc_lo, s6
	s_xor_b32 s8, s8, -1
	s_and_saveexec_b32 s9, s8
	s_xor_b32 s8, exec_lo, s9
; %bb.34:                               ;   in Loop: Header=BB5_7 Depth=2
	ds_write_b32 v39, v43 offset:64
                                        ; implicit-def: $vgpr2_vgpr3
; %bb.35:                               ;   in Loop: Header=BB5_7 Depth=2
	s_andn2_saveexec_b32 s8, s8
	s_cbranch_execz .LBB5_37
; %bb.36:                               ;   in Loop: Header=BB5_7 Depth=2
	global_load_dword v2, v[2:3], off
	s_waitcnt vmcnt(0)
	ds_write_b32 v39, v2 offset:64
.LBB5_37:                               ;   in Loop: Header=BB5_7 Depth=2
	s_or_b32 exec_lo, exec_lo, s8
	v_add_co_u32 v2, s8, v34, s12
	v_add_co_ci_u32_e64 v3, null, s13, v35, s8
	v_mov_b32_e32 v4, 0
	s_and_b32 s8, s4, s5
	s_and_saveexec_b32 s5, s8
	s_cbranch_execz .LBB5_39
; %bb.38:                               ;   in Loop: Header=BB5_7 Depth=2
	global_load_dword v4, v[2:3], off
.LBB5_39:                               ;   in Loop: Header=BB5_7 Depth=2
	s_or_b32 exec_lo, exec_lo, s5
	s_and_b32 s5, s4, s6
	s_waitcnt vmcnt(0)
	ds_write_b32 v39, v4 offset:2048
	s_xor_b32 s5, s5, -1
	s_and_saveexec_b32 s6, s5
	s_xor_b32 s5, exec_lo, s6
; %bb.40:                               ;   in Loop: Header=BB5_7 Depth=2
	ds_write_b32 v39, v43 offset:2112
                                        ; implicit-def: $vgpr2_vgpr3
; %bb.41:                               ;   in Loop: Header=BB5_7 Depth=2
	s_andn2_saveexec_b32 s5, s5
	s_cbranch_execz .LBB5_6
; %bb.42:                               ;   in Loop: Header=BB5_7 Depth=2
	global_load_dword v2, v[2:3], off offset:64
	s_waitcnt vmcnt(0)
	ds_write_b32 v39, v2 offset:2112
	s_branch .LBB5_6
.LBB5_43:                               ;   in Loop: Header=BB5_4 Depth=1
	v_mul_lo_u32 v4, s41, v48
	v_mul_lo_u32 v5, s40, v51
	v_mad_u64_u32 v[2:3], null, s40, v48, 0
	v_cmp_gt_i32_e32 vcc_lo, s30, v48
	v_add3_u32 v3, v3, v5, v4
	v_lshlrev_b64 v[2:3], 2, v[2:3]
	v_add_co_u32 v2, s4, s27, v2
	v_add_co_ci_u32_e64 v3, null, s36, v3, s4
	s_and_b32 s4, s1, vcc_lo
	s_and_saveexec_b32 s5, s4
	s_cbranch_execz .LBB5_45
; %bb.44:                               ;   in Loop: Header=BB5_4 Depth=1
	v_add_co_u32 v4, s4, v2, v22
	v_add_co_ci_u32_e64 v5, null, v3, v23, s4
	global_load_dword v6, v[4:5], off
	s_waitcnt vmcnt(0)
	v_fmac_f32_e32 v6, s31, v52
	global_store_dword v[4:5], v6, off
.LBB5_45:                               ;   in Loop: Header=BB5_4 Depth=1
	s_or_b32 exec_lo, exec_lo, s5
	s_and_b32 s5, s2, vcc_lo
	s_and_saveexec_b32 s4, s5
	s_cbranch_execz .LBB5_47
; %bb.46:                               ;   in Loop: Header=BB5_4 Depth=1
	v_lshlrev_b64 v[4:5], 2, v[14:15]
	v_add_co_u32 v2, vcc_lo, v2, v4
	v_add_co_ci_u32_e64 v3, null, v3, v5, vcc_lo
	global_load_dword v4, v[2:3], off
	s_waitcnt vmcnt(0)
	v_fmac_f32_e32 v4, s31, v50
	global_store_dword v[2:3], v4, off
.LBB5_47:                               ;   in Loop: Header=BB5_4 Depth=1
	s_or_b32 exec_lo, exec_lo, s4
	v_add_nc_u32_e32 v4, 16, v48
	v_ashrrev_i32_e32 v5, 31, v4
	v_mul_lo_u32 v6, s41, v4
	v_mad_u64_u32 v[2:3], null, s40, v4, 0
	v_cmp_gt_i32_e32 vcc_lo, s30, v4
	v_mul_lo_u32 v5, s40, v5
	v_add3_u32 v3, v3, v5, v6
	v_lshlrev_b64 v[2:3], 2, v[2:3]
	v_add_co_u32 v2, s4, s27, v2
	v_add_co_ci_u32_e64 v3, null, s36, v3, s4
	s_and_b32 s4, s1, vcc_lo
	s_and_saveexec_b32 s5, s4
	s_cbranch_execz .LBB5_49
; %bb.48:                               ;   in Loop: Header=BB5_4 Depth=1
	v_add_co_u32 v4, s4, v2, v22
	v_add_co_ci_u32_e64 v5, null, v3, v23, s4
	global_load_dword v6, v[4:5], off
	s_waitcnt vmcnt(0)
	v_fmac_f32_e32 v6, s31, v49
	global_store_dword v[4:5], v6, off
.LBB5_49:                               ;   in Loop: Header=BB5_4 Depth=1
	s_or_b32 exec_lo, exec_lo, s5
	s_and_b32 s5, s2, vcc_lo
	s_and_saveexec_b32 s4, s5
	s_cbranch_execz .LBB5_3
; %bb.50:                               ;   in Loop: Header=BB5_4 Depth=1
	v_lshlrev_b64 v[4:5], 2, v[14:15]
	v_add_co_u32 v2, vcc_lo, v2, v4
	v_add_co_ci_u32_e64 v3, null, v3, v5, vcc_lo
	global_load_dword v4, v[2:3], off
	s_waitcnt vmcnt(0)
	v_fmac_f32_e32 v4, s31, v31
	global_store_dword v[2:3], v4, off
	s_branch .LBB5_3
.LBB5_51:
	s_endpgm
	.section	.rodata,"a",@progbits
	.p2align	6, 0x0
	.amdhsa_kernel _ZL30rocblas_trmm_outofplace_kernelIfLi32ELi2ELb1ELb0ELb1ELb0EfKffEv17rocblas_diagonal_iiT6_lPT7_lllS4_lllPT8_llli
		.amdhsa_group_segment_fixed_size 8192
		.amdhsa_private_segment_fixed_size 0
		.amdhsa_kernarg_size 384
		.amdhsa_user_sgpr_count 6
		.amdhsa_user_sgpr_private_segment_buffer 1
		.amdhsa_user_sgpr_dispatch_ptr 0
		.amdhsa_user_sgpr_queue_ptr 0
		.amdhsa_user_sgpr_kernarg_segment_ptr 1
		.amdhsa_user_sgpr_dispatch_id 0
		.amdhsa_user_sgpr_flat_scratch_init 0
		.amdhsa_user_sgpr_private_segment_size 0
		.amdhsa_wavefront_size32 1
		.amdhsa_uses_dynamic_stack 0
		.amdhsa_system_sgpr_private_segment_wavefront_offset 0
		.amdhsa_system_sgpr_workgroup_id_x 1
		.amdhsa_system_sgpr_workgroup_id_y 1
		.amdhsa_system_sgpr_workgroup_id_z 1
		.amdhsa_system_sgpr_workgroup_info 0
		.amdhsa_system_vgpr_workitem_id 1
		.amdhsa_next_free_vgpr 67
		.amdhsa_next_free_sgpr 45
		.amdhsa_reserve_vcc 1
		.amdhsa_reserve_flat_scratch 0
		.amdhsa_float_round_mode_32 0
		.amdhsa_float_round_mode_16_64 0
		.amdhsa_float_denorm_mode_32 3
		.amdhsa_float_denorm_mode_16_64 3
		.amdhsa_dx10_clamp 1
		.amdhsa_ieee_mode 1
		.amdhsa_fp16_overflow 0
		.amdhsa_workgroup_processor_mode 1
		.amdhsa_memory_ordered 1
		.amdhsa_forward_progress 1
		.amdhsa_shared_vgpr_count 0
		.amdhsa_exception_fp_ieee_invalid_op 0
		.amdhsa_exception_fp_denorm_src 0
		.amdhsa_exception_fp_ieee_div_zero 0
		.amdhsa_exception_fp_ieee_overflow 0
		.amdhsa_exception_fp_ieee_underflow 0
		.amdhsa_exception_fp_ieee_inexact 0
		.amdhsa_exception_int_div_zero 0
	.end_amdhsa_kernel
	.section	.text._ZL30rocblas_trmm_outofplace_kernelIfLi32ELi2ELb1ELb0ELb1ELb0EfKffEv17rocblas_diagonal_iiT6_lPT7_lllS4_lllPT8_llli,"axG",@progbits,_ZL30rocblas_trmm_outofplace_kernelIfLi32ELi2ELb1ELb0ELb1ELb0EfKffEv17rocblas_diagonal_iiT6_lPT7_lllS4_lllPT8_llli,comdat
.Lfunc_end5:
	.size	_ZL30rocblas_trmm_outofplace_kernelIfLi32ELi2ELb1ELb0ELb1ELb0EfKffEv17rocblas_diagonal_iiT6_lPT7_lllS4_lllPT8_llli, .Lfunc_end5-_ZL30rocblas_trmm_outofplace_kernelIfLi32ELi2ELb1ELb0ELb1ELb0EfKffEv17rocblas_diagonal_iiT6_lPT7_lllS4_lllPT8_llli
                                        ; -- End function
	.set _ZL30rocblas_trmm_outofplace_kernelIfLi32ELi2ELb1ELb0ELb1ELb0EfKffEv17rocblas_diagonal_iiT6_lPT7_lllS4_lllPT8_llli.num_vgpr, 67
	.set _ZL30rocblas_trmm_outofplace_kernelIfLi32ELi2ELb1ELb0ELb1ELb0EfKffEv17rocblas_diagonal_iiT6_lPT7_lllS4_lllPT8_llli.num_agpr, 0
	.set _ZL30rocblas_trmm_outofplace_kernelIfLi32ELi2ELb1ELb0ELb1ELb0EfKffEv17rocblas_diagonal_iiT6_lPT7_lllS4_lllPT8_llli.numbered_sgpr, 45
	.set _ZL30rocblas_trmm_outofplace_kernelIfLi32ELi2ELb1ELb0ELb1ELb0EfKffEv17rocblas_diagonal_iiT6_lPT7_lllS4_lllPT8_llli.num_named_barrier, 0
	.set _ZL30rocblas_trmm_outofplace_kernelIfLi32ELi2ELb1ELb0ELb1ELb0EfKffEv17rocblas_diagonal_iiT6_lPT7_lllS4_lllPT8_llli.private_seg_size, 0
	.set _ZL30rocblas_trmm_outofplace_kernelIfLi32ELi2ELb1ELb0ELb1ELb0EfKffEv17rocblas_diagonal_iiT6_lPT7_lllS4_lllPT8_llli.uses_vcc, 1
	.set _ZL30rocblas_trmm_outofplace_kernelIfLi32ELi2ELb1ELb0ELb1ELb0EfKffEv17rocblas_diagonal_iiT6_lPT7_lllS4_lllPT8_llli.uses_flat_scratch, 0
	.set _ZL30rocblas_trmm_outofplace_kernelIfLi32ELi2ELb1ELb0ELb1ELb0EfKffEv17rocblas_diagonal_iiT6_lPT7_lllS4_lllPT8_llli.has_dyn_sized_stack, 0
	.set _ZL30rocblas_trmm_outofplace_kernelIfLi32ELi2ELb1ELb0ELb1ELb0EfKffEv17rocblas_diagonal_iiT6_lPT7_lllS4_lllPT8_llli.has_recursion, 0
	.set _ZL30rocblas_trmm_outofplace_kernelIfLi32ELi2ELb1ELb0ELb1ELb0EfKffEv17rocblas_diagonal_iiT6_lPT7_lllS4_lllPT8_llli.has_indirect_call, 0
	.section	.AMDGPU.csdata,"",@progbits
; Kernel info:
; codeLenInByte = 3072
; TotalNumSgprs: 47
; NumVgprs: 67
; ScratchSize: 0
; MemoryBound: 0
; FloatMode: 240
; IeeeMode: 1
; LDSByteSize: 8192 bytes/workgroup (compile time only)
; SGPRBlocks: 0
; VGPRBlocks: 8
; NumSGPRsForWavesPerEU: 47
; NumVGPRsForWavesPerEU: 67
; Occupancy: 12
; WaveLimiterHint : 0
; COMPUTE_PGM_RSRC2:SCRATCH_EN: 0
; COMPUTE_PGM_RSRC2:USER_SGPR: 6
; COMPUTE_PGM_RSRC2:TRAP_HANDLER: 0
; COMPUTE_PGM_RSRC2:TGID_X_EN: 1
; COMPUTE_PGM_RSRC2:TGID_Y_EN: 1
; COMPUTE_PGM_RSRC2:TGID_Z_EN: 1
; COMPUTE_PGM_RSRC2:TIDIG_COMP_CNT: 1
	.section	.text._ZL30rocblas_trmm_outofplace_kernelIfLi32ELi2ELb1ELb1ELb1ELb0EPKfS0_fEv17rocblas_diagonal_iiT6_lPT7_lllS5_lllPT8_llli,"axG",@progbits,_ZL30rocblas_trmm_outofplace_kernelIfLi32ELi2ELb1ELb1ELb1ELb0EPKfS0_fEv17rocblas_diagonal_iiT6_lPT7_lllS5_lllPT8_llli,comdat
	.globl	_ZL30rocblas_trmm_outofplace_kernelIfLi32ELi2ELb1ELb1ELb1ELb0EPKfS0_fEv17rocblas_diagonal_iiT6_lPT7_lllS5_lllPT8_llli ; -- Begin function _ZL30rocblas_trmm_outofplace_kernelIfLi32ELi2ELb1ELb1ELb1ELb0EPKfS0_fEv17rocblas_diagonal_iiT6_lPT7_lllS5_lllPT8_llli
	.p2align	8
	.type	_ZL30rocblas_trmm_outofplace_kernelIfLi32ELi2ELb1ELb1ELb1ELb0EPKfS0_fEv17rocblas_diagonal_iiT6_lPT7_lllS5_lllPT8_llli,@function
_ZL30rocblas_trmm_outofplace_kernelIfLi32ELi2ELb1ELb1ELb1ELb0EPKfS0_fEv17rocblas_diagonal_iiT6_lPT7_lllS5_lllPT8_llli: ; @_ZL30rocblas_trmm_outofplace_kernelIfLi32ELi2ELb1ELb1ELb1ELb0EPKfS0_fEv17rocblas_diagonal_iiT6_lPT7_lllS5_lllPT8_llli
; %bb.0:
	s_load_dwordx16 s[12:27], s[4:5], 0x10
	s_waitcnt lgkmcnt(0)
	s_mul_i32 s0, s15, s8
	s_mul_hi_u32 s1, s14, s8
	s_add_i32 s1, s1, s0
	s_mul_i32 s0, s14, s8
	s_lshl_b64 s[0:1], s[0:1], 2
	s_add_u32 s0, s12, s0
	s_addc_u32 s1, s13, s1
	s_load_dword s33, s[0:1], 0x0
	s_waitcnt lgkmcnt(0)
	v_cmp_eq_f32_e64 s0, s33, 0
	s_and_b32 vcc_lo, exec_lo, s0
	s_cbranch_vccnz .LBB6_51
; %bb.1:
	s_load_dwordx4 s[12:15], s[4:5], 0x0
	s_waitcnt lgkmcnt(0)
	s_add_i32 s0, s14, -1
	s_ashr_i32 s1, s0, 31
	s_lshr_b32 s1, s1, 27
	s_add_i32 s0, s0, s1
	s_ashr_i32 s15, s0, 5
	s_cmp_gt_i32 s7, s15
	s_cbranch_scc1 .LBB6_51
; %bb.2:
	s_clause 0x1
	s_load_dwordx4 s[28:31], s[4:5], 0x70
	s_load_dwordx8 s[36:43], s[4:5], 0x50
	s_mul_i32 s1, s23, s8
	s_mul_hi_u32 s2, s22, s8
	s_mul_i32 s0, s22, s8
	s_add_i32 s1, s2, s1
	s_load_dword s44, s[4:5], 0x8c
	s_lshl_b64 s[22:23], s[0:1], 2
	v_lshlrev_b32_e32 v2, 7, v1
	s_add_u32 s0, s16, s22
	s_addc_u32 s1, s17, s23
	s_lshl_b64 s[34:35], s[18:19], 2
	v_lshlrev_b32_e32 v35, 2, v0
	s_add_u32 s3, s0, s34
	s_addc_u32 s4, s1, s35
	v_add_nc_u32_e32 v36, 0x1000, v2
	v_lshlrev_b32_e32 v6, 2, v1
	v_add_nc_u32_e32 v37, v35, v2
	s_mov_b32 s10, s13
	v_mov_b32_e32 v34, 0
	s_waitcnt lgkmcnt(0)
	s_mul_i32 s1, s31, s8
	s_mul_hi_u32 s2, s30, s8
	s_mul_i32 s0, s30, s8
	s_add_i32 s1, s2, s1
	v_add_nc_u32_e32 v38, v36, v35
	s_lshl_b64 s[0:1], s[0:1], 2
	v_lshl_add_u32 v26, s7, 5, v1
	s_add_u32 s2, s40, s0
	s_addc_u32 s5, s41, s1
	s_lshl_b64 s[0:1], s[42:43], 2
	v_mov_b32_e32 v43, 1.0
	s_add_u32 s30, s2, s0
	s_addc_u32 s31, s5, s1
	s_lshl_b32 s40, s6, 5
	s_cmp_gt_i32 s6, -1
	v_add_nc_u32_e32 v10, s40, v0
	s_mul_i32 s5, s39, s8
	s_cselect_b32 s39, -1, 0
	s_cmpk_eq_i32 s12, 0x84
	s_mul_hi_u32 s6, s38, s8
	v_ashrrev_i32_e32 v11, 31, v10
	v_mul_lo_u32 v4, s21, v10
	v_mad_u64_u32 v[2:3], null, s20, v10, 0
	v_add_co_u32 v12, vcc_lo, v10, 16
	v_mul_lo_u32 v5, s20, v11
	v_add_co_ci_u32_e64 v13, null, 0, v11, vcc_lo
	s_cselect_b32 s41, -1, 0
	s_ashr_i32 s11, s13, 31
	s_ashr_i32 s42, s14, 31
	v_lshlrev_b64 v[18:19], 2, v[10:11]
	s_add_u32 s18, s13, -16
	v_add3_u32 v3, v3, v5, v4
	s_addc_u32 s19, s11, -1
	s_add_i32 s5, s6, s5
	v_add_nc_u32_e32 v4, 16, v10
	v_cmp_le_i32_e64 s0, s13, v10
	v_lshlrev_b64 v[2:3], 2, v[2:3]
	v_cmp_gt_i32_e64 s1, s13, v10
	v_add_nc_u32_e32 v44, 0x400, v35
	v_cmp_gt_i32_e64 s2, s13, v4
	v_ashrrev_i32_e32 v5, 31, v4
	v_add_nc_u32_e32 v45, 0x800, v35
	v_add_co_u32 v2, vcc_lo, s3, v2
	v_add_co_ci_u32_e64 v3, null, s4, v3, vcc_lo
	s_mul_i32 s4, s38, s8
	v_add_co_u32 v39, vcc_lo, v2, v6
	v_add_co_ci_u32_e64 v40, null, 0, v3, vcc_lo
	v_sub_co_u32 v14, vcc_lo, v10, v1
	v_subrev_co_ci_u32_e64 v15, null, 0, v11, vcc_lo
	s_lshl_b64 s[4:5], s[4:5], 2
	s_lshl_b64 s[8:9], s[26:27], 2
	v_add_co_u32 v16, vcc_lo, v14, 16
	v_add_co_ci_u32_e64 v17, null, 0, v15, vcc_lo
	s_add_u32 s4, s4, s8
	v_add_co_u32 v7, vcc_lo, v18, 64
	s_addc_u32 s5, s5, s9
	s_add_u32 s6, s24, s4
	v_add_co_ci_u32_e64 v8, null, 0, v19, vcc_lo
	s_addc_u32 s8, s25, s5
	s_lshl_b64 s[12:13], s[36:37], 2
	s_lshl_b32 s24, s44, 5
	s_add_u32 s4, s34, s22
	s_addc_u32 s5, s35, s23
	v_mul_lo_u32 v8, s20, v8
	v_mad_u64_u32 v[2:3], null, s20, v7, s[4:5]
	v_mul_lo_u32 v7, s21, v7
	v_add_co_u32 v22, s4, s6, v35
	v_add_co_ci_u32_e64 v23, null, s8, 0, s4
	v_add_co_u32 v20, vcc_lo, v14, -16
	v_add_co_ci_u32_e64 v21, null, -1, v15, vcc_lo
	v_add3_u32 v3, v7, v3, v8
	v_add_co_u32 v24, vcc_lo, v22, 64
	v_add_co_ci_u32_e64 v25, null, 0, v23, vcc_lo
	v_add_co_u32 v2, vcc_lo, v2, v6
	v_add_co_ci_u32_e64 v3, null, 0, v3, vcc_lo
	v_cmp_le_i64_e64 s3, s[10:11], v[12:13]
	v_add_co_u32 v41, vcc_lo, s16, v2
	v_lshlrev_b64 v[28:29], 2, v[4:5]
	v_add_co_ci_u32_e64 v42, null, s17, v3, vcc_lo
	v_add_nc_u32_e32 v46, 0xc00, v35
	s_branch .LBB6_4
.LBB6_3:                                ;   in Loop: Header=BB6_4 Depth=1
	s_or_b32 exec_lo, exec_lo, s4
	v_add_nc_u32_e32 v26, s24, v26
	s_add_i32 s7, s44, s7
	s_cmp_le_i32 s7, s15
	s_cbranch_scc0 .LBB6_51
.LBB6_4:                                ; =>This Loop Header: Depth=1
                                        ;     Child Loop BB6_7 Depth 2
	v_lshl_add_u32 v47, s7, 5, v1
	v_mov_b32_e32 v51, 0
	v_mov_b32_e32 v49, 0
	;; [unrolled: 1-line block ×4, first 2 shown]
	v_ashrrev_i32_e32 v50, 31, v47
	s_andn2_b32 vcc_lo, exec_lo, s39
	s_cbranch_vccnz .LBB6_43
; %bb.5:                                ;   in Loop: Header=BB6_4 Depth=1
	v_ashrrev_i32_e32 v27, 31, v26
	v_mad_u64_u32 v[30:31], null, s12, v26, v[24:25]
	v_mul_lo_u32 v4, s13, v26
	v_mov_b32_e32 v48, 0
	v_lshlrev_b64 v[2:3], 2, v[26:27]
	v_mul_lo_u32 v7, s12, v27
	v_mov_b32_e32 v27, 0
	v_mov_b32_e32 v49, 0
	;; [unrolled: 1-line block ×3, first 2 shown]
	s_mov_b64 s[16:17], 0
	v_add_co_u32 v5, vcc_lo, v2, 64
	v_add_co_ci_u32_e64 v6, null, 0, v3, vcc_lo
	v_sub_co_u32 v2, vcc_lo, s14, v47
	v_mul_lo_u32 v8, s37, v5
	v_mul_lo_u32 v6, s36, v6
	v_mad_u64_u32 v[32:33], null, s36, v5, v[22:23]
	v_sub_co_ci_u32_e64 v3, null, s42, v50, vcc_lo
	v_add3_u32 v31, v4, v31, v7
	s_mov_b64 s[20:21], 0
	v_cmp_lt_i64_e64 s4, 16, v[2:3]
	v_add3_u32 v33, v8, v33, v6
	v_cmp_lt_i64_e32 vcc_lo, 0, v[2:3]
	s_branch .LBB6_7
.LBB6_6:                                ;   in Loop: Header=BB6_7 Depth=2
	s_or_b32 exec_lo, exec_lo, s5
	s_waitcnt lgkmcnt(0)
	s_barrier
	buffer_gl0_inv
	ds_read_b128 v[52:55], v36
	ds_read_b128 v[56:59], v36 offset:16
	ds_read_b128 v[6:9], v36 offset:32
	ds_read_b128 v[2:5], v36 offset:48
	ds_read2_b32 v[64:65], v35 offset1:16
	ds_read_b128 v[60:63], v36 offset:2048
	s_add_u32 s20, s20, 32
	s_addc_u32 s21, s21, 0
	s_sub_i32 s5, s20, 32
	s_add_u32 s16, s16, 0x80
	s_addc_u32 s17, s17, 0
	s_cmp_ge_i32 s5, s40
	s_waitcnt lgkmcnt(1)
	v_fmac_f32_e32 v51, v64, v52
	v_fmac_f32_e32 v49, v65, v52
	s_waitcnt lgkmcnt(0)
	v_fmac_f32_e32 v48, v64, v60
	v_fmac_f32_e32 v27, v65, v60
	ds_read2_b32 v[64:65], v35 offset0:32 offset1:48
	s_waitcnt lgkmcnt(0)
	v_fmac_f32_e32 v51, v64, v53
	v_fmac_f32_e32 v49, v65, v53
	ds_read2_b32 v[52:53], v35 offset0:64 offset1:80
	v_fmac_f32_e32 v48, v64, v61
	v_fmac_f32_e32 v27, v65, v61
	ds_read2_b32 v[60:61], v35 offset0:128 offset1:144
	s_waitcnt lgkmcnt(1)
	v_fmac_f32_e32 v51, v52, v54
	v_fmac_f32_e32 v49, v53, v54
	;; [unrolled: 1-line block ×4, first 2 shown]
	ds_read2_b32 v[52:53], v35 offset0:96 offset1:112
	s_waitcnt lgkmcnt(0)
	v_fmac_f32_e32 v51, v52, v55
	v_fmac_f32_e32 v49, v53, v55
	;; [unrolled: 1-line block ×4, first 2 shown]
	ds_read_b128 v[52:55], v36 offset:2064
	v_fmac_f32_e32 v51, v60, v56
	v_fmac_f32_e32 v49, v61, v56
	s_waitcnt lgkmcnt(0)
	v_fmac_f32_e32 v48, v60, v52
	v_fmac_f32_e32 v27, v61, v52
	ds_read2_b32 v[60:61], v35 offset0:160 offset1:176
	s_waitcnt lgkmcnt(0)
	v_fmac_f32_e32 v48, v60, v53
	v_fmac_f32_e32 v27, v61, v53
	ds_read2_b32 v[52:53], v35 offset0:192 offset1:208
	v_fmac_f32_e32 v51, v60, v57
	v_fmac_f32_e32 v49, v61, v57
	ds_read2_b32 v[56:57], v44 offset1:16
	s_waitcnt lgkmcnt(1)
	v_fmac_f32_e32 v51, v52, v58
	v_fmac_f32_e32 v49, v53, v58
	;; [unrolled: 1-line block ×4, first 2 shown]
	ds_read2_b32 v[52:53], v35 offset0:224 offset1:240
	s_waitcnt lgkmcnt(0)
	v_fmac_f32_e32 v51, v52, v59
	v_fmac_f32_e32 v49, v53, v59
	;; [unrolled: 1-line block ×4, first 2 shown]
	ds_read_b128 v[52:55], v36 offset:2080
	v_fmac_f32_e32 v51, v56, v6
	v_fmac_f32_e32 v49, v57, v6
	s_waitcnt lgkmcnt(0)
	v_fmac_f32_e32 v48, v56, v52
	v_fmac_f32_e32 v27, v57, v52
	ds_read2_b32 v[56:57], v44 offset0:32 offset1:48
	s_waitcnt lgkmcnt(0)
	v_fmac_f32_e32 v51, v56, v7
	v_fmac_f32_e32 v49, v57, v7
	ds_read2_b32 v[6:7], v44 offset0:64 offset1:80
	v_fmac_f32_e32 v48, v56, v53
	v_fmac_f32_e32 v27, v57, v53
	ds_read2_b32 v[52:53], v44 offset0:128 offset1:144
	s_waitcnt lgkmcnt(1)
	v_fmac_f32_e32 v51, v6, v8
	v_fmac_f32_e32 v49, v7, v8
	;; [unrolled: 1-line block ×4, first 2 shown]
	ds_read2_b32 v[6:7], v44 offset0:96 offset1:112
	s_waitcnt lgkmcnt(0)
	v_fmac_f32_e32 v51, v6, v9
	v_fmac_f32_e32 v49, v7, v9
	;; [unrolled: 1-line block ×4, first 2 shown]
	ds_read_b128 v[6:9], v36 offset:2096
	v_fmac_f32_e32 v51, v52, v2
	v_fmac_f32_e32 v49, v53, v2
	s_waitcnt lgkmcnt(0)
	v_fmac_f32_e32 v48, v52, v6
	v_fmac_f32_e32 v27, v53, v6
	ds_read2_b32 v[52:53], v44 offset0:160 offset1:176
	s_waitcnt lgkmcnt(0)
	v_fmac_f32_e32 v51, v52, v3
	v_fmac_f32_e32 v49, v53, v3
	ds_read2_b32 v[2:3], v44 offset0:192 offset1:208
	v_fmac_f32_e32 v48, v52, v7
	v_fmac_f32_e32 v27, v53, v7
	s_waitcnt lgkmcnt(0)
	v_fmac_f32_e32 v51, v2, v4
	v_fmac_f32_e32 v49, v3, v4
	v_fmac_f32_e32 v48, v2, v8
	v_fmac_f32_e32 v27, v3, v8
	ds_read2_b32 v[2:3], v44 offset0:224 offset1:240
	s_waitcnt lgkmcnt(0)
	v_fmac_f32_e32 v51, v2, v5
	v_fmac_f32_e32 v49, v3, v5
	;; [unrolled: 1-line block ×4, first 2 shown]
	ds_read_b128 v[2:5], v36 offset:64
	ds_read2_b32 v[52:53], v45 offset1:16
	ds_read_b128 v[6:9], v36 offset:2112
	s_waitcnt lgkmcnt(1)
	v_fmac_f32_e32 v51, v52, v2
	v_fmac_f32_e32 v49, v53, v2
	s_waitcnt lgkmcnt(0)
	v_fmac_f32_e32 v48, v52, v6
	v_fmac_f32_e32 v27, v53, v6
	ds_read2_b32 v[52:53], v45 offset0:32 offset1:48
	s_waitcnt lgkmcnt(0)
	v_fmac_f32_e32 v51, v52, v3
	v_fmac_f32_e32 v49, v53, v3
	ds_read2_b32 v[2:3], v45 offset0:64 offset1:80
	v_fmac_f32_e32 v48, v52, v7
	v_fmac_f32_e32 v27, v53, v7
	s_waitcnt lgkmcnt(0)
	v_fmac_f32_e32 v51, v2, v4
	v_fmac_f32_e32 v49, v3, v4
	v_fmac_f32_e32 v48, v2, v8
	v_fmac_f32_e32 v27, v3, v8
	ds_read2_b32 v[2:3], v45 offset0:96 offset1:112
	s_waitcnt lgkmcnt(0)
	v_fmac_f32_e32 v51, v2, v5
	v_fmac_f32_e32 v49, v3, v5
	;; [unrolled: 1-line block ×4, first 2 shown]
	ds_read_b128 v[2:5], v36 offset:80
	ds_read2_b32 v[52:53], v45 offset0:128 offset1:144
	ds_read_b128 v[6:9], v36 offset:2128
	s_waitcnt lgkmcnt(1)
	v_fmac_f32_e32 v51, v52, v2
	v_fmac_f32_e32 v49, v53, v2
	s_waitcnt lgkmcnt(0)
	v_fmac_f32_e32 v48, v52, v6
	v_fmac_f32_e32 v27, v53, v6
	ds_read2_b32 v[52:53], v45 offset0:160 offset1:176
	s_waitcnt lgkmcnt(0)
	v_fmac_f32_e32 v51, v52, v3
	v_fmac_f32_e32 v49, v53, v3
	ds_read2_b32 v[2:3], v45 offset0:192 offset1:208
	v_fmac_f32_e32 v48, v52, v7
	v_fmac_f32_e32 v27, v53, v7
	s_waitcnt lgkmcnt(0)
	v_fmac_f32_e32 v51, v2, v4
	v_fmac_f32_e32 v49, v3, v4
	v_fmac_f32_e32 v48, v2, v8
	v_fmac_f32_e32 v27, v3, v8
	ds_read2_b32 v[2:3], v45 offset0:224 offset1:240
	s_waitcnt lgkmcnt(0)
	v_fmac_f32_e32 v51, v2, v5
	v_fmac_f32_e32 v49, v3, v5
	;; [unrolled: 1-line block ×4, first 2 shown]
	ds_read_b128 v[2:5], v36 offset:96
	ds_read2_b32 v[52:53], v46 offset1:16
	ds_read_b128 v[6:9], v36 offset:2144
	s_waitcnt lgkmcnt(1)
	v_fmac_f32_e32 v51, v52, v2
	v_fmac_f32_e32 v49, v53, v2
	s_waitcnt lgkmcnt(0)
	v_fmac_f32_e32 v48, v52, v6
	v_fmac_f32_e32 v27, v53, v6
	ds_read2_b32 v[52:53], v46 offset0:32 offset1:48
	s_waitcnt lgkmcnt(0)
	v_fmac_f32_e32 v51, v52, v3
	v_fmac_f32_e32 v49, v53, v3
	ds_read2_b32 v[2:3], v46 offset0:64 offset1:80
	v_fmac_f32_e32 v48, v52, v7
	v_fmac_f32_e32 v27, v53, v7
	s_waitcnt lgkmcnt(0)
	v_fmac_f32_e32 v51, v2, v4
	v_fmac_f32_e32 v49, v3, v4
	;; [unrolled: 1-line block ×4, first 2 shown]
	ds_read2_b32 v[2:3], v46 offset0:96 offset1:112
	s_waitcnt lgkmcnt(0)
	v_fmac_f32_e32 v51, v2, v5
	v_fmac_f32_e32 v49, v3, v5
	;; [unrolled: 1-line block ×4, first 2 shown]
	ds_read_b128 v[2:5], v36 offset:112
	ds_read2_b32 v[52:53], v46 offset0:128 offset1:144
	ds_read_b128 v[6:9], v36 offset:2160
	s_waitcnt lgkmcnt(1)
	v_fmac_f32_e32 v51, v52, v2
	v_fmac_f32_e32 v49, v53, v2
	s_waitcnt lgkmcnt(0)
	v_fmac_f32_e32 v48, v52, v6
	v_fmac_f32_e32 v27, v53, v6
	ds_read2_b32 v[52:53], v46 offset0:160 offset1:176
	s_waitcnt lgkmcnt(0)
	v_fmac_f32_e32 v51, v52, v3
	v_fmac_f32_e32 v49, v53, v3
	ds_read2_b32 v[2:3], v46 offset0:192 offset1:208
	v_fmac_f32_e32 v48, v52, v7
	v_fmac_f32_e32 v27, v53, v7
	s_waitcnt lgkmcnt(0)
	v_fmac_f32_e32 v51, v2, v4
	v_fmac_f32_e32 v49, v3, v4
	;; [unrolled: 1-line block ×4, first 2 shown]
	ds_read2_b32 v[2:3], v46 offset0:224 offset1:240
	s_waitcnt lgkmcnt(0)
	s_barrier
	buffer_gl0_inv
	v_fmac_f32_e32 v51, v2, v5
	v_fmac_f32_e32 v49, v3, v5
	;; [unrolled: 1-line block ×4, first 2 shown]
	s_cbranch_scc1 .LBB6_43
.LBB6_7:                                ;   Parent Loop BB6_4 Depth=1
                                        ; =>  This Inner Loop Header: Depth=2
	v_add_co_u32 v4, s5, v1, s20
	v_add_co_ci_u32_e64 v5, null, 0, s21, s5
	v_cmp_eq_u64_e64 s8, s[20:21], v[14:15]
                                        ; implicit-def: $vgpr6
	v_cmp_le_i64_e64 s6, s[10:11], v[4:5]
	v_cmp_gt_i64_e64 s5, v[4:5], v[10:11]
	s_and_b32 s22, s41, s8
	v_add_co_u32 v2, s8, v39, s16
	v_add_co_ci_u32_e64 v3, null, s17, v40, s8
	s_or_b32 s9, s6, s5
	s_or_b32 s8, s9, s22
	s_nor_b32 s8, s0, s8
	s_and_saveexec_b32 s9, s8
	s_xor_b32 s8, exec_lo, s9
	s_cbranch_execz .LBB6_9
; %bb.8:                                ;   in Loop: Header=BB6_7 Depth=2
	global_load_dword v6, v[2:3], off
.LBB6_9:                                ;   in Loop: Header=BB6_7 Depth=2
	s_andn2_saveexec_b32 s8, s8
	s_cbranch_execz .LBB6_11
; %bb.10:                               ;   in Loop: Header=BB6_7 Depth=2
	s_waitcnt vmcnt(0)
	v_cndmask_b32_e64 v6, 0, 1.0, s22
.LBB6_11:                               ;   in Loop: Header=BB6_7 Depth=2
	s_or_b32 exec_lo, exec_lo, s8
	v_cmp_eq_u64_e64 s8, s[20:21], v[16:17]
	v_cmp_lt_i64_e64 s9, v[12:13], v[4:5]
	s_waitcnt vmcnt(0)
	ds_write_b32 v37, v6
	s_and_b32 s8, s41, s8
	s_or_b32 s6, s6, s9
	s_or_b32 s6, s6, s8
	s_nor_b32 s6, s3, s6
	s_and_saveexec_b32 s9, s6
	s_xor_b32 s9, exec_lo, s9
	s_cbranch_execz .LBB6_13
; %bb.12:                               ;   in Loop: Header=BB6_7 Depth=2
	v_add_co_u32 v6, s6, v41, s16
	v_add_co_ci_u32_e64 v7, null, s17, v42, s6
	global_load_dword v6, v[6:7], off
	s_waitcnt vmcnt(0)
	ds_write_b32 v37, v6 offset:64
.LBB6_13:                               ;   in Loop: Header=BB6_7 Depth=2
	s_andn2_saveexec_b32 s6, s9
	s_cbranch_execz .LBB6_19
; %bb.14:                               ;   in Loop: Header=BB6_7 Depth=2
	s_xor_b32 s8, s8, -1
	s_and_saveexec_b32 s9, s8
	s_xor_b32 s8, exec_lo, s9
; %bb.15:                               ;   in Loop: Header=BB6_7 Depth=2
	ds_write_b32 v37, v34 offset:64
; %bb.16:                               ;   in Loop: Header=BB6_7 Depth=2
	s_andn2_saveexec_b32 s8, s8
; %bb.17:                               ;   in Loop: Header=BB6_7 Depth=2
	ds_write_b32 v37, v43 offset:64
; %bb.18:                               ;   in Loop: Header=BB6_7 Depth=2
	s_or_b32 exec_lo, exec_lo, s8
.LBB6_19:                               ;   in Loop: Header=BB6_7 Depth=2
	s_or_b32 exec_lo, exec_lo, s6
	v_add_co_u32 v4, s6, v4, 16
	v_add_co_ci_u32_e64 v5, null, 0, v5, s6
	v_cmp_eq_u64_e64 s8, s[20:21], v[20:21]
	v_cmp_le_i64_e64 s6, s[10:11], v[4:5]
	v_cmp_gt_i64_e64 s9, v[4:5], v[10:11]
                                        ; implicit-def: $vgpr4
	s_and_b32 s8, s41, s8
	s_or_b32 s9, s6, s9
	s_or_b32 s9, s9, s8
	s_nor_b32 s9, s0, s9
	s_and_saveexec_b32 s23, s9
	s_xor_b32 s9, exec_lo, s23
	s_cbranch_execz .LBB6_21
; %bb.20:                               ;   in Loop: Header=BB6_7 Depth=2
	global_load_dword v4, v[2:3], off offset:64
.LBB6_21:                               ;   in Loop: Header=BB6_7 Depth=2
	s_andn2_saveexec_b32 s9, s9
	s_cbranch_execz .LBB6_23
; %bb.22:                               ;   in Loop: Header=BB6_7 Depth=2
	s_waitcnt vmcnt(0)
	v_cndmask_b32_e64 v4, 0, 1.0, s8
.LBB6_23:                               ;   in Loop: Header=BB6_7 Depth=2
	s_or_b32 exec_lo, exec_lo, s9
	s_or_b32 s5, s6, s5
	s_waitcnt vmcnt(0)
	ds_write_b32 v37, v4 offset:2048
	s_or_b32 s5, s5, s22
	s_nor_b32 s5, s3, s5
	s_and_saveexec_b32 s6, s5
	s_xor_b32 s6, exec_lo, s6
	s_cbranch_execz .LBB6_25
; %bb.24:                               ;   in Loop: Header=BB6_7 Depth=2
	v_add_co_u32 v2, s5, v41, s16
	v_add_co_ci_u32_e64 v3, null, s17, v42, s5
	global_load_dword v2, v[2:3], off offset:64
	s_waitcnt vmcnt(0)
	ds_write_b32 v37, v2 offset:2112
.LBB6_25:                               ;   in Loop: Header=BB6_7 Depth=2
	s_andn2_saveexec_b32 s5, s6
	s_cbranch_execz .LBB6_31
; %bb.26:                               ;   in Loop: Header=BB6_7 Depth=2
	s_xor_b32 s6, s22, -1
	s_and_saveexec_b32 s8, s6
	s_xor_b32 s6, exec_lo, s8
; %bb.27:                               ;   in Loop: Header=BB6_7 Depth=2
	ds_write_b32 v37, v34 offset:2112
; %bb.28:                               ;   in Loop: Header=BB6_7 Depth=2
	s_andn2_saveexec_b32 s6, s6
; %bb.29:                               ;   in Loop: Header=BB6_7 Depth=2
	ds_write_b32 v37, v43 offset:2112
; %bb.30:                               ;   in Loop: Header=BB6_7 Depth=2
	s_or_b32 exec_lo, exec_lo, s6
.LBB6_31:                               ;   in Loop: Header=BB6_7 Depth=2
	s_or_b32 exec_lo, exec_lo, s5
	v_add_co_u32 v4, s5, v0, s20
	v_add_co_ci_u32_e64 v5, null, 0, s21, s5
	v_add_co_u32 v2, s6, v30, s16
	v_add_co_ci_u32_e64 v3, null, s17, v31, s6
	v_cmp_gt_i64_e64 s5, s[10:11], v[4:5]
	v_mov_b32_e32 v6, 0
	s_and_b32 s8, vcc_lo, s5
	s_and_saveexec_b32 s6, s8
	s_cbranch_execz .LBB6_33
; %bb.32:                               ;   in Loop: Header=BB6_7 Depth=2
	global_load_dword v6, v[2:3], off offset:-64
.LBB6_33:                               ;   in Loop: Header=BB6_7 Depth=2
	s_or_b32 exec_lo, exec_lo, s6
	v_cmp_gt_i64_e64 s6, s[18:19], v[4:5]
	s_waitcnt vmcnt(0)
	ds_write_b32 v38, v6
	s_and_b32 s8, vcc_lo, s6
	s_xor_b32 s8, s8, -1
	s_and_saveexec_b32 s9, s8
	s_xor_b32 s8, exec_lo, s9
; %bb.34:                               ;   in Loop: Header=BB6_7 Depth=2
	ds_write_b32 v38, v34 offset:64
                                        ; implicit-def: $vgpr2_vgpr3
; %bb.35:                               ;   in Loop: Header=BB6_7 Depth=2
	s_andn2_saveexec_b32 s8, s8
	s_cbranch_execz .LBB6_37
; %bb.36:                               ;   in Loop: Header=BB6_7 Depth=2
	global_load_dword v2, v[2:3], off
	s_waitcnt vmcnt(0)
	ds_write_b32 v38, v2 offset:64
.LBB6_37:                               ;   in Loop: Header=BB6_7 Depth=2
	s_or_b32 exec_lo, exec_lo, s8
	v_add_co_u32 v2, s8, v32, s16
	v_add_co_ci_u32_e64 v3, null, s17, v33, s8
	v_mov_b32_e32 v4, 0
	s_and_b32 s8, s4, s5
	s_and_saveexec_b32 s5, s8
	s_cbranch_execz .LBB6_39
; %bb.38:                               ;   in Loop: Header=BB6_7 Depth=2
	global_load_dword v4, v[2:3], off
.LBB6_39:                               ;   in Loop: Header=BB6_7 Depth=2
	s_or_b32 exec_lo, exec_lo, s5
	s_and_b32 s5, s4, s6
	s_waitcnt vmcnt(0)
	ds_write_b32 v38, v4 offset:2048
	s_xor_b32 s5, s5, -1
	s_and_saveexec_b32 s6, s5
	s_xor_b32 s5, exec_lo, s6
; %bb.40:                               ;   in Loop: Header=BB6_7 Depth=2
	ds_write_b32 v38, v34 offset:2112
                                        ; implicit-def: $vgpr2_vgpr3
; %bb.41:                               ;   in Loop: Header=BB6_7 Depth=2
	s_andn2_saveexec_b32 s5, s5
	s_cbranch_execz .LBB6_6
; %bb.42:                               ;   in Loop: Header=BB6_7 Depth=2
	global_load_dword v2, v[2:3], off offset:64
	s_waitcnt vmcnt(0)
	ds_write_b32 v38, v2 offset:2112
	s_branch .LBB6_6
.LBB6_43:                               ;   in Loop: Header=BB6_4 Depth=1
	v_mul_lo_u32 v4, s29, v47
	v_mul_lo_u32 v5, s28, v50
	v_mad_u64_u32 v[2:3], null, s28, v47, 0
	v_cmp_gt_i32_e32 vcc_lo, s14, v47
	v_add3_u32 v3, v3, v5, v4
	v_lshlrev_b64 v[2:3], 2, v[2:3]
	v_add_co_u32 v2, s4, s30, v2
	v_add_co_ci_u32_e64 v3, null, s31, v3, s4
	s_and_b32 s4, s1, vcc_lo
	s_and_saveexec_b32 s5, s4
	s_cbranch_execz .LBB6_45
; %bb.44:                               ;   in Loop: Header=BB6_4 Depth=1
	v_add_co_u32 v4, s4, v2, v18
	v_add_co_ci_u32_e64 v5, null, v3, v19, s4
	global_load_dword v6, v[4:5], off
	s_waitcnt vmcnt(0)
	v_fmac_f32_e32 v6, s33, v51
	global_store_dword v[4:5], v6, off
.LBB6_45:                               ;   in Loop: Header=BB6_4 Depth=1
	s_or_b32 exec_lo, exec_lo, s5
	s_and_b32 s5, s2, vcc_lo
	s_and_saveexec_b32 s4, s5
	s_cbranch_execz .LBB6_47
; %bb.46:                               ;   in Loop: Header=BB6_4 Depth=1
	v_add_co_u32 v2, vcc_lo, v2, v28
	v_add_co_ci_u32_e64 v3, null, v3, v29, vcc_lo
	global_load_dword v4, v[2:3], off
	s_waitcnt vmcnt(0)
	v_fmac_f32_e32 v4, s33, v49
	global_store_dword v[2:3], v4, off
.LBB6_47:                               ;   in Loop: Header=BB6_4 Depth=1
	s_or_b32 exec_lo, exec_lo, s4
	v_add_nc_u32_e32 v4, 16, v47
	v_ashrrev_i32_e32 v5, 31, v4
	v_mul_lo_u32 v6, s29, v4
	v_mad_u64_u32 v[2:3], null, s28, v4, 0
	v_cmp_gt_i32_e32 vcc_lo, s14, v4
	v_mul_lo_u32 v5, s28, v5
	v_add3_u32 v3, v3, v5, v6
	v_lshlrev_b64 v[2:3], 2, v[2:3]
	v_add_co_u32 v2, s4, s30, v2
	v_add_co_ci_u32_e64 v3, null, s31, v3, s4
	s_and_b32 s4, s1, vcc_lo
	s_and_saveexec_b32 s5, s4
	s_cbranch_execz .LBB6_49
; %bb.48:                               ;   in Loop: Header=BB6_4 Depth=1
	v_add_co_u32 v4, s4, v2, v18
	v_add_co_ci_u32_e64 v5, null, v3, v19, s4
	global_load_dword v6, v[4:5], off
	s_waitcnt vmcnt(0)
	v_fmac_f32_e32 v6, s33, v48
	global_store_dword v[4:5], v6, off
.LBB6_49:                               ;   in Loop: Header=BB6_4 Depth=1
	s_or_b32 exec_lo, exec_lo, s5
	s_and_b32 s5, s2, vcc_lo
	s_and_saveexec_b32 s4, s5
	s_cbranch_execz .LBB6_3
; %bb.50:                               ;   in Loop: Header=BB6_4 Depth=1
	v_add_co_u32 v2, vcc_lo, v2, v28
	v_add_co_ci_u32_e64 v3, null, v3, v29, vcc_lo
	global_load_dword v4, v[2:3], off
	s_waitcnt vmcnt(0)
	v_fmac_f32_e32 v4, s33, v27
	global_store_dword v[2:3], v4, off
	s_branch .LBB6_3
.LBB6_51:
	s_endpgm
	.section	.rodata,"a",@progbits
	.p2align	6, 0x0
	.amdhsa_kernel _ZL30rocblas_trmm_outofplace_kernelIfLi32ELi2ELb1ELb1ELb1ELb0EPKfS0_fEv17rocblas_diagonal_iiT6_lPT7_lllS5_lllPT8_llli
		.amdhsa_group_segment_fixed_size 8192
		.amdhsa_private_segment_fixed_size 0
		.amdhsa_kernarg_size 392
		.amdhsa_user_sgpr_count 6
		.amdhsa_user_sgpr_private_segment_buffer 1
		.amdhsa_user_sgpr_dispatch_ptr 0
		.amdhsa_user_sgpr_queue_ptr 0
		.amdhsa_user_sgpr_kernarg_segment_ptr 1
		.amdhsa_user_sgpr_dispatch_id 0
		.amdhsa_user_sgpr_flat_scratch_init 0
		.amdhsa_user_sgpr_private_segment_size 0
		.amdhsa_wavefront_size32 1
		.amdhsa_uses_dynamic_stack 0
		.amdhsa_system_sgpr_private_segment_wavefront_offset 0
		.amdhsa_system_sgpr_workgroup_id_x 1
		.amdhsa_system_sgpr_workgroup_id_y 1
		.amdhsa_system_sgpr_workgroup_id_z 1
		.amdhsa_system_sgpr_workgroup_info 0
		.amdhsa_system_vgpr_workitem_id 1
		.amdhsa_next_free_vgpr 66
		.amdhsa_next_free_sgpr 45
		.amdhsa_reserve_vcc 1
		.amdhsa_reserve_flat_scratch 0
		.amdhsa_float_round_mode_32 0
		.amdhsa_float_round_mode_16_64 0
		.amdhsa_float_denorm_mode_32 3
		.amdhsa_float_denorm_mode_16_64 3
		.amdhsa_dx10_clamp 1
		.amdhsa_ieee_mode 1
		.amdhsa_fp16_overflow 0
		.amdhsa_workgroup_processor_mode 1
		.amdhsa_memory_ordered 1
		.amdhsa_forward_progress 1
		.amdhsa_shared_vgpr_count 0
		.amdhsa_exception_fp_ieee_invalid_op 0
		.amdhsa_exception_fp_denorm_src 0
		.amdhsa_exception_fp_ieee_div_zero 0
		.amdhsa_exception_fp_ieee_overflow 0
		.amdhsa_exception_fp_ieee_underflow 0
		.amdhsa_exception_fp_ieee_inexact 0
		.amdhsa_exception_int_div_zero 0
	.end_amdhsa_kernel
	.section	.text._ZL30rocblas_trmm_outofplace_kernelIfLi32ELi2ELb1ELb1ELb1ELb0EPKfS0_fEv17rocblas_diagonal_iiT6_lPT7_lllS5_lllPT8_llli,"axG",@progbits,_ZL30rocblas_trmm_outofplace_kernelIfLi32ELi2ELb1ELb1ELb1ELb0EPKfS0_fEv17rocblas_diagonal_iiT6_lPT7_lllS5_lllPT8_llli,comdat
.Lfunc_end6:
	.size	_ZL30rocblas_trmm_outofplace_kernelIfLi32ELi2ELb1ELb1ELb1ELb0EPKfS0_fEv17rocblas_diagonal_iiT6_lPT7_lllS5_lllPT8_llli, .Lfunc_end6-_ZL30rocblas_trmm_outofplace_kernelIfLi32ELi2ELb1ELb1ELb1ELb0EPKfS0_fEv17rocblas_diagonal_iiT6_lPT7_lllS5_lllPT8_llli
                                        ; -- End function
	.set _ZL30rocblas_trmm_outofplace_kernelIfLi32ELi2ELb1ELb1ELb1ELb0EPKfS0_fEv17rocblas_diagonal_iiT6_lPT7_lllS5_lllPT8_llli.num_vgpr, 66
	.set _ZL30rocblas_trmm_outofplace_kernelIfLi32ELi2ELb1ELb1ELb1ELb0EPKfS0_fEv17rocblas_diagonal_iiT6_lPT7_lllS5_lllPT8_llli.num_agpr, 0
	.set _ZL30rocblas_trmm_outofplace_kernelIfLi32ELi2ELb1ELb1ELb1ELb0EPKfS0_fEv17rocblas_diagonal_iiT6_lPT7_lllS5_lllPT8_llli.numbered_sgpr, 45
	.set _ZL30rocblas_trmm_outofplace_kernelIfLi32ELi2ELb1ELb1ELb1ELb0EPKfS0_fEv17rocblas_diagonal_iiT6_lPT7_lllS5_lllPT8_llli.num_named_barrier, 0
	.set _ZL30rocblas_trmm_outofplace_kernelIfLi32ELi2ELb1ELb1ELb1ELb0EPKfS0_fEv17rocblas_diagonal_iiT6_lPT7_lllS5_lllPT8_llli.private_seg_size, 0
	.set _ZL30rocblas_trmm_outofplace_kernelIfLi32ELi2ELb1ELb1ELb1ELb0EPKfS0_fEv17rocblas_diagonal_iiT6_lPT7_lllS5_lllPT8_llli.uses_vcc, 1
	.set _ZL30rocblas_trmm_outofplace_kernelIfLi32ELi2ELb1ELb1ELb1ELb0EPKfS0_fEv17rocblas_diagonal_iiT6_lPT7_lllS5_lllPT8_llli.uses_flat_scratch, 0
	.set _ZL30rocblas_trmm_outofplace_kernelIfLi32ELi2ELb1ELb1ELb1ELb0EPKfS0_fEv17rocblas_diagonal_iiT6_lPT7_lllS5_lllPT8_llli.has_dyn_sized_stack, 0
	.set _ZL30rocblas_trmm_outofplace_kernelIfLi32ELi2ELb1ELb1ELb1ELb0EPKfS0_fEv17rocblas_diagonal_iiT6_lPT7_lllS5_lllPT8_llli.has_recursion, 0
	.set _ZL30rocblas_trmm_outofplace_kernelIfLi32ELi2ELb1ELb1ELb1ELb0EPKfS0_fEv17rocblas_diagonal_iiT6_lPT7_lllS5_lllPT8_llli.has_indirect_call, 0
	.section	.AMDGPU.csdata,"",@progbits
; Kernel info:
; codeLenInByte = 3100
; TotalNumSgprs: 47
; NumVgprs: 66
; ScratchSize: 0
; MemoryBound: 0
; FloatMode: 240
; IeeeMode: 1
; LDSByteSize: 8192 bytes/workgroup (compile time only)
; SGPRBlocks: 0
; VGPRBlocks: 8
; NumSGPRsForWavesPerEU: 47
; NumVGPRsForWavesPerEU: 66
; Occupancy: 12
; WaveLimiterHint : 0
; COMPUTE_PGM_RSRC2:SCRATCH_EN: 0
; COMPUTE_PGM_RSRC2:USER_SGPR: 6
; COMPUTE_PGM_RSRC2:TRAP_HANDLER: 0
; COMPUTE_PGM_RSRC2:TGID_X_EN: 1
; COMPUTE_PGM_RSRC2:TGID_Y_EN: 1
; COMPUTE_PGM_RSRC2:TGID_Z_EN: 1
; COMPUTE_PGM_RSRC2:TIDIG_COMP_CNT: 1
	.section	.text._ZL30rocblas_trmm_outofplace_kernelIfLi32ELi2ELb1ELb1ELb1ELb0EfKffEv17rocblas_diagonal_iiT6_lPT7_lllS4_lllPT8_llli,"axG",@progbits,_ZL30rocblas_trmm_outofplace_kernelIfLi32ELi2ELb1ELb1ELb1ELb0EfKffEv17rocblas_diagonal_iiT6_lPT7_lllS4_lllPT8_llli,comdat
	.globl	_ZL30rocblas_trmm_outofplace_kernelIfLi32ELi2ELb1ELb1ELb1ELb0EfKffEv17rocblas_diagonal_iiT6_lPT7_lllS4_lllPT8_llli ; -- Begin function _ZL30rocblas_trmm_outofplace_kernelIfLi32ELi2ELb1ELb1ELb1ELb0EfKffEv17rocblas_diagonal_iiT6_lPT7_lllS4_lllPT8_llli
	.p2align	8
	.type	_ZL30rocblas_trmm_outofplace_kernelIfLi32ELi2ELb1ELb1ELb1ELb0EfKffEv17rocblas_diagonal_iiT6_lPT7_lllS4_lllPT8_llli,@function
_ZL30rocblas_trmm_outofplace_kernelIfLi32ELi2ELb1ELb1ELb1ELb0EfKffEv17rocblas_diagonal_iiT6_lPT7_lllS4_lllPT8_llli: ; @_ZL30rocblas_trmm_outofplace_kernelIfLi32ELi2ELb1ELb1ELb1ELb0EfKffEv17rocblas_diagonal_iiT6_lPT7_lllS4_lllPT8_llli
; %bb.0:
	s_load_dwordx4 s[28:31], s[4:5], 0x0
	s_waitcnt lgkmcnt(0)
	v_cmp_eq_f32_e64 s0, s31, 0
	s_and_b32 vcc_lo, exec_lo, s0
	s_cbranch_vccnz .LBB7_51
; %bb.1:
	s_add_i32 s0, s30, -1
	s_ashr_i32 s1, s0, 31
	s_lshr_b32 s1, s1, 27
	s_add_i32 s0, s0, s1
	s_ashr_i32 s33, s0, 5
	s_cmp_gt_i32 s7, s33
	s_cbranch_scc1 .LBB7_51
; %bb.2:
	s_clause 0x2
	s_load_dwordx16 s[12:27], s[4:5], 0x18
	s_load_dwordx8 s[36:43], s[4:5], 0x58
	s_load_dword s44, s[4:5], 0x84
	v_lshlrev_b32_e32 v2, 7, v1
	v_lshlrev_b32_e32 v34, 2, v0
	;; [unrolled: 1-line block ×3, first 2 shown]
	s_mov_b32 s10, s29
	v_mov_b32_e32 v35, 0
	v_add_nc_u32_e32 v37, 0x1000, v2
	v_add_nc_u32_e32 v36, v34, v2
	v_lshl_add_u32 v26, s7, 5, v1
	v_mov_b32_e32 v43, 1.0
	v_add_nc_u32_e32 v44, 0x400, v34
	v_add_nc_u32_e32 v38, v37, v34
	v_add_nc_u32_e32 v45, 0x800, v34
	v_add_nc_u32_e32 v46, 0xc00, v34
	s_waitcnt lgkmcnt(0)
	s_mul_i32 s1, s19, s8
	s_mul_hi_u32 s2, s18, s8
	s_mul_i32 s0, s18, s8
	s_add_i32 s1, s2, s1
	s_mul_i32 s2, s43, s8
	s_lshl_b64 s[4:5], s[0:1], 2
	s_mul_hi_u32 s1, s42, s8
	s_add_u32 s3, s12, s4
	s_addc_u32 s9, s13, s5
	s_lshl_b64 s[34:35], s[14:15], 2
	s_mul_i32 s0, s42, s8
	s_add_u32 s18, s3, s34
	s_addc_u32 s19, s9, s35
	s_add_i32 s1, s1, s2
	s_mul_i32 s3, s27, s8
	s_lshl_b64 s[0:1], s[0:1], 2
	s_add_u32 s2, s36, s0
	s_addc_u32 s9, s37, s1
	s_lshl_b64 s[0:1], s[38:39], 2
	s_mul_hi_u32 s39, s26, s8
	s_add_u32 s27, s2, s0
	s_addc_u32 s36, s9, s1
	s_lshl_b32 s37, s6, 5
	s_cmp_gt_i32 s6, -1
	v_add_nc_u32_e32 v10, s37, v0
	s_cselect_b32 s38, -1, 0
	s_cmpk_eq_i32 s28, 0x84
	s_mul_i32 s2, s26, s8
	s_cselect_b32 s26, -1, 0
	v_ashrrev_i32_e32 v11, 31, v10
	v_mul_lo_u32 v5, s17, v10
	v_mad_u64_u32 v[2:3], null, s16, v10, 0
	v_add_co_u32 v12, vcc_lo, v10, 16
	v_mul_lo_u32 v7, s16, v11
	v_add_co_ci_u32_e64 v13, null, 0, v11, vcc_lo
	v_sub_co_u32 v14, vcc_lo, v10, v1
	v_subrev_co_ci_u32_e64 v15, null, 0, v11, vcc_lo
	s_ashr_i32 s11, s29, 31
	v_add3_u32 v3, v3, v7, v5
	s_ashr_i32 s28, s30, 31
	v_lshlrev_b64 v[18:19], 2, v[10:11]
	s_add_u32 s14, s29, -16
	s_addc_u32 s15, s11, -1
	v_lshlrev_b64 v[2:3], 2, v[2:3]
	s_add_i32 s3, s39, s3
	v_add_nc_u32_e32 v4, 16, v10
	s_lshl_b64 s[8:9], s[2:3], 2
	v_cmp_le_i64_e64 s3, s[10:11], v[12:13]
	v_cmp_le_i32_e64 s0, s29, v10
	v_add_co_u32 v2, vcc_lo, s18, v2
	v_add_co_ci_u32_e64 v3, null, s19, v3, vcc_lo
	s_lshl_b64 s[18:19], s[22:23], 2
	v_add_co_u32 v39, vcc_lo, v2, v6
	v_add_co_ci_u32_e64 v40, null, 0, v3, vcc_lo
	v_add_co_u32 v16, vcc_lo, v14, 16
	v_add_co_ci_u32_e64 v17, null, 0, v15, vcc_lo
	s_add_u32 s6, s8, s18
	v_add_co_u32 v7, vcc_lo, v18, 64
	s_addc_u32 s8, s9, s19
	s_add_u32 s6, s20, s6
	v_add_co_ci_u32_e64 v8, null, 0, v19, vcc_lo
	s_addc_u32 s8, s21, s8
	s_lshl_b64 s[18:19], s[24:25], 2
	s_lshl_b32 s20, s44, 5
	s_add_u32 s4, s34, s4
	s_addc_u32 s5, s35, s5
	v_mul_lo_u32 v8, s16, v8
	v_mad_u64_u32 v[2:3], null, s16, v7, s[4:5]
	v_mul_lo_u32 v7, s17, v7
	v_add_co_u32 v22, s4, s6, v34
	v_add_co_ci_u32_e64 v23, null, s8, 0, s4
	v_add_co_u32 v20, vcc_lo, v14, -16
	v_add_co_ci_u32_e64 v21, null, -1, v15, vcc_lo
	v_add3_u32 v3, v7, v3, v8
	v_add_co_u32 v24, vcc_lo, v22, 64
	v_add_co_ci_u32_e64 v25, null, 0, v23, vcc_lo
	v_add_co_u32 v2, vcc_lo, v2, v6
	v_ashrrev_i32_e32 v5, 31, v4
	v_add_co_ci_u32_e64 v3, null, 0, v3, vcc_lo
	v_add_co_u32 v41, vcc_lo, s12, v2
	v_lshlrev_b64 v[28:29], 2, v[4:5]
	v_cmp_gt_i32_e64 s1, s29, v10
	v_cmp_gt_i32_e64 s2, s29, v4
	v_add_co_ci_u32_e64 v42, null, s13, v3, vcc_lo
	s_mov_b32 s21, s30
	s_branch .LBB7_4
.LBB7_3:                                ;   in Loop: Header=BB7_4 Depth=1
	s_or_b32 exec_lo, exec_lo, s4
	v_add_nc_u32_e32 v26, s20, v26
	s_add_i32 s7, s44, s7
	s_cmp_le_i32 s7, s33
	s_cbranch_scc0 .LBB7_51
.LBB7_4:                                ; =>This Loop Header: Depth=1
                                        ;     Child Loop BB7_7 Depth 2
	v_lshl_add_u32 v47, s7, 5, v1
	v_mov_b32_e32 v51, 0
	v_mov_b32_e32 v49, 0
	;; [unrolled: 1-line block ×4, first 2 shown]
	v_ashrrev_i32_e32 v50, 31, v47
	s_andn2_b32 vcc_lo, exec_lo, s38
	s_cbranch_vccnz .LBB7_43
; %bb.5:                                ;   in Loop: Header=BB7_4 Depth=1
	v_ashrrev_i32_e32 v27, 31, v26
	v_mad_u64_u32 v[30:31], null, s18, v26, v[24:25]
	v_mul_lo_u32 v4, s19, v26
	v_mov_b32_e32 v48, 0
	v_lshlrev_b64 v[2:3], 2, v[26:27]
	v_mul_lo_u32 v7, s18, v27
	v_mov_b32_e32 v27, 0
	v_mov_b32_e32 v49, 0
	v_mov_b32_e32 v51, 0
	s_mov_b64 s[12:13], 0
	v_add_co_u32 v5, vcc_lo, v2, 64
	v_add_co_ci_u32_e64 v6, null, 0, v3, vcc_lo
	v_sub_co_u32 v2, vcc_lo, s21, v47
	v_mul_lo_u32 v8, s25, v5
	v_mul_lo_u32 v6, s24, v6
	v_mad_u64_u32 v[32:33], null, s24, v5, v[22:23]
	v_sub_co_ci_u32_e64 v3, null, s28, v50, vcc_lo
	v_add3_u32 v31, v4, v31, v7
	s_mov_b64 s[16:17], 0
	v_cmp_lt_i64_e64 s4, 16, v[2:3]
	v_add3_u32 v33, v8, v33, v6
	v_cmp_lt_i64_e32 vcc_lo, 0, v[2:3]
	s_branch .LBB7_7
.LBB7_6:                                ;   in Loop: Header=BB7_7 Depth=2
	s_or_b32 exec_lo, exec_lo, s5
	s_waitcnt lgkmcnt(0)
	s_barrier
	buffer_gl0_inv
	ds_read_b128 v[52:55], v37
	ds_read_b128 v[56:59], v37 offset:16
	ds_read_b128 v[6:9], v37 offset:32
	;; [unrolled: 1-line block ×3, first 2 shown]
	ds_read2_b32 v[64:65], v34 offset1:16
	ds_read_b128 v[60:63], v37 offset:2048
	s_add_u32 s16, s16, 32
	s_addc_u32 s17, s17, 0
	s_sub_i32 s5, s16, 32
	s_add_u32 s12, s12, 0x80
	s_addc_u32 s13, s13, 0
	s_cmp_ge_i32 s5, s37
	s_waitcnt lgkmcnt(1)
	v_fmac_f32_e32 v51, v64, v52
	v_fmac_f32_e32 v49, v65, v52
	s_waitcnt lgkmcnt(0)
	v_fmac_f32_e32 v48, v64, v60
	v_fmac_f32_e32 v27, v65, v60
	ds_read2_b32 v[64:65], v34 offset0:32 offset1:48
	s_waitcnt lgkmcnt(0)
	v_fmac_f32_e32 v51, v64, v53
	v_fmac_f32_e32 v49, v65, v53
	ds_read2_b32 v[52:53], v34 offset0:64 offset1:80
	v_fmac_f32_e32 v48, v64, v61
	v_fmac_f32_e32 v27, v65, v61
	ds_read2_b32 v[60:61], v34 offset0:128 offset1:144
	s_waitcnt lgkmcnt(1)
	v_fmac_f32_e32 v51, v52, v54
	v_fmac_f32_e32 v49, v53, v54
	;; [unrolled: 1-line block ×4, first 2 shown]
	ds_read2_b32 v[52:53], v34 offset0:96 offset1:112
	s_waitcnt lgkmcnt(0)
	v_fmac_f32_e32 v51, v52, v55
	v_fmac_f32_e32 v49, v53, v55
	;; [unrolled: 1-line block ×4, first 2 shown]
	ds_read_b128 v[52:55], v37 offset:2064
	v_fmac_f32_e32 v51, v60, v56
	v_fmac_f32_e32 v49, v61, v56
	s_waitcnt lgkmcnt(0)
	v_fmac_f32_e32 v48, v60, v52
	v_fmac_f32_e32 v27, v61, v52
	ds_read2_b32 v[60:61], v34 offset0:160 offset1:176
	s_waitcnt lgkmcnt(0)
	v_fmac_f32_e32 v48, v60, v53
	v_fmac_f32_e32 v27, v61, v53
	ds_read2_b32 v[52:53], v34 offset0:192 offset1:208
	v_fmac_f32_e32 v51, v60, v57
	v_fmac_f32_e32 v49, v61, v57
	ds_read2_b32 v[56:57], v44 offset1:16
	s_waitcnt lgkmcnt(1)
	v_fmac_f32_e32 v51, v52, v58
	v_fmac_f32_e32 v49, v53, v58
	;; [unrolled: 1-line block ×4, first 2 shown]
	ds_read2_b32 v[52:53], v34 offset0:224 offset1:240
	s_waitcnt lgkmcnt(0)
	v_fmac_f32_e32 v51, v52, v59
	v_fmac_f32_e32 v49, v53, v59
	;; [unrolled: 1-line block ×4, first 2 shown]
	ds_read_b128 v[52:55], v37 offset:2080
	v_fmac_f32_e32 v51, v56, v6
	v_fmac_f32_e32 v49, v57, v6
	s_waitcnt lgkmcnt(0)
	v_fmac_f32_e32 v48, v56, v52
	v_fmac_f32_e32 v27, v57, v52
	ds_read2_b32 v[56:57], v44 offset0:32 offset1:48
	s_waitcnt lgkmcnt(0)
	v_fmac_f32_e32 v51, v56, v7
	v_fmac_f32_e32 v49, v57, v7
	ds_read2_b32 v[6:7], v44 offset0:64 offset1:80
	v_fmac_f32_e32 v48, v56, v53
	v_fmac_f32_e32 v27, v57, v53
	ds_read2_b32 v[52:53], v44 offset0:128 offset1:144
	s_waitcnt lgkmcnt(1)
	v_fmac_f32_e32 v51, v6, v8
	v_fmac_f32_e32 v49, v7, v8
	;; [unrolled: 1-line block ×4, first 2 shown]
	ds_read2_b32 v[6:7], v44 offset0:96 offset1:112
	s_waitcnt lgkmcnt(0)
	v_fmac_f32_e32 v51, v6, v9
	v_fmac_f32_e32 v49, v7, v9
	;; [unrolled: 1-line block ×4, first 2 shown]
	ds_read_b128 v[6:9], v37 offset:2096
	v_fmac_f32_e32 v51, v52, v2
	v_fmac_f32_e32 v49, v53, v2
	s_waitcnt lgkmcnt(0)
	v_fmac_f32_e32 v48, v52, v6
	v_fmac_f32_e32 v27, v53, v6
	ds_read2_b32 v[52:53], v44 offset0:160 offset1:176
	s_waitcnt lgkmcnt(0)
	v_fmac_f32_e32 v51, v52, v3
	v_fmac_f32_e32 v49, v53, v3
	ds_read2_b32 v[2:3], v44 offset0:192 offset1:208
	v_fmac_f32_e32 v48, v52, v7
	v_fmac_f32_e32 v27, v53, v7
	s_waitcnt lgkmcnt(0)
	v_fmac_f32_e32 v51, v2, v4
	v_fmac_f32_e32 v49, v3, v4
	;; [unrolled: 1-line block ×4, first 2 shown]
	ds_read2_b32 v[2:3], v44 offset0:224 offset1:240
	s_waitcnt lgkmcnt(0)
	v_fmac_f32_e32 v51, v2, v5
	v_fmac_f32_e32 v49, v3, v5
	;; [unrolled: 1-line block ×4, first 2 shown]
	ds_read_b128 v[2:5], v37 offset:64
	ds_read2_b32 v[52:53], v45 offset1:16
	ds_read_b128 v[6:9], v37 offset:2112
	s_waitcnt lgkmcnt(1)
	v_fmac_f32_e32 v51, v52, v2
	v_fmac_f32_e32 v49, v53, v2
	s_waitcnt lgkmcnt(0)
	v_fmac_f32_e32 v48, v52, v6
	v_fmac_f32_e32 v27, v53, v6
	ds_read2_b32 v[52:53], v45 offset0:32 offset1:48
	s_waitcnt lgkmcnt(0)
	v_fmac_f32_e32 v51, v52, v3
	v_fmac_f32_e32 v49, v53, v3
	ds_read2_b32 v[2:3], v45 offset0:64 offset1:80
	v_fmac_f32_e32 v48, v52, v7
	v_fmac_f32_e32 v27, v53, v7
	s_waitcnt lgkmcnt(0)
	v_fmac_f32_e32 v51, v2, v4
	v_fmac_f32_e32 v49, v3, v4
	;; [unrolled: 1-line block ×4, first 2 shown]
	ds_read2_b32 v[2:3], v45 offset0:96 offset1:112
	s_waitcnt lgkmcnt(0)
	v_fmac_f32_e32 v51, v2, v5
	v_fmac_f32_e32 v49, v3, v5
	;; [unrolled: 1-line block ×4, first 2 shown]
	ds_read_b128 v[2:5], v37 offset:80
	ds_read2_b32 v[52:53], v45 offset0:128 offset1:144
	ds_read_b128 v[6:9], v37 offset:2128
	s_waitcnt lgkmcnt(1)
	v_fmac_f32_e32 v51, v52, v2
	v_fmac_f32_e32 v49, v53, v2
	s_waitcnt lgkmcnt(0)
	v_fmac_f32_e32 v48, v52, v6
	v_fmac_f32_e32 v27, v53, v6
	ds_read2_b32 v[52:53], v45 offset0:160 offset1:176
	s_waitcnt lgkmcnt(0)
	v_fmac_f32_e32 v51, v52, v3
	v_fmac_f32_e32 v49, v53, v3
	ds_read2_b32 v[2:3], v45 offset0:192 offset1:208
	v_fmac_f32_e32 v48, v52, v7
	v_fmac_f32_e32 v27, v53, v7
	s_waitcnt lgkmcnt(0)
	v_fmac_f32_e32 v51, v2, v4
	v_fmac_f32_e32 v49, v3, v4
	;; [unrolled: 1-line block ×4, first 2 shown]
	ds_read2_b32 v[2:3], v45 offset0:224 offset1:240
	s_waitcnt lgkmcnt(0)
	v_fmac_f32_e32 v51, v2, v5
	v_fmac_f32_e32 v49, v3, v5
	;; [unrolled: 1-line block ×4, first 2 shown]
	ds_read_b128 v[2:5], v37 offset:96
	ds_read2_b32 v[52:53], v46 offset1:16
	ds_read_b128 v[6:9], v37 offset:2144
	s_waitcnt lgkmcnt(1)
	v_fmac_f32_e32 v51, v52, v2
	v_fmac_f32_e32 v49, v53, v2
	s_waitcnt lgkmcnt(0)
	v_fmac_f32_e32 v48, v52, v6
	v_fmac_f32_e32 v27, v53, v6
	ds_read2_b32 v[52:53], v46 offset0:32 offset1:48
	s_waitcnt lgkmcnt(0)
	v_fmac_f32_e32 v51, v52, v3
	v_fmac_f32_e32 v49, v53, v3
	ds_read2_b32 v[2:3], v46 offset0:64 offset1:80
	v_fmac_f32_e32 v48, v52, v7
	v_fmac_f32_e32 v27, v53, v7
	s_waitcnt lgkmcnt(0)
	v_fmac_f32_e32 v51, v2, v4
	v_fmac_f32_e32 v49, v3, v4
	;; [unrolled: 1-line block ×4, first 2 shown]
	ds_read2_b32 v[2:3], v46 offset0:96 offset1:112
	s_waitcnt lgkmcnt(0)
	v_fmac_f32_e32 v51, v2, v5
	v_fmac_f32_e32 v49, v3, v5
	;; [unrolled: 1-line block ×4, first 2 shown]
	ds_read_b128 v[2:5], v37 offset:112
	ds_read2_b32 v[52:53], v46 offset0:128 offset1:144
	ds_read_b128 v[6:9], v37 offset:2160
	s_waitcnt lgkmcnt(1)
	v_fmac_f32_e32 v51, v52, v2
	v_fmac_f32_e32 v49, v53, v2
	s_waitcnt lgkmcnt(0)
	v_fmac_f32_e32 v48, v52, v6
	v_fmac_f32_e32 v27, v53, v6
	ds_read2_b32 v[52:53], v46 offset0:160 offset1:176
	s_waitcnt lgkmcnt(0)
	v_fmac_f32_e32 v51, v52, v3
	v_fmac_f32_e32 v49, v53, v3
	ds_read2_b32 v[2:3], v46 offset0:192 offset1:208
	v_fmac_f32_e32 v48, v52, v7
	v_fmac_f32_e32 v27, v53, v7
	s_waitcnt lgkmcnt(0)
	v_fmac_f32_e32 v51, v2, v4
	v_fmac_f32_e32 v49, v3, v4
	;; [unrolled: 1-line block ×4, first 2 shown]
	ds_read2_b32 v[2:3], v46 offset0:224 offset1:240
	s_waitcnt lgkmcnt(0)
	s_barrier
	buffer_gl0_inv
	v_fmac_f32_e32 v51, v2, v5
	v_fmac_f32_e32 v49, v3, v5
	;; [unrolled: 1-line block ×4, first 2 shown]
	s_cbranch_scc1 .LBB7_43
.LBB7_7:                                ;   Parent Loop BB7_4 Depth=1
                                        ; =>  This Inner Loop Header: Depth=2
	v_add_co_u32 v4, s5, v1, s16
	v_add_co_ci_u32_e64 v5, null, 0, s17, s5
	v_cmp_eq_u64_e64 s8, s[16:17], v[14:15]
                                        ; implicit-def: $vgpr6
	v_cmp_le_i64_e64 s6, s[10:11], v[4:5]
	v_cmp_gt_i64_e64 s5, v[4:5], v[10:11]
	s_and_b32 s22, s26, s8
	v_add_co_u32 v2, s8, v39, s12
	v_add_co_ci_u32_e64 v3, null, s13, v40, s8
	s_or_b32 s9, s6, s5
	s_or_b32 s8, s9, s22
	s_nor_b32 s8, s0, s8
	s_and_saveexec_b32 s9, s8
	s_xor_b32 s8, exec_lo, s9
	s_cbranch_execz .LBB7_9
; %bb.8:                                ;   in Loop: Header=BB7_7 Depth=2
	global_load_dword v6, v[2:3], off
.LBB7_9:                                ;   in Loop: Header=BB7_7 Depth=2
	s_andn2_saveexec_b32 s8, s8
	s_cbranch_execz .LBB7_11
; %bb.10:                               ;   in Loop: Header=BB7_7 Depth=2
	s_waitcnt vmcnt(0)
	v_cndmask_b32_e64 v6, 0, 1.0, s22
.LBB7_11:                               ;   in Loop: Header=BB7_7 Depth=2
	s_or_b32 exec_lo, exec_lo, s8
	v_cmp_eq_u64_e64 s8, s[16:17], v[16:17]
	v_cmp_lt_i64_e64 s9, v[12:13], v[4:5]
	s_waitcnt vmcnt(0)
	ds_write_b32 v36, v6
	s_and_b32 s8, s26, s8
	s_or_b32 s6, s6, s9
	s_or_b32 s6, s6, s8
	s_nor_b32 s6, s3, s6
	s_and_saveexec_b32 s9, s6
	s_xor_b32 s9, exec_lo, s9
	s_cbranch_execz .LBB7_13
; %bb.12:                               ;   in Loop: Header=BB7_7 Depth=2
	v_add_co_u32 v6, s6, v41, s12
	v_add_co_ci_u32_e64 v7, null, s13, v42, s6
	global_load_dword v6, v[6:7], off
	s_waitcnt vmcnt(0)
	ds_write_b32 v36, v6 offset:64
.LBB7_13:                               ;   in Loop: Header=BB7_7 Depth=2
	s_andn2_saveexec_b32 s6, s9
	s_cbranch_execz .LBB7_19
; %bb.14:                               ;   in Loop: Header=BB7_7 Depth=2
	s_xor_b32 s8, s8, -1
	s_and_saveexec_b32 s9, s8
	s_xor_b32 s8, exec_lo, s9
; %bb.15:                               ;   in Loop: Header=BB7_7 Depth=2
	ds_write_b32 v36, v35 offset:64
; %bb.16:                               ;   in Loop: Header=BB7_7 Depth=2
	s_andn2_saveexec_b32 s8, s8
; %bb.17:                               ;   in Loop: Header=BB7_7 Depth=2
	ds_write_b32 v36, v43 offset:64
; %bb.18:                               ;   in Loop: Header=BB7_7 Depth=2
	s_or_b32 exec_lo, exec_lo, s8
.LBB7_19:                               ;   in Loop: Header=BB7_7 Depth=2
	s_or_b32 exec_lo, exec_lo, s6
	v_add_co_u32 v4, s6, v4, 16
	v_add_co_ci_u32_e64 v5, null, 0, v5, s6
	v_cmp_eq_u64_e64 s8, s[16:17], v[20:21]
	v_cmp_le_i64_e64 s6, s[10:11], v[4:5]
	v_cmp_gt_i64_e64 s9, v[4:5], v[10:11]
                                        ; implicit-def: $vgpr4
	s_and_b32 s8, s26, s8
	s_or_b32 s9, s6, s9
	s_or_b32 s9, s9, s8
	s_nor_b32 s9, s0, s9
	s_and_saveexec_b32 s23, s9
	s_xor_b32 s9, exec_lo, s23
	s_cbranch_execz .LBB7_21
; %bb.20:                               ;   in Loop: Header=BB7_7 Depth=2
	global_load_dword v4, v[2:3], off offset:64
.LBB7_21:                               ;   in Loop: Header=BB7_7 Depth=2
	s_andn2_saveexec_b32 s9, s9
	s_cbranch_execz .LBB7_23
; %bb.22:                               ;   in Loop: Header=BB7_7 Depth=2
	s_waitcnt vmcnt(0)
	v_cndmask_b32_e64 v4, 0, 1.0, s8
.LBB7_23:                               ;   in Loop: Header=BB7_7 Depth=2
	s_or_b32 exec_lo, exec_lo, s9
	s_or_b32 s5, s6, s5
	s_waitcnt vmcnt(0)
	ds_write_b32 v36, v4 offset:2048
	s_or_b32 s5, s5, s22
	s_nor_b32 s5, s3, s5
	s_and_saveexec_b32 s6, s5
	s_xor_b32 s6, exec_lo, s6
	s_cbranch_execz .LBB7_25
; %bb.24:                               ;   in Loop: Header=BB7_7 Depth=2
	v_add_co_u32 v2, s5, v41, s12
	v_add_co_ci_u32_e64 v3, null, s13, v42, s5
	global_load_dword v2, v[2:3], off offset:64
	s_waitcnt vmcnt(0)
	ds_write_b32 v36, v2 offset:2112
.LBB7_25:                               ;   in Loop: Header=BB7_7 Depth=2
	s_andn2_saveexec_b32 s5, s6
	s_cbranch_execz .LBB7_31
; %bb.26:                               ;   in Loop: Header=BB7_7 Depth=2
	s_xor_b32 s6, s22, -1
	s_and_saveexec_b32 s8, s6
	s_xor_b32 s6, exec_lo, s8
; %bb.27:                               ;   in Loop: Header=BB7_7 Depth=2
	ds_write_b32 v36, v35 offset:2112
; %bb.28:                               ;   in Loop: Header=BB7_7 Depth=2
	s_andn2_saveexec_b32 s6, s6
; %bb.29:                               ;   in Loop: Header=BB7_7 Depth=2
	ds_write_b32 v36, v43 offset:2112
; %bb.30:                               ;   in Loop: Header=BB7_7 Depth=2
	s_or_b32 exec_lo, exec_lo, s6
.LBB7_31:                               ;   in Loop: Header=BB7_7 Depth=2
	s_or_b32 exec_lo, exec_lo, s5
	v_add_co_u32 v4, s5, v0, s16
	v_add_co_ci_u32_e64 v5, null, 0, s17, s5
	v_add_co_u32 v2, s6, v30, s12
	v_add_co_ci_u32_e64 v3, null, s13, v31, s6
	v_cmp_gt_i64_e64 s5, s[10:11], v[4:5]
	v_mov_b32_e32 v6, 0
	s_and_b32 s8, vcc_lo, s5
	s_and_saveexec_b32 s6, s8
	s_cbranch_execz .LBB7_33
; %bb.32:                               ;   in Loop: Header=BB7_7 Depth=2
	global_load_dword v6, v[2:3], off offset:-64
.LBB7_33:                               ;   in Loop: Header=BB7_7 Depth=2
	s_or_b32 exec_lo, exec_lo, s6
	v_cmp_gt_i64_e64 s6, s[14:15], v[4:5]
	s_waitcnt vmcnt(0)
	ds_write_b32 v38, v6
	s_and_b32 s8, vcc_lo, s6
	s_xor_b32 s8, s8, -1
	s_and_saveexec_b32 s9, s8
	s_xor_b32 s8, exec_lo, s9
; %bb.34:                               ;   in Loop: Header=BB7_7 Depth=2
	ds_write_b32 v38, v35 offset:64
                                        ; implicit-def: $vgpr2_vgpr3
; %bb.35:                               ;   in Loop: Header=BB7_7 Depth=2
	s_andn2_saveexec_b32 s8, s8
	s_cbranch_execz .LBB7_37
; %bb.36:                               ;   in Loop: Header=BB7_7 Depth=2
	global_load_dword v2, v[2:3], off
	s_waitcnt vmcnt(0)
	ds_write_b32 v38, v2 offset:64
.LBB7_37:                               ;   in Loop: Header=BB7_7 Depth=2
	s_or_b32 exec_lo, exec_lo, s8
	v_add_co_u32 v2, s8, v32, s12
	v_add_co_ci_u32_e64 v3, null, s13, v33, s8
	v_mov_b32_e32 v4, 0
	s_and_b32 s8, s4, s5
	s_and_saveexec_b32 s5, s8
	s_cbranch_execz .LBB7_39
; %bb.38:                               ;   in Loop: Header=BB7_7 Depth=2
	global_load_dword v4, v[2:3], off
.LBB7_39:                               ;   in Loop: Header=BB7_7 Depth=2
	s_or_b32 exec_lo, exec_lo, s5
	s_and_b32 s5, s4, s6
	s_waitcnt vmcnt(0)
	ds_write_b32 v38, v4 offset:2048
	s_xor_b32 s5, s5, -1
	s_and_saveexec_b32 s6, s5
	s_xor_b32 s5, exec_lo, s6
; %bb.40:                               ;   in Loop: Header=BB7_7 Depth=2
	ds_write_b32 v38, v35 offset:2112
                                        ; implicit-def: $vgpr2_vgpr3
; %bb.41:                               ;   in Loop: Header=BB7_7 Depth=2
	s_andn2_saveexec_b32 s5, s5
	s_cbranch_execz .LBB7_6
; %bb.42:                               ;   in Loop: Header=BB7_7 Depth=2
	global_load_dword v2, v[2:3], off offset:64
	s_waitcnt vmcnt(0)
	ds_write_b32 v38, v2 offset:2112
	s_branch .LBB7_6
.LBB7_43:                               ;   in Loop: Header=BB7_4 Depth=1
	v_mul_lo_u32 v4, s41, v47
	v_mul_lo_u32 v5, s40, v50
	v_mad_u64_u32 v[2:3], null, s40, v47, 0
	v_cmp_gt_i32_e32 vcc_lo, s30, v47
	v_add3_u32 v3, v3, v5, v4
	v_lshlrev_b64 v[2:3], 2, v[2:3]
	v_add_co_u32 v2, s4, s27, v2
	v_add_co_ci_u32_e64 v3, null, s36, v3, s4
	s_and_b32 s4, s1, vcc_lo
	s_and_saveexec_b32 s5, s4
	s_cbranch_execz .LBB7_45
; %bb.44:                               ;   in Loop: Header=BB7_4 Depth=1
	v_add_co_u32 v4, s4, v2, v18
	v_add_co_ci_u32_e64 v5, null, v3, v19, s4
	global_load_dword v6, v[4:5], off
	s_waitcnt vmcnt(0)
	v_fmac_f32_e32 v6, s31, v51
	global_store_dword v[4:5], v6, off
.LBB7_45:                               ;   in Loop: Header=BB7_4 Depth=1
	s_or_b32 exec_lo, exec_lo, s5
	s_and_b32 s5, s2, vcc_lo
	s_and_saveexec_b32 s4, s5
	s_cbranch_execz .LBB7_47
; %bb.46:                               ;   in Loop: Header=BB7_4 Depth=1
	v_add_co_u32 v2, vcc_lo, v2, v28
	v_add_co_ci_u32_e64 v3, null, v3, v29, vcc_lo
	global_load_dword v4, v[2:3], off
	s_waitcnt vmcnt(0)
	v_fmac_f32_e32 v4, s31, v49
	global_store_dword v[2:3], v4, off
.LBB7_47:                               ;   in Loop: Header=BB7_4 Depth=1
	s_or_b32 exec_lo, exec_lo, s4
	v_add_nc_u32_e32 v4, 16, v47
	v_ashrrev_i32_e32 v5, 31, v4
	v_mul_lo_u32 v6, s41, v4
	v_mad_u64_u32 v[2:3], null, s40, v4, 0
	v_cmp_gt_i32_e32 vcc_lo, s30, v4
	v_mul_lo_u32 v5, s40, v5
	v_add3_u32 v3, v3, v5, v6
	v_lshlrev_b64 v[2:3], 2, v[2:3]
	v_add_co_u32 v2, s4, s27, v2
	v_add_co_ci_u32_e64 v3, null, s36, v3, s4
	s_and_b32 s4, s1, vcc_lo
	s_and_saveexec_b32 s5, s4
	s_cbranch_execz .LBB7_49
; %bb.48:                               ;   in Loop: Header=BB7_4 Depth=1
	v_add_co_u32 v4, s4, v2, v18
	v_add_co_ci_u32_e64 v5, null, v3, v19, s4
	global_load_dword v6, v[4:5], off
	s_waitcnt vmcnt(0)
	v_fmac_f32_e32 v6, s31, v48
	global_store_dword v[4:5], v6, off
.LBB7_49:                               ;   in Loop: Header=BB7_4 Depth=1
	s_or_b32 exec_lo, exec_lo, s5
	s_and_b32 s5, s2, vcc_lo
	s_and_saveexec_b32 s4, s5
	s_cbranch_execz .LBB7_3
; %bb.50:                               ;   in Loop: Header=BB7_4 Depth=1
	v_add_co_u32 v2, vcc_lo, v2, v28
	v_add_co_ci_u32_e64 v3, null, v3, v29, vcc_lo
	global_load_dword v4, v[2:3], off
	s_waitcnt vmcnt(0)
	v_fmac_f32_e32 v4, s31, v27
	global_store_dword v[2:3], v4, off
	s_branch .LBB7_3
.LBB7_51:
	s_endpgm
	.section	.rodata,"a",@progbits
	.p2align	6, 0x0
	.amdhsa_kernel _ZL30rocblas_trmm_outofplace_kernelIfLi32ELi2ELb1ELb1ELb1ELb0EfKffEv17rocblas_diagonal_iiT6_lPT7_lllS4_lllPT8_llli
		.amdhsa_group_segment_fixed_size 8192
		.amdhsa_private_segment_fixed_size 0
		.amdhsa_kernarg_size 384
		.amdhsa_user_sgpr_count 6
		.amdhsa_user_sgpr_private_segment_buffer 1
		.amdhsa_user_sgpr_dispatch_ptr 0
		.amdhsa_user_sgpr_queue_ptr 0
		.amdhsa_user_sgpr_kernarg_segment_ptr 1
		.amdhsa_user_sgpr_dispatch_id 0
		.amdhsa_user_sgpr_flat_scratch_init 0
		.amdhsa_user_sgpr_private_segment_size 0
		.amdhsa_wavefront_size32 1
		.amdhsa_uses_dynamic_stack 0
		.amdhsa_system_sgpr_private_segment_wavefront_offset 0
		.amdhsa_system_sgpr_workgroup_id_x 1
		.amdhsa_system_sgpr_workgroup_id_y 1
		.amdhsa_system_sgpr_workgroup_id_z 1
		.amdhsa_system_sgpr_workgroup_info 0
		.amdhsa_system_vgpr_workitem_id 1
		.amdhsa_next_free_vgpr 66
		.amdhsa_next_free_sgpr 45
		.amdhsa_reserve_vcc 1
		.amdhsa_reserve_flat_scratch 0
		.amdhsa_float_round_mode_32 0
		.amdhsa_float_round_mode_16_64 0
		.amdhsa_float_denorm_mode_32 3
		.amdhsa_float_denorm_mode_16_64 3
		.amdhsa_dx10_clamp 1
		.amdhsa_ieee_mode 1
		.amdhsa_fp16_overflow 0
		.amdhsa_workgroup_processor_mode 1
		.amdhsa_memory_ordered 1
		.amdhsa_forward_progress 1
		.amdhsa_shared_vgpr_count 0
		.amdhsa_exception_fp_ieee_invalid_op 0
		.amdhsa_exception_fp_denorm_src 0
		.amdhsa_exception_fp_ieee_div_zero 0
		.amdhsa_exception_fp_ieee_overflow 0
		.amdhsa_exception_fp_ieee_underflow 0
		.amdhsa_exception_fp_ieee_inexact 0
		.amdhsa_exception_int_div_zero 0
	.end_amdhsa_kernel
	.section	.text._ZL30rocblas_trmm_outofplace_kernelIfLi32ELi2ELb1ELb1ELb1ELb0EfKffEv17rocblas_diagonal_iiT6_lPT7_lllS4_lllPT8_llli,"axG",@progbits,_ZL30rocblas_trmm_outofplace_kernelIfLi32ELi2ELb1ELb1ELb1ELb0EfKffEv17rocblas_diagonal_iiT6_lPT7_lllS4_lllPT8_llli,comdat
.Lfunc_end7:
	.size	_ZL30rocblas_trmm_outofplace_kernelIfLi32ELi2ELb1ELb1ELb1ELb0EfKffEv17rocblas_diagonal_iiT6_lPT7_lllS4_lllPT8_llli, .Lfunc_end7-_ZL30rocblas_trmm_outofplace_kernelIfLi32ELi2ELb1ELb1ELb1ELb0EfKffEv17rocblas_diagonal_iiT6_lPT7_lllS4_lllPT8_llli
                                        ; -- End function
	.set _ZL30rocblas_trmm_outofplace_kernelIfLi32ELi2ELb1ELb1ELb1ELb0EfKffEv17rocblas_diagonal_iiT6_lPT7_lllS4_lllPT8_llli.num_vgpr, 66
	.set _ZL30rocblas_trmm_outofplace_kernelIfLi32ELi2ELb1ELb1ELb1ELb0EfKffEv17rocblas_diagonal_iiT6_lPT7_lllS4_lllPT8_llli.num_agpr, 0
	.set _ZL30rocblas_trmm_outofplace_kernelIfLi32ELi2ELb1ELb1ELb1ELb0EfKffEv17rocblas_diagonal_iiT6_lPT7_lllS4_lllPT8_llli.numbered_sgpr, 45
	.set _ZL30rocblas_trmm_outofplace_kernelIfLi32ELi2ELb1ELb1ELb1ELb0EfKffEv17rocblas_diagonal_iiT6_lPT7_lllS4_lllPT8_llli.num_named_barrier, 0
	.set _ZL30rocblas_trmm_outofplace_kernelIfLi32ELi2ELb1ELb1ELb1ELb0EfKffEv17rocblas_diagonal_iiT6_lPT7_lllS4_lllPT8_llli.private_seg_size, 0
	.set _ZL30rocblas_trmm_outofplace_kernelIfLi32ELi2ELb1ELb1ELb1ELb0EfKffEv17rocblas_diagonal_iiT6_lPT7_lllS4_lllPT8_llli.uses_vcc, 1
	.set _ZL30rocblas_trmm_outofplace_kernelIfLi32ELi2ELb1ELb1ELb1ELb0EfKffEv17rocblas_diagonal_iiT6_lPT7_lllS4_lllPT8_llli.uses_flat_scratch, 0
	.set _ZL30rocblas_trmm_outofplace_kernelIfLi32ELi2ELb1ELb1ELb1ELb0EfKffEv17rocblas_diagonal_iiT6_lPT7_lllS4_lllPT8_llli.has_dyn_sized_stack, 0
	.set _ZL30rocblas_trmm_outofplace_kernelIfLi32ELi2ELb1ELb1ELb1ELb0EfKffEv17rocblas_diagonal_iiT6_lPT7_lllS4_lllPT8_llli.has_recursion, 0
	.set _ZL30rocblas_trmm_outofplace_kernelIfLi32ELi2ELb1ELb1ELb1ELb0EfKffEv17rocblas_diagonal_iiT6_lPT7_lllS4_lllPT8_llli.has_indirect_call, 0
	.section	.AMDGPU.csdata,"",@progbits
; Kernel info:
; codeLenInByte = 3052
; TotalNumSgprs: 47
; NumVgprs: 66
; ScratchSize: 0
; MemoryBound: 0
; FloatMode: 240
; IeeeMode: 1
; LDSByteSize: 8192 bytes/workgroup (compile time only)
; SGPRBlocks: 0
; VGPRBlocks: 8
; NumSGPRsForWavesPerEU: 47
; NumVGPRsForWavesPerEU: 66
; Occupancy: 12
; WaveLimiterHint : 0
; COMPUTE_PGM_RSRC2:SCRATCH_EN: 0
; COMPUTE_PGM_RSRC2:USER_SGPR: 6
; COMPUTE_PGM_RSRC2:TRAP_HANDLER: 0
; COMPUTE_PGM_RSRC2:TGID_X_EN: 1
; COMPUTE_PGM_RSRC2:TGID_Y_EN: 1
; COMPUTE_PGM_RSRC2:TGID_Z_EN: 1
; COMPUTE_PGM_RSRC2:TIDIG_COMP_CNT: 1
	.section	.text._ZL30rocblas_trmm_outofplace_kernelIfLi32ELi2ELb1ELb0ELb1ELb1EPKfS0_fEv17rocblas_diagonal_iiT6_lPT7_lllS5_lllPT8_llli,"axG",@progbits,_ZL30rocblas_trmm_outofplace_kernelIfLi32ELi2ELb1ELb0ELb1ELb1EPKfS0_fEv17rocblas_diagonal_iiT6_lPT7_lllS5_lllPT8_llli,comdat
	.globl	_ZL30rocblas_trmm_outofplace_kernelIfLi32ELi2ELb1ELb0ELb1ELb1EPKfS0_fEv17rocblas_diagonal_iiT6_lPT7_lllS5_lllPT8_llli ; -- Begin function _ZL30rocblas_trmm_outofplace_kernelIfLi32ELi2ELb1ELb0ELb1ELb1EPKfS0_fEv17rocblas_diagonal_iiT6_lPT7_lllS5_lllPT8_llli
	.p2align	8
	.type	_ZL30rocblas_trmm_outofplace_kernelIfLi32ELi2ELb1ELb0ELb1ELb1EPKfS0_fEv17rocblas_diagonal_iiT6_lPT7_lllS5_lllPT8_llli,@function
_ZL30rocblas_trmm_outofplace_kernelIfLi32ELi2ELb1ELb0ELb1ELb1EPKfS0_fEv17rocblas_diagonal_iiT6_lPT7_lllS5_lllPT8_llli: ; @_ZL30rocblas_trmm_outofplace_kernelIfLi32ELi2ELb1ELb0ELb1ELb1EPKfS0_fEv17rocblas_diagonal_iiT6_lPT7_lllS5_lllPT8_llli
; %bb.0:
	s_load_dwordx16 s[12:27], s[4:5], 0x10
	s_waitcnt lgkmcnt(0)
	s_mul_i32 s0, s15, s8
	s_mul_hi_u32 s1, s14, s8
	s_add_i32 s1, s1, s0
	s_mul_i32 s0, s14, s8
	s_lshl_b64 s[0:1], s[0:1], 2
	s_add_u32 s0, s12, s0
	s_addc_u32 s1, s13, s1
	s_load_dword s33, s[0:1], 0x0
	s_waitcnt lgkmcnt(0)
	v_cmp_eq_f32_e64 s0, s33, 0
	s_and_b32 vcc_lo, exec_lo, s0
	s_cbranch_vccnz .LBB8_51
; %bb.1:
	s_load_dwordx4 s[12:15], s[4:5], 0x0
	s_waitcnt lgkmcnt(0)
	s_add_i32 s0, s14, -1
	s_ashr_i32 s1, s0, 31
	s_lshr_b32 s1, s1, 27
	s_add_i32 s0, s0, s1
	s_ashr_i32 s15, s0, 5
	s_cmp_gt_i32 s7, s15
	s_cbranch_scc1 .LBB8_51
; %bb.2:
	s_clause 0x1
	s_load_dwordx4 s[28:31], s[4:5], 0x70
	s_load_dwordx8 s[36:43], s[4:5], 0x50
	s_mul_i32 s1, s23, s8
	s_mul_hi_u32 s2, s22, s8
	s_mul_i32 s0, s22, s8
	s_add_i32 s1, s2, s1
	s_load_dword s44, s[4:5], 0x8c
	s_lshl_b64 s[22:23], s[0:1], 2
	v_lshlrev_b32_e32 v2, 7, v1
	s_add_u32 s0, s16, s22
	s_addc_u32 s1, s17, s23
	s_lshl_b64 s[34:35], s[18:19], 2
	v_lshlrev_b32_e32 v36, 2, v0
	s_add_u32 s3, s0, s34
	s_addc_u32 s4, s1, s35
	v_add_nc_u32_e32 v37, 0x1000, v2
	s_mov_b32 s10, s13
	v_add_nc_u32_e32 v38, v36, v2
	v_lshl_add_u32 v30, s7, 5, v1
	v_mov_b32_e32 v43, 0
	s_waitcnt lgkmcnt(0)
	s_mul_i32 s1, s31, s8
	s_mul_hi_u32 s2, s30, s8
	s_mul_i32 s0, s30, s8
	s_add_i32 s1, s2, s1
	v_mov_b32_e32 v44, 1.0
	s_lshl_b64 s[0:1], s[0:1], 2
	v_add_nc_u32_e32 v45, 0x400, v36
	s_add_u32 s2, s40, s0
	s_addc_u32 s5, s41, s1
	s_lshl_b64 s[0:1], s[42:43], 2
	v_add_nc_u32_e32 v46, 0x800, v36
	s_add_u32 s30, s2, s0
	s_addc_u32 s31, s5, s1
	s_lshl_b32 s0, s6, 5
	s_mul_hi_u32 s5, s38, s8
	v_add_nc_u32_e32 v10, s0, v0
	v_add_nc_u32_e32 v12, s0, v1
	s_sub_i32 s40, s13, s0
	v_add_nc_u32_e32 v0, v37, v36
	s_cmp_gt_i32 s40, 0
	v_ashrrev_i32_e32 v11, 31, v10
	v_mul_lo_u32 v4, s21, v10
	v_mad_u64_u32 v[2:3], null, s20, v10, 0
	v_ashrrev_i32_e32 v13, 31, v12
	v_mul_lo_u32 v5, s20, v11
	v_add_co_u32 v16, vcc_lo, v10, 16
	v_add_co_ci_u32_e64 v17, null, 0, v11, vcc_lo
	s_cselect_b32 s41, -1, 0
	s_cmpk_eq_i32 s12, 0x84
	v_lshlrev_b64 v[22:23], 2, v[10:11]
	v_add3_u32 v3, v3, v5, v4
	v_lshlrev_b64 v[4:5], 2, v[12:13]
	s_cselect_b32 s42, -1, 0
	s_ashr_i32 s11, s13, 31
	s_ashr_i32 s43, s14, 31
	v_lshlrev_b64 v[2:3], 2, v[2:3]
	s_add_u32 s18, s13, -16
	s_addc_u32 s19, s11, -1
	v_add_nc_u32_e32 v14, 16, v10
	v_cmp_le_i32_e64 s0, s13, v10
	v_cmp_gt_i32_e64 s1, s13, v10
	v_add_co_u32 v2, vcc_lo, s3, v2
	v_add_co_ci_u32_e64 v3, null, s4, v3, vcc_lo
	s_mul_i32 s4, s39, s8
	v_add_co_u32 v39, vcc_lo, v2, v4
	v_add_co_ci_u32_e64 v40, null, v3, v5, vcc_lo
	v_sub_co_u32 v18, vcc_lo, v10, v12
	v_sub_co_ci_u32_e64 v19, null, v11, v13, vcc_lo
	s_add_i32 s5, s5, s4
	s_mul_i32 s4, s38, s8
	s_lshl_b64 s[8:9], s[26:27], 2
	s_lshl_b64 s[4:5], s[4:5], 2
	v_add_co_u32 v20, vcc_lo, v18, 16
	v_add_co_ci_u32_e64 v21, null, 0, v19, vcc_lo
	s_add_u32 s4, s4, s8
	v_add_co_u32 v6, vcc_lo, v22, 64
	s_addc_u32 s5, s5, s9
	s_add_u32 s6, s24, s4
	v_add_co_ci_u32_e64 v7, null, 0, v23, vcc_lo
	v_cmp_gt_i32_e64 s2, s13, v14
	s_addc_u32 s8, s25, s5
	s_lshl_b64 s[12:13], s[36:37], 2
	s_lshl_b32 s24, s44, 5
	s_add_u32 s4, s34, s22
	s_addc_u32 s5, s35, s23
	v_mul_lo_u32 v7, s20, v7
	v_mad_u64_u32 v[2:3], null, s20, v6, s[4:5]
	v_mul_lo_u32 v6, s21, v6
	v_add_co_u32 v24, vcc_lo, v18, -16
	v_add_co_ci_u32_e64 v25, null, -1, v19, vcc_lo
	v_add_co_u32 v26, vcc_lo, s6, v22
	v_add_co_ci_u32_e64 v27, null, s8, v23, vcc_lo
	v_add3_u32 v3, v6, v3, v7
	v_add_co_u32 v28, vcc_lo, v26, 64
	v_add_co_ci_u32_e64 v29, null, 0, v27, vcc_lo
	v_add_co_u32 v2, vcc_lo, v2, v4
	v_add_co_ci_u32_e64 v3, null, v3, v5, vcc_lo
	v_cmp_le_i64_e64 s3, s[10:11], v[16:17]
	v_add_co_u32 v41, vcc_lo, s16, v2
	v_ashrrev_i32_e32 v15, 31, v14
	v_add_co_ci_u32_e64 v42, null, s17, v3, vcc_lo
	v_add_nc_u32_e32 v47, 0xc00, v36
	s_branch .LBB8_4
.LBB8_3:                                ;   in Loop: Header=BB8_4 Depth=1
	s_or_b32 exec_lo, exec_lo, s4
	v_add_nc_u32_e32 v30, s24, v30
	s_add_i32 s7, s44, s7
	s_cmp_le_i32 s7, s15
	s_cbranch_scc0 .LBB8_51
.LBB8_4:                                ; =>This Loop Header: Depth=1
                                        ;     Child Loop BB8_7 Depth 2
	v_lshl_add_u32 v48, s7, 5, v1
	v_mov_b32_e32 v52, 0
	v_mov_b32_e32 v50, 0
	;; [unrolled: 1-line block ×4, first 2 shown]
	v_ashrrev_i32_e32 v51, 31, v48
	s_andn2_b32 vcc_lo, exec_lo, s41
	s_cbranch_vccnz .LBB8_43
; %bb.5:                                ;   in Loop: Header=BB8_4 Depth=1
	v_ashrrev_i32_e32 v31, 31, v30
	v_mad_u64_u32 v[32:33], null, s12, v30, v[28:29]
	v_mul_lo_u32 v4, s13, v30
	v_mov_b32_e32 v49, 0
	v_lshlrev_b64 v[2:3], 2, v[30:31]
	v_mul_lo_u32 v7, s12, v31
	v_mov_b32_e32 v31, 0
	v_mov_b32_e32 v50, 0
	;; [unrolled: 1-line block ×3, first 2 shown]
	s_mov_b64 s[16:17], 0
	v_add_co_u32 v5, vcc_lo, v2, 64
	v_add_co_ci_u32_e64 v6, null, 0, v3, vcc_lo
	v_sub_co_u32 v2, vcc_lo, s14, v48
	v_mul_lo_u32 v8, s37, v5
	v_mul_lo_u32 v6, s36, v6
	v_mad_u64_u32 v[34:35], null, s36, v5, v[26:27]
	v_sub_co_ci_u32_e64 v3, null, s43, v51, vcc_lo
	v_add3_u32 v33, v4, v33, v7
	s_mov_b64 s[20:21], 0
	v_cmp_lt_i64_e64 s4, 16, v[2:3]
	v_add3_u32 v35, v8, v35, v6
	v_cmp_lt_i64_e32 vcc_lo, 0, v[2:3]
	s_branch .LBB8_7
.LBB8_6:                                ;   in Loop: Header=BB8_7 Depth=2
	s_or_b32 exec_lo, exec_lo, s5
	s_waitcnt lgkmcnt(0)
	s_barrier
	buffer_gl0_inv
	ds_read_b128 v[53:56], v37
	ds_read_b128 v[57:60], v37 offset:16
	ds_read_b128 v[6:9], v37 offset:32
	;; [unrolled: 1-line block ×3, first 2 shown]
	ds_read2_b32 v[65:66], v36 offset1:16
	ds_read_b128 v[61:64], v37 offset:2048
	s_add_u32 s20, s20, 32
	s_addc_u32 s21, s21, 0
	s_add_u32 s16, s16, 0x80
	s_addc_u32 s17, s17, 0
	s_cmp_ge_i32 s20, s40
	s_waitcnt lgkmcnt(1)
	v_fmac_f32_e32 v52, v65, v53
	v_fmac_f32_e32 v50, v66, v53
	s_waitcnt lgkmcnt(0)
	v_fmac_f32_e32 v49, v65, v61
	v_fmac_f32_e32 v31, v66, v61
	ds_read2_b32 v[65:66], v36 offset0:32 offset1:48
	s_waitcnt lgkmcnt(0)
	v_fmac_f32_e32 v52, v65, v54
	v_fmac_f32_e32 v50, v66, v54
	ds_read2_b32 v[53:54], v36 offset0:64 offset1:80
	v_fmac_f32_e32 v49, v65, v62
	v_fmac_f32_e32 v31, v66, v62
	ds_read2_b32 v[61:62], v36 offset0:128 offset1:144
	s_waitcnt lgkmcnt(1)
	v_fmac_f32_e32 v52, v53, v55
	v_fmac_f32_e32 v50, v54, v55
	;; [unrolled: 1-line block ×4, first 2 shown]
	ds_read2_b32 v[53:54], v36 offset0:96 offset1:112
	s_waitcnt lgkmcnt(0)
	v_fmac_f32_e32 v52, v53, v56
	v_fmac_f32_e32 v50, v54, v56
	;; [unrolled: 1-line block ×4, first 2 shown]
	ds_read_b128 v[53:56], v37 offset:2064
	v_fmac_f32_e32 v52, v61, v57
	v_fmac_f32_e32 v50, v62, v57
	s_waitcnt lgkmcnt(0)
	v_fmac_f32_e32 v49, v61, v53
	v_fmac_f32_e32 v31, v62, v53
	ds_read2_b32 v[61:62], v36 offset0:160 offset1:176
	s_waitcnt lgkmcnt(0)
	v_fmac_f32_e32 v49, v61, v54
	v_fmac_f32_e32 v31, v62, v54
	ds_read2_b32 v[53:54], v36 offset0:192 offset1:208
	v_fmac_f32_e32 v52, v61, v58
	v_fmac_f32_e32 v50, v62, v58
	ds_read2_b32 v[57:58], v45 offset1:16
	s_waitcnt lgkmcnt(1)
	v_fmac_f32_e32 v52, v53, v59
	v_fmac_f32_e32 v50, v54, v59
	;; [unrolled: 1-line block ×4, first 2 shown]
	ds_read2_b32 v[53:54], v36 offset0:224 offset1:240
	s_waitcnt lgkmcnt(0)
	v_fmac_f32_e32 v52, v53, v60
	v_fmac_f32_e32 v50, v54, v60
	;; [unrolled: 1-line block ×4, first 2 shown]
	ds_read_b128 v[53:56], v37 offset:2080
	v_fmac_f32_e32 v52, v57, v6
	v_fmac_f32_e32 v50, v58, v6
	s_waitcnt lgkmcnt(0)
	v_fmac_f32_e32 v49, v57, v53
	v_fmac_f32_e32 v31, v58, v53
	ds_read2_b32 v[57:58], v45 offset0:32 offset1:48
	s_waitcnt lgkmcnt(0)
	v_fmac_f32_e32 v52, v57, v7
	v_fmac_f32_e32 v50, v58, v7
	ds_read2_b32 v[6:7], v45 offset0:64 offset1:80
	v_fmac_f32_e32 v49, v57, v54
	v_fmac_f32_e32 v31, v58, v54
	ds_read2_b32 v[53:54], v45 offset0:128 offset1:144
	s_waitcnt lgkmcnt(1)
	v_fmac_f32_e32 v52, v6, v8
	v_fmac_f32_e32 v50, v7, v8
	;; [unrolled: 1-line block ×4, first 2 shown]
	ds_read2_b32 v[6:7], v45 offset0:96 offset1:112
	s_waitcnt lgkmcnt(0)
	v_fmac_f32_e32 v52, v6, v9
	v_fmac_f32_e32 v50, v7, v9
	;; [unrolled: 1-line block ×4, first 2 shown]
	ds_read_b128 v[6:9], v37 offset:2096
	v_fmac_f32_e32 v52, v53, v2
	v_fmac_f32_e32 v50, v54, v2
	s_waitcnt lgkmcnt(0)
	v_fmac_f32_e32 v49, v53, v6
	v_fmac_f32_e32 v31, v54, v6
	ds_read2_b32 v[53:54], v45 offset0:160 offset1:176
	s_waitcnt lgkmcnt(0)
	v_fmac_f32_e32 v52, v53, v3
	v_fmac_f32_e32 v50, v54, v3
	ds_read2_b32 v[2:3], v45 offset0:192 offset1:208
	v_fmac_f32_e32 v49, v53, v7
	v_fmac_f32_e32 v31, v54, v7
	s_waitcnt lgkmcnt(0)
	v_fmac_f32_e32 v52, v2, v4
	v_fmac_f32_e32 v50, v3, v4
	;; [unrolled: 1-line block ×4, first 2 shown]
	ds_read2_b32 v[2:3], v45 offset0:224 offset1:240
	s_waitcnt lgkmcnt(0)
	v_fmac_f32_e32 v52, v2, v5
	v_fmac_f32_e32 v50, v3, v5
	;; [unrolled: 1-line block ×4, first 2 shown]
	ds_read_b128 v[2:5], v37 offset:64
	ds_read2_b32 v[53:54], v46 offset1:16
	ds_read_b128 v[6:9], v37 offset:2112
	s_waitcnt lgkmcnt(1)
	v_fmac_f32_e32 v52, v53, v2
	v_fmac_f32_e32 v50, v54, v2
	s_waitcnt lgkmcnt(0)
	v_fmac_f32_e32 v49, v53, v6
	v_fmac_f32_e32 v31, v54, v6
	ds_read2_b32 v[53:54], v46 offset0:32 offset1:48
	s_waitcnt lgkmcnt(0)
	v_fmac_f32_e32 v52, v53, v3
	v_fmac_f32_e32 v50, v54, v3
	ds_read2_b32 v[2:3], v46 offset0:64 offset1:80
	v_fmac_f32_e32 v49, v53, v7
	v_fmac_f32_e32 v31, v54, v7
	s_waitcnt lgkmcnt(0)
	v_fmac_f32_e32 v52, v2, v4
	v_fmac_f32_e32 v50, v3, v4
	;; [unrolled: 1-line block ×4, first 2 shown]
	ds_read2_b32 v[2:3], v46 offset0:96 offset1:112
	s_waitcnt lgkmcnt(0)
	v_fmac_f32_e32 v52, v2, v5
	v_fmac_f32_e32 v50, v3, v5
	;; [unrolled: 1-line block ×4, first 2 shown]
	ds_read_b128 v[2:5], v37 offset:80
	ds_read2_b32 v[53:54], v46 offset0:128 offset1:144
	ds_read_b128 v[6:9], v37 offset:2128
	s_waitcnt lgkmcnt(1)
	v_fmac_f32_e32 v52, v53, v2
	v_fmac_f32_e32 v50, v54, v2
	s_waitcnt lgkmcnt(0)
	v_fmac_f32_e32 v49, v53, v6
	v_fmac_f32_e32 v31, v54, v6
	ds_read2_b32 v[53:54], v46 offset0:160 offset1:176
	s_waitcnt lgkmcnt(0)
	v_fmac_f32_e32 v52, v53, v3
	v_fmac_f32_e32 v50, v54, v3
	ds_read2_b32 v[2:3], v46 offset0:192 offset1:208
	v_fmac_f32_e32 v49, v53, v7
	v_fmac_f32_e32 v31, v54, v7
	s_waitcnt lgkmcnt(0)
	v_fmac_f32_e32 v52, v2, v4
	v_fmac_f32_e32 v50, v3, v4
	;; [unrolled: 1-line block ×4, first 2 shown]
	ds_read2_b32 v[2:3], v46 offset0:224 offset1:240
	s_waitcnt lgkmcnt(0)
	v_fmac_f32_e32 v52, v2, v5
	v_fmac_f32_e32 v50, v3, v5
	;; [unrolled: 1-line block ×4, first 2 shown]
	ds_read_b128 v[2:5], v37 offset:96
	ds_read2_b32 v[53:54], v47 offset1:16
	ds_read_b128 v[6:9], v37 offset:2144
	s_waitcnt lgkmcnt(1)
	v_fmac_f32_e32 v52, v53, v2
	v_fmac_f32_e32 v50, v54, v2
	s_waitcnt lgkmcnt(0)
	v_fmac_f32_e32 v49, v53, v6
	v_fmac_f32_e32 v31, v54, v6
	ds_read2_b32 v[53:54], v47 offset0:32 offset1:48
	s_waitcnt lgkmcnt(0)
	v_fmac_f32_e32 v52, v53, v3
	v_fmac_f32_e32 v50, v54, v3
	ds_read2_b32 v[2:3], v47 offset0:64 offset1:80
	v_fmac_f32_e32 v49, v53, v7
	v_fmac_f32_e32 v31, v54, v7
	s_waitcnt lgkmcnt(0)
	v_fmac_f32_e32 v52, v2, v4
	v_fmac_f32_e32 v50, v3, v4
	;; [unrolled: 1-line block ×4, first 2 shown]
	ds_read2_b32 v[2:3], v47 offset0:96 offset1:112
	s_waitcnt lgkmcnt(0)
	v_fmac_f32_e32 v52, v2, v5
	v_fmac_f32_e32 v50, v3, v5
	;; [unrolled: 1-line block ×4, first 2 shown]
	ds_read_b128 v[2:5], v37 offset:112
	ds_read2_b32 v[53:54], v47 offset0:128 offset1:144
	ds_read_b128 v[6:9], v37 offset:2160
	s_waitcnt lgkmcnt(1)
	v_fmac_f32_e32 v52, v53, v2
	v_fmac_f32_e32 v50, v54, v2
	s_waitcnt lgkmcnt(0)
	v_fmac_f32_e32 v49, v53, v6
	v_fmac_f32_e32 v31, v54, v6
	ds_read2_b32 v[53:54], v47 offset0:160 offset1:176
	s_waitcnt lgkmcnt(0)
	v_fmac_f32_e32 v52, v53, v3
	v_fmac_f32_e32 v50, v54, v3
	ds_read2_b32 v[2:3], v47 offset0:192 offset1:208
	v_fmac_f32_e32 v49, v53, v7
	v_fmac_f32_e32 v31, v54, v7
	s_waitcnt lgkmcnt(0)
	v_fmac_f32_e32 v52, v2, v4
	v_fmac_f32_e32 v50, v3, v4
	;; [unrolled: 1-line block ×4, first 2 shown]
	ds_read2_b32 v[2:3], v47 offset0:224 offset1:240
	s_waitcnt lgkmcnt(0)
	s_barrier
	buffer_gl0_inv
	v_fmac_f32_e32 v52, v2, v5
	v_fmac_f32_e32 v50, v3, v5
	;; [unrolled: 1-line block ×4, first 2 shown]
	s_cbranch_scc1 .LBB8_43
.LBB8_7:                                ;   Parent Loop BB8_4 Depth=1
                                        ; =>  This Inner Loop Header: Depth=2
	v_add_co_u32 v4, s5, v12, s20
	v_add_co_ci_u32_e64 v5, null, s21, v13, s5
	v_cmp_eq_u64_e64 s8, s[20:21], v[18:19]
                                        ; implicit-def: $vgpr6
	v_cmp_le_i64_e64 s6, s[10:11], v[4:5]
	v_cmp_lt_i64_e64 s5, v[4:5], v[10:11]
	s_and_b32 s22, s42, s8
	v_add_co_u32 v2, s8, v39, s16
	v_add_co_ci_u32_e64 v3, null, s17, v40, s8
	s_or_b32 s9, s6, s5
	s_or_b32 s8, s9, s22
	s_nor_b32 s8, s0, s8
	s_and_saveexec_b32 s9, s8
	s_xor_b32 s8, exec_lo, s9
	s_cbranch_execz .LBB8_9
; %bb.8:                                ;   in Loop: Header=BB8_7 Depth=2
	global_load_dword v6, v[2:3], off
.LBB8_9:                                ;   in Loop: Header=BB8_7 Depth=2
	s_andn2_saveexec_b32 s8, s8
	s_cbranch_execz .LBB8_11
; %bb.10:                               ;   in Loop: Header=BB8_7 Depth=2
	s_waitcnt vmcnt(0)
	v_cndmask_b32_e64 v6, 0, 1.0, s22
.LBB8_11:                               ;   in Loop: Header=BB8_7 Depth=2
	s_or_b32 exec_lo, exec_lo, s8
	v_cmp_eq_u64_e64 s8, s[20:21], v[20:21]
	v_cmp_gt_i64_e64 s9, v[16:17], v[4:5]
	s_waitcnt vmcnt(0)
	ds_write_b32 v38, v6
	s_and_b32 s8, s42, s8
	s_or_b32 s6, s6, s9
	s_or_b32 s6, s6, s8
	s_nor_b32 s6, s3, s6
	s_and_saveexec_b32 s9, s6
	s_xor_b32 s9, exec_lo, s9
	s_cbranch_execz .LBB8_13
; %bb.12:                               ;   in Loop: Header=BB8_7 Depth=2
	v_add_co_u32 v6, s6, v41, s16
	v_add_co_ci_u32_e64 v7, null, s17, v42, s6
	global_load_dword v6, v[6:7], off
	s_waitcnt vmcnt(0)
	ds_write_b32 v38, v6 offset:64
.LBB8_13:                               ;   in Loop: Header=BB8_7 Depth=2
	s_andn2_saveexec_b32 s6, s9
	s_cbranch_execz .LBB8_19
; %bb.14:                               ;   in Loop: Header=BB8_7 Depth=2
	s_xor_b32 s8, s8, -1
	s_and_saveexec_b32 s9, s8
	s_xor_b32 s8, exec_lo, s9
; %bb.15:                               ;   in Loop: Header=BB8_7 Depth=2
	ds_write_b32 v38, v43 offset:64
; %bb.16:                               ;   in Loop: Header=BB8_7 Depth=2
	s_andn2_saveexec_b32 s8, s8
; %bb.17:                               ;   in Loop: Header=BB8_7 Depth=2
	ds_write_b32 v38, v44 offset:64
; %bb.18:                               ;   in Loop: Header=BB8_7 Depth=2
	s_or_b32 exec_lo, exec_lo, s8
.LBB8_19:                               ;   in Loop: Header=BB8_7 Depth=2
	s_or_b32 exec_lo, exec_lo, s6
	v_add_co_u32 v4, s6, v4, 16
	v_add_co_ci_u32_e64 v5, null, 0, v5, s6
	v_cmp_eq_u64_e64 s8, s[20:21], v[24:25]
	v_cmp_le_i64_e64 s6, s[10:11], v[4:5]
	v_cmp_lt_i64_e64 s9, v[4:5], v[10:11]
                                        ; implicit-def: $vgpr4
	s_and_b32 s8, s42, s8
	s_or_b32 s9, s6, s9
	s_or_b32 s9, s9, s8
	s_nor_b32 s9, s0, s9
	s_and_saveexec_b32 s23, s9
	s_xor_b32 s9, exec_lo, s23
	s_cbranch_execz .LBB8_21
; %bb.20:                               ;   in Loop: Header=BB8_7 Depth=2
	global_load_dword v4, v[2:3], off offset:64
.LBB8_21:                               ;   in Loop: Header=BB8_7 Depth=2
	s_andn2_saveexec_b32 s9, s9
	s_cbranch_execz .LBB8_23
; %bb.22:                               ;   in Loop: Header=BB8_7 Depth=2
	s_waitcnt vmcnt(0)
	v_cndmask_b32_e64 v4, 0, 1.0, s8
.LBB8_23:                               ;   in Loop: Header=BB8_7 Depth=2
	s_or_b32 exec_lo, exec_lo, s9
	s_or_b32 s5, s6, s5
	s_waitcnt vmcnt(0)
	ds_write_b32 v38, v4 offset:2048
	s_or_b32 s5, s5, s22
	s_nor_b32 s5, s3, s5
	s_and_saveexec_b32 s6, s5
	s_xor_b32 s6, exec_lo, s6
	s_cbranch_execz .LBB8_25
; %bb.24:                               ;   in Loop: Header=BB8_7 Depth=2
	v_add_co_u32 v2, s5, v41, s16
	v_add_co_ci_u32_e64 v3, null, s17, v42, s5
	global_load_dword v2, v[2:3], off offset:64
	s_waitcnt vmcnt(0)
	ds_write_b32 v38, v2 offset:2112
.LBB8_25:                               ;   in Loop: Header=BB8_7 Depth=2
	s_andn2_saveexec_b32 s5, s6
	s_cbranch_execz .LBB8_31
; %bb.26:                               ;   in Loop: Header=BB8_7 Depth=2
	s_xor_b32 s6, s22, -1
	s_and_saveexec_b32 s8, s6
	s_xor_b32 s6, exec_lo, s8
; %bb.27:                               ;   in Loop: Header=BB8_7 Depth=2
	ds_write_b32 v38, v43 offset:2112
; %bb.28:                               ;   in Loop: Header=BB8_7 Depth=2
	s_andn2_saveexec_b32 s6, s6
; %bb.29:                               ;   in Loop: Header=BB8_7 Depth=2
	ds_write_b32 v38, v44 offset:2112
; %bb.30:                               ;   in Loop: Header=BB8_7 Depth=2
	s_or_b32 exec_lo, exec_lo, s6
.LBB8_31:                               ;   in Loop: Header=BB8_7 Depth=2
	s_or_b32 exec_lo, exec_lo, s5
	v_add_co_u32 v4, s5, v10, s20
	v_add_co_ci_u32_e64 v5, null, s21, v11, s5
	v_add_co_u32 v2, s6, v32, s16
	v_add_co_ci_u32_e64 v3, null, s17, v33, s6
	v_cmp_gt_i64_e64 s5, s[10:11], v[4:5]
	v_mov_b32_e32 v6, 0
	s_and_b32 s8, vcc_lo, s5
	s_and_saveexec_b32 s6, s8
	s_cbranch_execz .LBB8_33
; %bb.32:                               ;   in Loop: Header=BB8_7 Depth=2
	global_load_dword v6, v[2:3], off offset:-64
.LBB8_33:                               ;   in Loop: Header=BB8_7 Depth=2
	s_or_b32 exec_lo, exec_lo, s6
	v_cmp_gt_i64_e64 s6, s[18:19], v[4:5]
	s_waitcnt vmcnt(0)
	ds_write_b32 v0, v6
	s_and_b32 s8, vcc_lo, s6
	s_xor_b32 s8, s8, -1
	s_and_saveexec_b32 s9, s8
	s_xor_b32 s8, exec_lo, s9
; %bb.34:                               ;   in Loop: Header=BB8_7 Depth=2
	ds_write_b32 v0, v43 offset:64
                                        ; implicit-def: $vgpr2_vgpr3
; %bb.35:                               ;   in Loop: Header=BB8_7 Depth=2
	s_andn2_saveexec_b32 s8, s8
	s_cbranch_execz .LBB8_37
; %bb.36:                               ;   in Loop: Header=BB8_7 Depth=2
	global_load_dword v2, v[2:3], off
	s_waitcnt vmcnt(0)
	ds_write_b32 v0, v2 offset:64
.LBB8_37:                               ;   in Loop: Header=BB8_7 Depth=2
	s_or_b32 exec_lo, exec_lo, s8
	v_add_co_u32 v2, s8, v34, s16
	v_add_co_ci_u32_e64 v3, null, s17, v35, s8
	v_mov_b32_e32 v4, 0
	s_and_b32 s8, s4, s5
	s_and_saveexec_b32 s5, s8
	s_cbranch_execz .LBB8_39
; %bb.38:                               ;   in Loop: Header=BB8_7 Depth=2
	global_load_dword v4, v[2:3], off
.LBB8_39:                               ;   in Loop: Header=BB8_7 Depth=2
	s_or_b32 exec_lo, exec_lo, s5
	s_and_b32 s5, s4, s6
	s_waitcnt vmcnt(0)
	ds_write_b32 v0, v4 offset:2048
	s_xor_b32 s5, s5, -1
	s_and_saveexec_b32 s6, s5
	s_xor_b32 s5, exec_lo, s6
; %bb.40:                               ;   in Loop: Header=BB8_7 Depth=2
	ds_write_b32 v0, v43 offset:2112
                                        ; implicit-def: $vgpr2_vgpr3
; %bb.41:                               ;   in Loop: Header=BB8_7 Depth=2
	s_andn2_saveexec_b32 s5, s5
	s_cbranch_execz .LBB8_6
; %bb.42:                               ;   in Loop: Header=BB8_7 Depth=2
	global_load_dword v2, v[2:3], off offset:64
	s_waitcnt vmcnt(0)
	ds_write_b32 v0, v2 offset:2112
	s_branch .LBB8_6
.LBB8_43:                               ;   in Loop: Header=BB8_4 Depth=1
	v_mul_lo_u32 v4, s29, v48
	v_mul_lo_u32 v5, s28, v51
	v_mad_u64_u32 v[2:3], null, s28, v48, 0
	v_cmp_gt_i32_e32 vcc_lo, s14, v48
	v_add3_u32 v3, v3, v5, v4
	v_lshlrev_b64 v[2:3], 2, v[2:3]
	v_add_co_u32 v2, s4, s30, v2
	v_add_co_ci_u32_e64 v3, null, s31, v3, s4
	s_and_b32 s4, s1, vcc_lo
	s_and_saveexec_b32 s5, s4
	s_cbranch_execz .LBB8_45
; %bb.44:                               ;   in Loop: Header=BB8_4 Depth=1
	v_add_co_u32 v4, s4, v2, v22
	v_add_co_ci_u32_e64 v5, null, v3, v23, s4
	global_load_dword v6, v[4:5], off
	s_waitcnt vmcnt(0)
	v_fmac_f32_e32 v6, s33, v52
	global_store_dword v[4:5], v6, off
.LBB8_45:                               ;   in Loop: Header=BB8_4 Depth=1
	s_or_b32 exec_lo, exec_lo, s5
	s_and_b32 s5, s2, vcc_lo
	s_and_saveexec_b32 s4, s5
	s_cbranch_execz .LBB8_47
; %bb.46:                               ;   in Loop: Header=BB8_4 Depth=1
	v_lshlrev_b64 v[4:5], 2, v[14:15]
	v_add_co_u32 v2, vcc_lo, v2, v4
	v_add_co_ci_u32_e64 v3, null, v3, v5, vcc_lo
	global_load_dword v4, v[2:3], off
	s_waitcnt vmcnt(0)
	v_fmac_f32_e32 v4, s33, v50
	global_store_dword v[2:3], v4, off
.LBB8_47:                               ;   in Loop: Header=BB8_4 Depth=1
	s_or_b32 exec_lo, exec_lo, s4
	v_add_nc_u32_e32 v4, 16, v48
	v_ashrrev_i32_e32 v5, 31, v4
	v_mul_lo_u32 v6, s29, v4
	v_mad_u64_u32 v[2:3], null, s28, v4, 0
	v_cmp_gt_i32_e32 vcc_lo, s14, v4
	v_mul_lo_u32 v5, s28, v5
	v_add3_u32 v3, v3, v5, v6
	v_lshlrev_b64 v[2:3], 2, v[2:3]
	v_add_co_u32 v2, s4, s30, v2
	v_add_co_ci_u32_e64 v3, null, s31, v3, s4
	s_and_b32 s4, s1, vcc_lo
	s_and_saveexec_b32 s5, s4
	s_cbranch_execz .LBB8_49
; %bb.48:                               ;   in Loop: Header=BB8_4 Depth=1
	v_add_co_u32 v4, s4, v2, v22
	v_add_co_ci_u32_e64 v5, null, v3, v23, s4
	global_load_dword v6, v[4:5], off
	s_waitcnt vmcnt(0)
	v_fmac_f32_e32 v6, s33, v49
	global_store_dword v[4:5], v6, off
.LBB8_49:                               ;   in Loop: Header=BB8_4 Depth=1
	s_or_b32 exec_lo, exec_lo, s5
	s_and_b32 s5, s2, vcc_lo
	s_and_saveexec_b32 s4, s5
	s_cbranch_execz .LBB8_3
; %bb.50:                               ;   in Loop: Header=BB8_4 Depth=1
	v_lshlrev_b64 v[4:5], 2, v[14:15]
	v_add_co_u32 v2, vcc_lo, v2, v4
	v_add_co_ci_u32_e64 v3, null, v3, v5, vcc_lo
	global_load_dword v4, v[2:3], off
	s_waitcnt vmcnt(0)
	v_fmac_f32_e32 v4, s33, v31
	global_store_dword v[2:3], v4, off
	s_branch .LBB8_3
.LBB8_51:
	s_endpgm
	.section	.rodata,"a",@progbits
	.p2align	6, 0x0
	.amdhsa_kernel _ZL30rocblas_trmm_outofplace_kernelIfLi32ELi2ELb1ELb0ELb1ELb1EPKfS0_fEv17rocblas_diagonal_iiT6_lPT7_lllS5_lllPT8_llli
		.amdhsa_group_segment_fixed_size 8192
		.amdhsa_private_segment_fixed_size 0
		.amdhsa_kernarg_size 392
		.amdhsa_user_sgpr_count 6
		.amdhsa_user_sgpr_private_segment_buffer 1
		.amdhsa_user_sgpr_dispatch_ptr 0
		.amdhsa_user_sgpr_queue_ptr 0
		.amdhsa_user_sgpr_kernarg_segment_ptr 1
		.amdhsa_user_sgpr_dispatch_id 0
		.amdhsa_user_sgpr_flat_scratch_init 0
		.amdhsa_user_sgpr_private_segment_size 0
		.amdhsa_wavefront_size32 1
		.amdhsa_uses_dynamic_stack 0
		.amdhsa_system_sgpr_private_segment_wavefront_offset 0
		.amdhsa_system_sgpr_workgroup_id_x 1
		.amdhsa_system_sgpr_workgroup_id_y 1
		.amdhsa_system_sgpr_workgroup_id_z 1
		.amdhsa_system_sgpr_workgroup_info 0
		.amdhsa_system_vgpr_workitem_id 1
		.amdhsa_next_free_vgpr 67
		.amdhsa_next_free_sgpr 45
		.amdhsa_reserve_vcc 1
		.amdhsa_reserve_flat_scratch 0
		.amdhsa_float_round_mode_32 0
		.amdhsa_float_round_mode_16_64 0
		.amdhsa_float_denorm_mode_32 3
		.amdhsa_float_denorm_mode_16_64 3
		.amdhsa_dx10_clamp 1
		.amdhsa_ieee_mode 1
		.amdhsa_fp16_overflow 0
		.amdhsa_workgroup_processor_mode 1
		.amdhsa_memory_ordered 1
		.amdhsa_forward_progress 1
		.amdhsa_shared_vgpr_count 0
		.amdhsa_exception_fp_ieee_invalid_op 0
		.amdhsa_exception_fp_denorm_src 0
		.amdhsa_exception_fp_ieee_div_zero 0
		.amdhsa_exception_fp_ieee_overflow 0
		.amdhsa_exception_fp_ieee_underflow 0
		.amdhsa_exception_fp_ieee_inexact 0
		.amdhsa_exception_int_div_zero 0
	.end_amdhsa_kernel
	.section	.text._ZL30rocblas_trmm_outofplace_kernelIfLi32ELi2ELb1ELb0ELb1ELb1EPKfS0_fEv17rocblas_diagonal_iiT6_lPT7_lllS5_lllPT8_llli,"axG",@progbits,_ZL30rocblas_trmm_outofplace_kernelIfLi32ELi2ELb1ELb0ELb1ELb1EPKfS0_fEv17rocblas_diagonal_iiT6_lPT7_lllS5_lllPT8_llli,comdat
.Lfunc_end8:
	.size	_ZL30rocblas_trmm_outofplace_kernelIfLi32ELi2ELb1ELb0ELb1ELb1EPKfS0_fEv17rocblas_diagonal_iiT6_lPT7_lllS5_lllPT8_llli, .Lfunc_end8-_ZL30rocblas_trmm_outofplace_kernelIfLi32ELi2ELb1ELb0ELb1ELb1EPKfS0_fEv17rocblas_diagonal_iiT6_lPT7_lllS5_lllPT8_llli
                                        ; -- End function
	.set _ZL30rocblas_trmm_outofplace_kernelIfLi32ELi2ELb1ELb0ELb1ELb1EPKfS0_fEv17rocblas_diagonal_iiT6_lPT7_lllS5_lllPT8_llli.num_vgpr, 67
	.set _ZL30rocblas_trmm_outofplace_kernelIfLi32ELi2ELb1ELb0ELb1ELb1EPKfS0_fEv17rocblas_diagonal_iiT6_lPT7_lllS5_lllPT8_llli.num_agpr, 0
	.set _ZL30rocblas_trmm_outofplace_kernelIfLi32ELi2ELb1ELb0ELb1ELb1EPKfS0_fEv17rocblas_diagonal_iiT6_lPT7_lllS5_lllPT8_llli.numbered_sgpr, 45
	.set _ZL30rocblas_trmm_outofplace_kernelIfLi32ELi2ELb1ELb0ELb1ELb1EPKfS0_fEv17rocblas_diagonal_iiT6_lPT7_lllS5_lllPT8_llli.num_named_barrier, 0
	.set _ZL30rocblas_trmm_outofplace_kernelIfLi32ELi2ELb1ELb0ELb1ELb1EPKfS0_fEv17rocblas_diagonal_iiT6_lPT7_lllS5_lllPT8_llli.private_seg_size, 0
	.set _ZL30rocblas_trmm_outofplace_kernelIfLi32ELi2ELb1ELb0ELb1ELb1EPKfS0_fEv17rocblas_diagonal_iiT6_lPT7_lllS5_lllPT8_llli.uses_vcc, 1
	.set _ZL30rocblas_trmm_outofplace_kernelIfLi32ELi2ELb1ELb0ELb1ELb1EPKfS0_fEv17rocblas_diagonal_iiT6_lPT7_lllS5_lllPT8_llli.uses_flat_scratch, 0
	.set _ZL30rocblas_trmm_outofplace_kernelIfLi32ELi2ELb1ELb0ELb1ELb1EPKfS0_fEv17rocblas_diagonal_iiT6_lPT7_lllS5_lllPT8_llli.has_dyn_sized_stack, 0
	.set _ZL30rocblas_trmm_outofplace_kernelIfLi32ELi2ELb1ELb0ELb1ELb1EPKfS0_fEv17rocblas_diagonal_iiT6_lPT7_lllS5_lllPT8_llli.has_recursion, 0
	.set _ZL30rocblas_trmm_outofplace_kernelIfLi32ELi2ELb1ELb0ELb1ELb1EPKfS0_fEv17rocblas_diagonal_iiT6_lPT7_lllS5_lllPT8_llli.has_indirect_call, 0
	.section	.AMDGPU.csdata,"",@progbits
; Kernel info:
; codeLenInByte = 3120
; TotalNumSgprs: 47
; NumVgprs: 67
; ScratchSize: 0
; MemoryBound: 0
; FloatMode: 240
; IeeeMode: 1
; LDSByteSize: 8192 bytes/workgroup (compile time only)
; SGPRBlocks: 0
; VGPRBlocks: 8
; NumSGPRsForWavesPerEU: 47
; NumVGPRsForWavesPerEU: 67
; Occupancy: 12
; WaveLimiterHint : 0
; COMPUTE_PGM_RSRC2:SCRATCH_EN: 0
; COMPUTE_PGM_RSRC2:USER_SGPR: 6
; COMPUTE_PGM_RSRC2:TRAP_HANDLER: 0
; COMPUTE_PGM_RSRC2:TGID_X_EN: 1
; COMPUTE_PGM_RSRC2:TGID_Y_EN: 1
; COMPUTE_PGM_RSRC2:TGID_Z_EN: 1
; COMPUTE_PGM_RSRC2:TIDIG_COMP_CNT: 1
	.section	.text._ZL30rocblas_trmm_outofplace_kernelIfLi32ELi2ELb1ELb0ELb1ELb1EfKffEv17rocblas_diagonal_iiT6_lPT7_lllS4_lllPT8_llli,"axG",@progbits,_ZL30rocblas_trmm_outofplace_kernelIfLi32ELi2ELb1ELb0ELb1ELb1EfKffEv17rocblas_diagonal_iiT6_lPT7_lllS4_lllPT8_llli,comdat
	.globl	_ZL30rocblas_trmm_outofplace_kernelIfLi32ELi2ELb1ELb0ELb1ELb1EfKffEv17rocblas_diagonal_iiT6_lPT7_lllS4_lllPT8_llli ; -- Begin function _ZL30rocblas_trmm_outofplace_kernelIfLi32ELi2ELb1ELb0ELb1ELb1EfKffEv17rocblas_diagonal_iiT6_lPT7_lllS4_lllPT8_llli
	.p2align	8
	.type	_ZL30rocblas_trmm_outofplace_kernelIfLi32ELi2ELb1ELb0ELb1ELb1EfKffEv17rocblas_diagonal_iiT6_lPT7_lllS4_lllPT8_llli,@function
_ZL30rocblas_trmm_outofplace_kernelIfLi32ELi2ELb1ELb0ELb1ELb1EfKffEv17rocblas_diagonal_iiT6_lPT7_lllS4_lllPT8_llli: ; @_ZL30rocblas_trmm_outofplace_kernelIfLi32ELi2ELb1ELb0ELb1ELb1EfKffEv17rocblas_diagonal_iiT6_lPT7_lllS4_lllPT8_llli
; %bb.0:
	s_load_dwordx4 s[28:31], s[4:5], 0x0
	s_waitcnt lgkmcnt(0)
	v_cmp_eq_f32_e64 s0, s31, 0
	s_and_b32 vcc_lo, exec_lo, s0
	s_cbranch_vccnz .LBB9_51
; %bb.1:
	s_add_i32 s0, s30, -1
	s_ashr_i32 s1, s0, 31
	s_lshr_b32 s1, s1, 27
	s_add_i32 s0, s0, s1
	s_ashr_i32 s33, s0, 5
	s_cmp_gt_i32 s7, s33
	s_cbranch_scc1 .LBB9_51
; %bb.2:
	s_clause 0x2
	s_load_dwordx16 s[12:27], s[4:5], 0x18
	s_load_dwordx8 s[36:43], s[4:5], 0x58
	s_load_dword s44, s[4:5], 0x84
	v_lshlrev_b32_e32 v2, 7, v1
	v_lshlrev_b32_e32 v36, 2, v0
	s_mov_b32 s10, s29
	v_lshl_add_u32 v30, s7, 5, v1
	v_mov_b32_e32 v43, 0
	v_add_nc_u32_e32 v37, 0x1000, v2
	v_add_nc_u32_e32 v38, v36, v2
	v_mov_b32_e32 v44, 1.0
	v_add_nc_u32_e32 v45, 0x400, v36
	v_add_nc_u32_e32 v46, 0x800, v36
	;; [unrolled: 1-line block ×4, first 2 shown]
	s_waitcnt lgkmcnt(0)
	s_mul_i32 s1, s19, s8
	s_mul_hi_u32 s2, s18, s8
	s_mul_i32 s0, s18, s8
	s_add_i32 s1, s2, s1
	s_mul_i32 s2, s43, s8
	s_lshl_b64 s[4:5], s[0:1], 2
	s_mul_hi_u32 s1, s42, s8
	s_add_u32 s3, s12, s4
	s_addc_u32 s9, s13, s5
	s_lshl_b64 s[34:35], s[14:15], 2
	s_mul_i32 s0, s42, s8
	s_add_u32 s3, s3, s34
	s_addc_u32 s18, s9, s35
	s_add_i32 s1, s1, s2
	s_mul_i32 s19, s27, s8
	s_lshl_b64 s[0:1], s[0:1], 2
	s_add_u32 s2, s36, s0
	s_addc_u32 s9, s37, s1
	s_lshl_b64 s[0:1], s[38:39], 2
	s_add_u32 s27, s2, s0
	s_addc_u32 s36, s9, s1
	s_lshl_b32 s0, s6, 5
	s_mul_hi_u32 s2, s26, s8
	v_add_nc_u32_e32 v10, s0, v0
	v_add_nc_u32_e32 v12, s0, v1
	s_sub_i32 s37, s29, s0
	s_mul_i32 s8, s26, s8
	s_cmp_gt_i32 s37, 0
	v_ashrrev_i32_e32 v11, 31, v10
	v_mul_lo_u32 v0, s17, v10
	v_mad_u64_u32 v[2:3], null, s16, v10, 0
	v_ashrrev_i32_e32 v13, 31, v12
	v_mul_lo_u32 v4, s16, v11
	v_add_co_u32 v16, vcc_lo, v10, 16
	v_add_co_ci_u32_e64 v17, null, 0, v11, vcc_lo
	s_cselect_b32 s26, -1, 0
	s_cmpk_eq_i32 s28, 0x84
	v_lshlrev_b64 v[22:23], 2, v[10:11]
	v_add3_u32 v3, v3, v4, v0
	v_lshlrev_b64 v[4:5], 2, v[12:13]
	s_cselect_b32 s28, -1, 0
	s_ashr_i32 s11, s29, 31
	s_ashr_i32 s38, s30, 31
	v_lshlrev_b64 v[2:3], 2, v[2:3]
	s_add_u32 s14, s29, -16
	s_addc_u32 s15, s11, -1
	s_add_i32 s9, s2, s19
	v_add_nc_u32_e32 v14, 16, v10
	s_lshl_b64 s[8:9], s[8:9], 2
	v_add_co_u32 v0, vcc_lo, s3, v2
	v_add_co_ci_u32_e64 v2, null, s18, v3, vcc_lo
	s_lshl_b64 s[18:19], s[22:23], 2
	v_add_co_u32 v0, vcc_lo, v0, v4
	v_add_co_ci_u32_e64 v40, null, v2, v5, vcc_lo
	v_sub_co_u32 v18, vcc_lo, v10, v12
	v_sub_co_ci_u32_e64 v19, null, v11, v13, vcc_lo
	s_add_u32 s6, s8, s18
	v_add_co_u32 v20, vcc_lo, v18, 16
	v_add_co_ci_u32_e64 v21, null, 0, v19, vcc_lo
	v_add_co_u32 v6, vcc_lo, v22, 64
	s_addc_u32 s8, s9, s19
	s_add_u32 s6, s20, s6
	v_add_co_ci_u32_e64 v7, null, 0, v23, vcc_lo
	s_addc_u32 s8, s21, s8
	s_lshl_b64 s[18:19], s[24:25], 2
	s_lshl_b32 s20, s44, 5
	s_add_u32 s4, s34, s4
	s_addc_u32 s5, s35, s5
	v_mul_lo_u32 v7, s16, v7
	v_mad_u64_u32 v[2:3], null, s16, v6, s[4:5]
	v_mul_lo_u32 v6, s17, v6
	v_add_co_u32 v24, vcc_lo, v18, -16
	v_add_co_ci_u32_e64 v25, null, -1, v19, vcc_lo
	v_add_co_u32 v26, vcc_lo, s6, v22
	v_add_co_ci_u32_e64 v27, null, s8, v23, vcc_lo
	v_add3_u32 v3, v6, v3, v7
	v_add_co_u32 v28, vcc_lo, v26, 64
	v_add_co_ci_u32_e64 v29, null, 0, v27, vcc_lo
	v_add_co_u32 v2, vcc_lo, v2, v4
	v_add_co_ci_u32_e64 v3, null, v3, v5, vcc_lo
	v_cmp_le_i64_e64 s3, s[10:11], v[16:17]
	v_add_co_u32 v41, vcc_lo, s12, v2
	v_cmp_le_i32_e64 s0, s29, v10
	v_cmp_gt_i32_e64 s1, s29, v10
	v_cmp_gt_i32_e64 s2, s29, v14
	v_ashrrev_i32_e32 v15, 31, v14
	v_add_co_ci_u32_e64 v42, null, s13, v3, vcc_lo
	s_mov_b32 s21, s30
	s_branch .LBB9_4
.LBB9_3:                                ;   in Loop: Header=BB9_4 Depth=1
	s_or_b32 exec_lo, exec_lo, s4
	v_add_nc_u32_e32 v30, s20, v30
	s_add_i32 s7, s44, s7
	s_cmp_le_i32 s7, s33
	s_cbranch_scc0 .LBB9_51
.LBB9_4:                                ; =>This Loop Header: Depth=1
                                        ;     Child Loop BB9_7 Depth 2
	v_lshl_add_u32 v48, s7, 5, v1
	v_mov_b32_e32 v52, 0
	v_mov_b32_e32 v50, 0
	;; [unrolled: 1-line block ×4, first 2 shown]
	v_ashrrev_i32_e32 v51, 31, v48
	s_andn2_b32 vcc_lo, exec_lo, s26
	s_cbranch_vccnz .LBB9_43
; %bb.5:                                ;   in Loop: Header=BB9_4 Depth=1
	v_ashrrev_i32_e32 v31, 31, v30
	v_mad_u64_u32 v[32:33], null, s18, v30, v[28:29]
	v_mul_lo_u32 v4, s19, v30
	v_mov_b32_e32 v49, 0
	v_lshlrev_b64 v[2:3], 2, v[30:31]
	v_mul_lo_u32 v7, s18, v31
	v_mov_b32_e32 v31, 0
	v_mov_b32_e32 v50, 0
	;; [unrolled: 1-line block ×3, first 2 shown]
	s_mov_b64 s[12:13], 0
	v_add_co_u32 v5, vcc_lo, v2, 64
	v_add_co_ci_u32_e64 v6, null, 0, v3, vcc_lo
	v_sub_co_u32 v2, vcc_lo, s21, v48
	v_mul_lo_u32 v8, s25, v5
	v_mul_lo_u32 v6, s24, v6
	v_mad_u64_u32 v[34:35], null, s24, v5, v[26:27]
	v_sub_co_ci_u32_e64 v3, null, s38, v51, vcc_lo
	v_add3_u32 v33, v4, v33, v7
	s_mov_b64 s[16:17], 0
	v_cmp_lt_i64_e64 s4, 16, v[2:3]
	v_add3_u32 v35, v8, v35, v6
	v_cmp_lt_i64_e32 vcc_lo, 0, v[2:3]
	s_branch .LBB9_7
.LBB9_6:                                ;   in Loop: Header=BB9_7 Depth=2
	s_or_b32 exec_lo, exec_lo, s5
	s_waitcnt lgkmcnt(0)
	s_barrier
	buffer_gl0_inv
	ds_read_b128 v[53:56], v37
	ds_read_b128 v[57:60], v37 offset:16
	ds_read_b128 v[6:9], v37 offset:32
	;; [unrolled: 1-line block ×3, first 2 shown]
	ds_read2_b32 v[65:66], v36 offset1:16
	ds_read_b128 v[61:64], v37 offset:2048
	s_add_u32 s16, s16, 32
	s_addc_u32 s17, s17, 0
	s_add_u32 s12, s12, 0x80
	s_addc_u32 s13, s13, 0
	s_cmp_ge_i32 s16, s37
	s_waitcnt lgkmcnt(1)
	v_fmac_f32_e32 v52, v65, v53
	v_fmac_f32_e32 v50, v66, v53
	s_waitcnt lgkmcnt(0)
	v_fmac_f32_e32 v49, v65, v61
	v_fmac_f32_e32 v31, v66, v61
	ds_read2_b32 v[65:66], v36 offset0:32 offset1:48
	s_waitcnt lgkmcnt(0)
	v_fmac_f32_e32 v52, v65, v54
	v_fmac_f32_e32 v50, v66, v54
	ds_read2_b32 v[53:54], v36 offset0:64 offset1:80
	v_fmac_f32_e32 v49, v65, v62
	v_fmac_f32_e32 v31, v66, v62
	ds_read2_b32 v[61:62], v36 offset0:128 offset1:144
	s_waitcnt lgkmcnt(1)
	v_fmac_f32_e32 v52, v53, v55
	v_fmac_f32_e32 v50, v54, v55
	;; [unrolled: 1-line block ×4, first 2 shown]
	ds_read2_b32 v[53:54], v36 offset0:96 offset1:112
	s_waitcnt lgkmcnt(0)
	v_fmac_f32_e32 v52, v53, v56
	v_fmac_f32_e32 v50, v54, v56
	;; [unrolled: 1-line block ×4, first 2 shown]
	ds_read_b128 v[53:56], v37 offset:2064
	v_fmac_f32_e32 v52, v61, v57
	v_fmac_f32_e32 v50, v62, v57
	s_waitcnt lgkmcnt(0)
	v_fmac_f32_e32 v49, v61, v53
	v_fmac_f32_e32 v31, v62, v53
	ds_read2_b32 v[61:62], v36 offset0:160 offset1:176
	s_waitcnt lgkmcnt(0)
	v_fmac_f32_e32 v49, v61, v54
	v_fmac_f32_e32 v31, v62, v54
	ds_read2_b32 v[53:54], v36 offset0:192 offset1:208
	v_fmac_f32_e32 v52, v61, v58
	v_fmac_f32_e32 v50, v62, v58
	ds_read2_b32 v[57:58], v45 offset1:16
	s_waitcnt lgkmcnt(1)
	v_fmac_f32_e32 v52, v53, v59
	v_fmac_f32_e32 v50, v54, v59
	;; [unrolled: 1-line block ×4, first 2 shown]
	ds_read2_b32 v[53:54], v36 offset0:224 offset1:240
	s_waitcnt lgkmcnt(0)
	v_fmac_f32_e32 v52, v53, v60
	v_fmac_f32_e32 v50, v54, v60
	;; [unrolled: 1-line block ×4, first 2 shown]
	ds_read_b128 v[53:56], v37 offset:2080
	v_fmac_f32_e32 v52, v57, v6
	v_fmac_f32_e32 v50, v58, v6
	s_waitcnt lgkmcnt(0)
	v_fmac_f32_e32 v49, v57, v53
	v_fmac_f32_e32 v31, v58, v53
	ds_read2_b32 v[57:58], v45 offset0:32 offset1:48
	s_waitcnt lgkmcnt(0)
	v_fmac_f32_e32 v52, v57, v7
	v_fmac_f32_e32 v50, v58, v7
	ds_read2_b32 v[6:7], v45 offset0:64 offset1:80
	v_fmac_f32_e32 v49, v57, v54
	v_fmac_f32_e32 v31, v58, v54
	ds_read2_b32 v[53:54], v45 offset0:128 offset1:144
	s_waitcnt lgkmcnt(1)
	v_fmac_f32_e32 v52, v6, v8
	v_fmac_f32_e32 v50, v7, v8
	;; [unrolled: 1-line block ×4, first 2 shown]
	ds_read2_b32 v[6:7], v45 offset0:96 offset1:112
	s_waitcnt lgkmcnt(0)
	v_fmac_f32_e32 v52, v6, v9
	v_fmac_f32_e32 v50, v7, v9
	;; [unrolled: 1-line block ×4, first 2 shown]
	ds_read_b128 v[6:9], v37 offset:2096
	v_fmac_f32_e32 v52, v53, v2
	v_fmac_f32_e32 v50, v54, v2
	s_waitcnt lgkmcnt(0)
	v_fmac_f32_e32 v49, v53, v6
	v_fmac_f32_e32 v31, v54, v6
	ds_read2_b32 v[53:54], v45 offset0:160 offset1:176
	s_waitcnt lgkmcnt(0)
	v_fmac_f32_e32 v52, v53, v3
	v_fmac_f32_e32 v50, v54, v3
	ds_read2_b32 v[2:3], v45 offset0:192 offset1:208
	v_fmac_f32_e32 v49, v53, v7
	v_fmac_f32_e32 v31, v54, v7
	s_waitcnt lgkmcnt(0)
	v_fmac_f32_e32 v52, v2, v4
	v_fmac_f32_e32 v50, v3, v4
	;; [unrolled: 1-line block ×4, first 2 shown]
	ds_read2_b32 v[2:3], v45 offset0:224 offset1:240
	s_waitcnt lgkmcnt(0)
	v_fmac_f32_e32 v52, v2, v5
	v_fmac_f32_e32 v50, v3, v5
	;; [unrolled: 1-line block ×4, first 2 shown]
	ds_read_b128 v[2:5], v37 offset:64
	ds_read2_b32 v[53:54], v46 offset1:16
	ds_read_b128 v[6:9], v37 offset:2112
	s_waitcnt lgkmcnt(1)
	v_fmac_f32_e32 v52, v53, v2
	v_fmac_f32_e32 v50, v54, v2
	s_waitcnt lgkmcnt(0)
	v_fmac_f32_e32 v49, v53, v6
	v_fmac_f32_e32 v31, v54, v6
	ds_read2_b32 v[53:54], v46 offset0:32 offset1:48
	s_waitcnt lgkmcnt(0)
	v_fmac_f32_e32 v52, v53, v3
	v_fmac_f32_e32 v50, v54, v3
	ds_read2_b32 v[2:3], v46 offset0:64 offset1:80
	v_fmac_f32_e32 v49, v53, v7
	v_fmac_f32_e32 v31, v54, v7
	s_waitcnt lgkmcnt(0)
	v_fmac_f32_e32 v52, v2, v4
	v_fmac_f32_e32 v50, v3, v4
	;; [unrolled: 1-line block ×4, first 2 shown]
	ds_read2_b32 v[2:3], v46 offset0:96 offset1:112
	s_waitcnt lgkmcnt(0)
	v_fmac_f32_e32 v52, v2, v5
	v_fmac_f32_e32 v50, v3, v5
	;; [unrolled: 1-line block ×4, first 2 shown]
	ds_read_b128 v[2:5], v37 offset:80
	ds_read2_b32 v[53:54], v46 offset0:128 offset1:144
	ds_read_b128 v[6:9], v37 offset:2128
	s_waitcnt lgkmcnt(1)
	v_fmac_f32_e32 v52, v53, v2
	v_fmac_f32_e32 v50, v54, v2
	s_waitcnt lgkmcnt(0)
	v_fmac_f32_e32 v49, v53, v6
	v_fmac_f32_e32 v31, v54, v6
	ds_read2_b32 v[53:54], v46 offset0:160 offset1:176
	s_waitcnt lgkmcnt(0)
	v_fmac_f32_e32 v52, v53, v3
	v_fmac_f32_e32 v50, v54, v3
	ds_read2_b32 v[2:3], v46 offset0:192 offset1:208
	v_fmac_f32_e32 v49, v53, v7
	v_fmac_f32_e32 v31, v54, v7
	s_waitcnt lgkmcnt(0)
	v_fmac_f32_e32 v52, v2, v4
	v_fmac_f32_e32 v50, v3, v4
	;; [unrolled: 1-line block ×4, first 2 shown]
	ds_read2_b32 v[2:3], v46 offset0:224 offset1:240
	s_waitcnt lgkmcnt(0)
	v_fmac_f32_e32 v52, v2, v5
	v_fmac_f32_e32 v50, v3, v5
	;; [unrolled: 1-line block ×4, first 2 shown]
	ds_read_b128 v[2:5], v37 offset:96
	ds_read2_b32 v[53:54], v47 offset1:16
	ds_read_b128 v[6:9], v37 offset:2144
	s_waitcnt lgkmcnt(1)
	v_fmac_f32_e32 v52, v53, v2
	v_fmac_f32_e32 v50, v54, v2
	s_waitcnt lgkmcnt(0)
	v_fmac_f32_e32 v49, v53, v6
	v_fmac_f32_e32 v31, v54, v6
	ds_read2_b32 v[53:54], v47 offset0:32 offset1:48
	s_waitcnt lgkmcnt(0)
	v_fmac_f32_e32 v52, v53, v3
	v_fmac_f32_e32 v50, v54, v3
	ds_read2_b32 v[2:3], v47 offset0:64 offset1:80
	v_fmac_f32_e32 v49, v53, v7
	v_fmac_f32_e32 v31, v54, v7
	s_waitcnt lgkmcnt(0)
	v_fmac_f32_e32 v52, v2, v4
	v_fmac_f32_e32 v50, v3, v4
	;; [unrolled: 1-line block ×4, first 2 shown]
	ds_read2_b32 v[2:3], v47 offset0:96 offset1:112
	s_waitcnt lgkmcnt(0)
	v_fmac_f32_e32 v52, v2, v5
	v_fmac_f32_e32 v50, v3, v5
	;; [unrolled: 1-line block ×4, first 2 shown]
	ds_read_b128 v[2:5], v37 offset:112
	ds_read2_b32 v[53:54], v47 offset0:128 offset1:144
	ds_read_b128 v[6:9], v37 offset:2160
	s_waitcnt lgkmcnt(1)
	v_fmac_f32_e32 v52, v53, v2
	v_fmac_f32_e32 v50, v54, v2
	s_waitcnt lgkmcnt(0)
	v_fmac_f32_e32 v49, v53, v6
	v_fmac_f32_e32 v31, v54, v6
	ds_read2_b32 v[53:54], v47 offset0:160 offset1:176
	s_waitcnt lgkmcnt(0)
	v_fmac_f32_e32 v52, v53, v3
	v_fmac_f32_e32 v50, v54, v3
	ds_read2_b32 v[2:3], v47 offset0:192 offset1:208
	v_fmac_f32_e32 v49, v53, v7
	v_fmac_f32_e32 v31, v54, v7
	s_waitcnt lgkmcnt(0)
	v_fmac_f32_e32 v52, v2, v4
	v_fmac_f32_e32 v50, v3, v4
	;; [unrolled: 1-line block ×4, first 2 shown]
	ds_read2_b32 v[2:3], v47 offset0:224 offset1:240
	s_waitcnt lgkmcnt(0)
	s_barrier
	buffer_gl0_inv
	v_fmac_f32_e32 v52, v2, v5
	v_fmac_f32_e32 v50, v3, v5
	v_fmac_f32_e32 v49, v2, v9
	v_fmac_f32_e32 v31, v3, v9
	s_cbranch_scc1 .LBB9_43
.LBB9_7:                                ;   Parent Loop BB9_4 Depth=1
                                        ; =>  This Inner Loop Header: Depth=2
	v_add_co_u32 v4, s5, v12, s16
	v_add_co_ci_u32_e64 v5, null, s17, v13, s5
	v_cmp_eq_u64_e64 s8, s[16:17], v[18:19]
                                        ; implicit-def: $vgpr6
	v_cmp_le_i64_e64 s6, s[10:11], v[4:5]
	v_cmp_lt_i64_e64 s5, v[4:5], v[10:11]
	s_and_b32 s22, s28, s8
	v_add_co_u32 v2, s8, v0, s12
	v_add_co_ci_u32_e64 v3, null, s13, v40, s8
	s_or_b32 s9, s6, s5
	s_or_b32 s8, s9, s22
	s_nor_b32 s8, s0, s8
	s_and_saveexec_b32 s9, s8
	s_xor_b32 s8, exec_lo, s9
	s_cbranch_execz .LBB9_9
; %bb.8:                                ;   in Loop: Header=BB9_7 Depth=2
	global_load_dword v6, v[2:3], off
.LBB9_9:                                ;   in Loop: Header=BB9_7 Depth=2
	s_andn2_saveexec_b32 s8, s8
	s_cbranch_execz .LBB9_11
; %bb.10:                               ;   in Loop: Header=BB9_7 Depth=2
	s_waitcnt vmcnt(0)
	v_cndmask_b32_e64 v6, 0, 1.0, s22
.LBB9_11:                               ;   in Loop: Header=BB9_7 Depth=2
	s_or_b32 exec_lo, exec_lo, s8
	v_cmp_eq_u64_e64 s8, s[16:17], v[20:21]
	v_cmp_gt_i64_e64 s9, v[16:17], v[4:5]
	s_waitcnt vmcnt(0)
	ds_write_b32 v38, v6
	s_and_b32 s8, s28, s8
	s_or_b32 s6, s6, s9
	s_or_b32 s6, s6, s8
	s_nor_b32 s6, s3, s6
	s_and_saveexec_b32 s9, s6
	s_xor_b32 s9, exec_lo, s9
	s_cbranch_execz .LBB9_13
; %bb.12:                               ;   in Loop: Header=BB9_7 Depth=2
	v_add_co_u32 v6, s6, v41, s12
	v_add_co_ci_u32_e64 v7, null, s13, v42, s6
	global_load_dword v6, v[6:7], off
	s_waitcnt vmcnt(0)
	ds_write_b32 v38, v6 offset:64
.LBB9_13:                               ;   in Loop: Header=BB9_7 Depth=2
	s_andn2_saveexec_b32 s6, s9
	s_cbranch_execz .LBB9_19
; %bb.14:                               ;   in Loop: Header=BB9_7 Depth=2
	s_xor_b32 s8, s8, -1
	s_and_saveexec_b32 s9, s8
	s_xor_b32 s8, exec_lo, s9
; %bb.15:                               ;   in Loop: Header=BB9_7 Depth=2
	ds_write_b32 v38, v43 offset:64
; %bb.16:                               ;   in Loop: Header=BB9_7 Depth=2
	s_andn2_saveexec_b32 s8, s8
; %bb.17:                               ;   in Loop: Header=BB9_7 Depth=2
	ds_write_b32 v38, v44 offset:64
; %bb.18:                               ;   in Loop: Header=BB9_7 Depth=2
	s_or_b32 exec_lo, exec_lo, s8
.LBB9_19:                               ;   in Loop: Header=BB9_7 Depth=2
	s_or_b32 exec_lo, exec_lo, s6
	v_add_co_u32 v4, s6, v4, 16
	v_add_co_ci_u32_e64 v5, null, 0, v5, s6
	v_cmp_eq_u64_e64 s8, s[16:17], v[24:25]
	v_cmp_le_i64_e64 s6, s[10:11], v[4:5]
	v_cmp_lt_i64_e64 s9, v[4:5], v[10:11]
                                        ; implicit-def: $vgpr4
	s_and_b32 s8, s28, s8
	s_or_b32 s9, s6, s9
	s_or_b32 s9, s9, s8
	s_nor_b32 s9, s0, s9
	s_and_saveexec_b32 s23, s9
	s_xor_b32 s9, exec_lo, s23
	s_cbranch_execz .LBB9_21
; %bb.20:                               ;   in Loop: Header=BB9_7 Depth=2
	global_load_dword v4, v[2:3], off offset:64
.LBB9_21:                               ;   in Loop: Header=BB9_7 Depth=2
	s_andn2_saveexec_b32 s9, s9
	s_cbranch_execz .LBB9_23
; %bb.22:                               ;   in Loop: Header=BB9_7 Depth=2
	s_waitcnt vmcnt(0)
	v_cndmask_b32_e64 v4, 0, 1.0, s8
.LBB9_23:                               ;   in Loop: Header=BB9_7 Depth=2
	s_or_b32 exec_lo, exec_lo, s9
	s_or_b32 s5, s6, s5
	s_waitcnt vmcnt(0)
	ds_write_b32 v38, v4 offset:2048
	s_or_b32 s5, s5, s22
	s_nor_b32 s5, s3, s5
	s_and_saveexec_b32 s6, s5
	s_xor_b32 s6, exec_lo, s6
	s_cbranch_execz .LBB9_25
; %bb.24:                               ;   in Loop: Header=BB9_7 Depth=2
	v_add_co_u32 v2, s5, v41, s12
	v_add_co_ci_u32_e64 v3, null, s13, v42, s5
	global_load_dword v2, v[2:3], off offset:64
	s_waitcnt vmcnt(0)
	ds_write_b32 v38, v2 offset:2112
.LBB9_25:                               ;   in Loop: Header=BB9_7 Depth=2
	s_andn2_saveexec_b32 s5, s6
	s_cbranch_execz .LBB9_31
; %bb.26:                               ;   in Loop: Header=BB9_7 Depth=2
	s_xor_b32 s6, s22, -1
	s_and_saveexec_b32 s8, s6
	s_xor_b32 s6, exec_lo, s8
; %bb.27:                               ;   in Loop: Header=BB9_7 Depth=2
	ds_write_b32 v38, v43 offset:2112
; %bb.28:                               ;   in Loop: Header=BB9_7 Depth=2
	s_andn2_saveexec_b32 s6, s6
; %bb.29:                               ;   in Loop: Header=BB9_7 Depth=2
	ds_write_b32 v38, v44 offset:2112
; %bb.30:                               ;   in Loop: Header=BB9_7 Depth=2
	s_or_b32 exec_lo, exec_lo, s6
.LBB9_31:                               ;   in Loop: Header=BB9_7 Depth=2
	s_or_b32 exec_lo, exec_lo, s5
	v_add_co_u32 v4, s5, v10, s16
	v_add_co_ci_u32_e64 v5, null, s17, v11, s5
	v_add_co_u32 v2, s6, v32, s12
	v_add_co_ci_u32_e64 v3, null, s13, v33, s6
	v_cmp_gt_i64_e64 s5, s[10:11], v[4:5]
	v_mov_b32_e32 v6, 0
	s_and_b32 s8, vcc_lo, s5
	s_and_saveexec_b32 s6, s8
	s_cbranch_execz .LBB9_33
; %bb.32:                               ;   in Loop: Header=BB9_7 Depth=2
	global_load_dword v6, v[2:3], off offset:-64
.LBB9_33:                               ;   in Loop: Header=BB9_7 Depth=2
	s_or_b32 exec_lo, exec_lo, s6
	v_cmp_gt_i64_e64 s6, s[14:15], v[4:5]
	s_waitcnt vmcnt(0)
	ds_write_b32 v39, v6
	s_and_b32 s8, vcc_lo, s6
	s_xor_b32 s8, s8, -1
	s_and_saveexec_b32 s9, s8
	s_xor_b32 s8, exec_lo, s9
; %bb.34:                               ;   in Loop: Header=BB9_7 Depth=2
	ds_write_b32 v39, v43 offset:64
                                        ; implicit-def: $vgpr2_vgpr3
; %bb.35:                               ;   in Loop: Header=BB9_7 Depth=2
	s_andn2_saveexec_b32 s8, s8
	s_cbranch_execz .LBB9_37
; %bb.36:                               ;   in Loop: Header=BB9_7 Depth=2
	global_load_dword v2, v[2:3], off
	s_waitcnt vmcnt(0)
	ds_write_b32 v39, v2 offset:64
.LBB9_37:                               ;   in Loop: Header=BB9_7 Depth=2
	s_or_b32 exec_lo, exec_lo, s8
	v_add_co_u32 v2, s8, v34, s12
	v_add_co_ci_u32_e64 v3, null, s13, v35, s8
	v_mov_b32_e32 v4, 0
	s_and_b32 s8, s4, s5
	s_and_saveexec_b32 s5, s8
	s_cbranch_execz .LBB9_39
; %bb.38:                               ;   in Loop: Header=BB9_7 Depth=2
	global_load_dword v4, v[2:3], off
.LBB9_39:                               ;   in Loop: Header=BB9_7 Depth=2
	s_or_b32 exec_lo, exec_lo, s5
	s_and_b32 s5, s4, s6
	s_waitcnt vmcnt(0)
	ds_write_b32 v39, v4 offset:2048
	s_xor_b32 s5, s5, -1
	s_and_saveexec_b32 s6, s5
	s_xor_b32 s5, exec_lo, s6
; %bb.40:                               ;   in Loop: Header=BB9_7 Depth=2
	ds_write_b32 v39, v43 offset:2112
                                        ; implicit-def: $vgpr2_vgpr3
; %bb.41:                               ;   in Loop: Header=BB9_7 Depth=2
	s_andn2_saveexec_b32 s5, s5
	s_cbranch_execz .LBB9_6
; %bb.42:                               ;   in Loop: Header=BB9_7 Depth=2
	global_load_dword v2, v[2:3], off offset:64
	s_waitcnt vmcnt(0)
	ds_write_b32 v39, v2 offset:2112
	s_branch .LBB9_6
.LBB9_43:                               ;   in Loop: Header=BB9_4 Depth=1
	v_mul_lo_u32 v4, s41, v48
	v_mul_lo_u32 v5, s40, v51
	v_mad_u64_u32 v[2:3], null, s40, v48, 0
	v_cmp_gt_i32_e32 vcc_lo, s30, v48
	v_add3_u32 v3, v3, v5, v4
	v_lshlrev_b64 v[2:3], 2, v[2:3]
	v_add_co_u32 v2, s4, s27, v2
	v_add_co_ci_u32_e64 v3, null, s36, v3, s4
	s_and_b32 s4, s1, vcc_lo
	s_and_saveexec_b32 s5, s4
	s_cbranch_execz .LBB9_45
; %bb.44:                               ;   in Loop: Header=BB9_4 Depth=1
	v_add_co_u32 v4, s4, v2, v22
	v_add_co_ci_u32_e64 v5, null, v3, v23, s4
	global_load_dword v6, v[4:5], off
	s_waitcnt vmcnt(0)
	v_fmac_f32_e32 v6, s31, v52
	global_store_dword v[4:5], v6, off
.LBB9_45:                               ;   in Loop: Header=BB9_4 Depth=1
	s_or_b32 exec_lo, exec_lo, s5
	s_and_b32 s5, s2, vcc_lo
	s_and_saveexec_b32 s4, s5
	s_cbranch_execz .LBB9_47
; %bb.46:                               ;   in Loop: Header=BB9_4 Depth=1
	v_lshlrev_b64 v[4:5], 2, v[14:15]
	v_add_co_u32 v2, vcc_lo, v2, v4
	v_add_co_ci_u32_e64 v3, null, v3, v5, vcc_lo
	global_load_dword v4, v[2:3], off
	s_waitcnt vmcnt(0)
	v_fmac_f32_e32 v4, s31, v50
	global_store_dword v[2:3], v4, off
.LBB9_47:                               ;   in Loop: Header=BB9_4 Depth=1
	s_or_b32 exec_lo, exec_lo, s4
	v_add_nc_u32_e32 v4, 16, v48
	v_ashrrev_i32_e32 v5, 31, v4
	v_mul_lo_u32 v6, s41, v4
	v_mad_u64_u32 v[2:3], null, s40, v4, 0
	v_cmp_gt_i32_e32 vcc_lo, s30, v4
	v_mul_lo_u32 v5, s40, v5
	v_add3_u32 v3, v3, v5, v6
	v_lshlrev_b64 v[2:3], 2, v[2:3]
	v_add_co_u32 v2, s4, s27, v2
	v_add_co_ci_u32_e64 v3, null, s36, v3, s4
	s_and_b32 s4, s1, vcc_lo
	s_and_saveexec_b32 s5, s4
	s_cbranch_execz .LBB9_49
; %bb.48:                               ;   in Loop: Header=BB9_4 Depth=1
	v_add_co_u32 v4, s4, v2, v22
	v_add_co_ci_u32_e64 v5, null, v3, v23, s4
	global_load_dword v6, v[4:5], off
	s_waitcnt vmcnt(0)
	v_fmac_f32_e32 v6, s31, v49
	global_store_dword v[4:5], v6, off
.LBB9_49:                               ;   in Loop: Header=BB9_4 Depth=1
	s_or_b32 exec_lo, exec_lo, s5
	s_and_b32 s5, s2, vcc_lo
	s_and_saveexec_b32 s4, s5
	s_cbranch_execz .LBB9_3
; %bb.50:                               ;   in Loop: Header=BB9_4 Depth=1
	v_lshlrev_b64 v[4:5], 2, v[14:15]
	v_add_co_u32 v2, vcc_lo, v2, v4
	v_add_co_ci_u32_e64 v3, null, v3, v5, vcc_lo
	global_load_dword v4, v[2:3], off
	s_waitcnt vmcnt(0)
	v_fmac_f32_e32 v4, s31, v31
	global_store_dword v[2:3], v4, off
	s_branch .LBB9_3
.LBB9_51:
	s_endpgm
	.section	.rodata,"a",@progbits
	.p2align	6, 0x0
	.amdhsa_kernel _ZL30rocblas_trmm_outofplace_kernelIfLi32ELi2ELb1ELb0ELb1ELb1EfKffEv17rocblas_diagonal_iiT6_lPT7_lllS4_lllPT8_llli
		.amdhsa_group_segment_fixed_size 8192
		.amdhsa_private_segment_fixed_size 0
		.amdhsa_kernarg_size 384
		.amdhsa_user_sgpr_count 6
		.amdhsa_user_sgpr_private_segment_buffer 1
		.amdhsa_user_sgpr_dispatch_ptr 0
		.amdhsa_user_sgpr_queue_ptr 0
		.amdhsa_user_sgpr_kernarg_segment_ptr 1
		.amdhsa_user_sgpr_dispatch_id 0
		.amdhsa_user_sgpr_flat_scratch_init 0
		.amdhsa_user_sgpr_private_segment_size 0
		.amdhsa_wavefront_size32 1
		.amdhsa_uses_dynamic_stack 0
		.amdhsa_system_sgpr_private_segment_wavefront_offset 0
		.amdhsa_system_sgpr_workgroup_id_x 1
		.amdhsa_system_sgpr_workgroup_id_y 1
		.amdhsa_system_sgpr_workgroup_id_z 1
		.amdhsa_system_sgpr_workgroup_info 0
		.amdhsa_system_vgpr_workitem_id 1
		.amdhsa_next_free_vgpr 67
		.amdhsa_next_free_sgpr 45
		.amdhsa_reserve_vcc 1
		.amdhsa_reserve_flat_scratch 0
		.amdhsa_float_round_mode_32 0
		.amdhsa_float_round_mode_16_64 0
		.amdhsa_float_denorm_mode_32 3
		.amdhsa_float_denorm_mode_16_64 3
		.amdhsa_dx10_clamp 1
		.amdhsa_ieee_mode 1
		.amdhsa_fp16_overflow 0
		.amdhsa_workgroup_processor_mode 1
		.amdhsa_memory_ordered 1
		.amdhsa_forward_progress 1
		.amdhsa_shared_vgpr_count 0
		.amdhsa_exception_fp_ieee_invalid_op 0
		.amdhsa_exception_fp_denorm_src 0
		.amdhsa_exception_fp_ieee_div_zero 0
		.amdhsa_exception_fp_ieee_overflow 0
		.amdhsa_exception_fp_ieee_underflow 0
		.amdhsa_exception_fp_ieee_inexact 0
		.amdhsa_exception_int_div_zero 0
	.end_amdhsa_kernel
	.section	.text._ZL30rocblas_trmm_outofplace_kernelIfLi32ELi2ELb1ELb0ELb1ELb1EfKffEv17rocblas_diagonal_iiT6_lPT7_lllS4_lllPT8_llli,"axG",@progbits,_ZL30rocblas_trmm_outofplace_kernelIfLi32ELi2ELb1ELb0ELb1ELb1EfKffEv17rocblas_diagonal_iiT6_lPT7_lllS4_lllPT8_llli,comdat
.Lfunc_end9:
	.size	_ZL30rocblas_trmm_outofplace_kernelIfLi32ELi2ELb1ELb0ELb1ELb1EfKffEv17rocblas_diagonal_iiT6_lPT7_lllS4_lllPT8_llli, .Lfunc_end9-_ZL30rocblas_trmm_outofplace_kernelIfLi32ELi2ELb1ELb0ELb1ELb1EfKffEv17rocblas_diagonal_iiT6_lPT7_lllS4_lllPT8_llli
                                        ; -- End function
	.set _ZL30rocblas_trmm_outofplace_kernelIfLi32ELi2ELb1ELb0ELb1ELb1EfKffEv17rocblas_diagonal_iiT6_lPT7_lllS4_lllPT8_llli.num_vgpr, 67
	.set _ZL30rocblas_trmm_outofplace_kernelIfLi32ELi2ELb1ELb0ELb1ELb1EfKffEv17rocblas_diagonal_iiT6_lPT7_lllS4_lllPT8_llli.num_agpr, 0
	.set _ZL30rocblas_trmm_outofplace_kernelIfLi32ELi2ELb1ELb0ELb1ELb1EfKffEv17rocblas_diagonal_iiT6_lPT7_lllS4_lllPT8_llli.numbered_sgpr, 45
	.set _ZL30rocblas_trmm_outofplace_kernelIfLi32ELi2ELb1ELb0ELb1ELb1EfKffEv17rocblas_diagonal_iiT6_lPT7_lllS4_lllPT8_llli.num_named_barrier, 0
	.set _ZL30rocblas_trmm_outofplace_kernelIfLi32ELi2ELb1ELb0ELb1ELb1EfKffEv17rocblas_diagonal_iiT6_lPT7_lllS4_lllPT8_llli.private_seg_size, 0
	.set _ZL30rocblas_trmm_outofplace_kernelIfLi32ELi2ELb1ELb0ELb1ELb1EfKffEv17rocblas_diagonal_iiT6_lPT7_lllS4_lllPT8_llli.uses_vcc, 1
	.set _ZL30rocblas_trmm_outofplace_kernelIfLi32ELi2ELb1ELb0ELb1ELb1EfKffEv17rocblas_diagonal_iiT6_lPT7_lllS4_lllPT8_llli.uses_flat_scratch, 0
	.set _ZL30rocblas_trmm_outofplace_kernelIfLi32ELi2ELb1ELb0ELb1ELb1EfKffEv17rocblas_diagonal_iiT6_lPT7_lllS4_lllPT8_llli.has_dyn_sized_stack, 0
	.set _ZL30rocblas_trmm_outofplace_kernelIfLi32ELi2ELb1ELb0ELb1ELb1EfKffEv17rocblas_diagonal_iiT6_lPT7_lllS4_lllPT8_llli.has_recursion, 0
	.set _ZL30rocblas_trmm_outofplace_kernelIfLi32ELi2ELb1ELb0ELb1ELb1EfKffEv17rocblas_diagonal_iiT6_lPT7_lllS4_lllPT8_llli.has_indirect_call, 0
	.section	.AMDGPU.csdata,"",@progbits
; Kernel info:
; codeLenInByte = 3072
; TotalNumSgprs: 47
; NumVgprs: 67
; ScratchSize: 0
; MemoryBound: 0
; FloatMode: 240
; IeeeMode: 1
; LDSByteSize: 8192 bytes/workgroup (compile time only)
; SGPRBlocks: 0
; VGPRBlocks: 8
; NumSGPRsForWavesPerEU: 47
; NumVGPRsForWavesPerEU: 67
; Occupancy: 12
; WaveLimiterHint : 0
; COMPUTE_PGM_RSRC2:SCRATCH_EN: 0
; COMPUTE_PGM_RSRC2:USER_SGPR: 6
; COMPUTE_PGM_RSRC2:TRAP_HANDLER: 0
; COMPUTE_PGM_RSRC2:TGID_X_EN: 1
; COMPUTE_PGM_RSRC2:TGID_Y_EN: 1
; COMPUTE_PGM_RSRC2:TGID_Z_EN: 1
; COMPUTE_PGM_RSRC2:TIDIG_COMP_CNT: 1
	.section	.text._ZL30rocblas_trmm_outofplace_kernelIfLi32ELi2ELb1ELb1ELb1ELb1EPKfS0_fEv17rocblas_diagonal_iiT6_lPT7_lllS5_lllPT8_llli,"axG",@progbits,_ZL30rocblas_trmm_outofplace_kernelIfLi32ELi2ELb1ELb1ELb1ELb1EPKfS0_fEv17rocblas_diagonal_iiT6_lPT7_lllS5_lllPT8_llli,comdat
	.globl	_ZL30rocblas_trmm_outofplace_kernelIfLi32ELi2ELb1ELb1ELb1ELb1EPKfS0_fEv17rocblas_diagonal_iiT6_lPT7_lllS5_lllPT8_llli ; -- Begin function _ZL30rocblas_trmm_outofplace_kernelIfLi32ELi2ELb1ELb1ELb1ELb1EPKfS0_fEv17rocblas_diagonal_iiT6_lPT7_lllS5_lllPT8_llli
	.p2align	8
	.type	_ZL30rocblas_trmm_outofplace_kernelIfLi32ELi2ELb1ELb1ELb1ELb1EPKfS0_fEv17rocblas_diagonal_iiT6_lPT7_lllS5_lllPT8_llli,@function
_ZL30rocblas_trmm_outofplace_kernelIfLi32ELi2ELb1ELb1ELb1ELb1EPKfS0_fEv17rocblas_diagonal_iiT6_lPT7_lllS5_lllPT8_llli: ; @_ZL30rocblas_trmm_outofplace_kernelIfLi32ELi2ELb1ELb1ELb1ELb1EPKfS0_fEv17rocblas_diagonal_iiT6_lPT7_lllS5_lllPT8_llli
; %bb.0:
	s_load_dwordx16 s[12:27], s[4:5], 0x10
	s_waitcnt lgkmcnt(0)
	s_mul_i32 s0, s15, s8
	s_mul_hi_u32 s1, s14, s8
	s_add_i32 s1, s1, s0
	s_mul_i32 s0, s14, s8
	s_lshl_b64 s[0:1], s[0:1], 2
	s_add_u32 s0, s12, s0
	s_addc_u32 s1, s13, s1
	s_load_dword s33, s[0:1], 0x0
	s_waitcnt lgkmcnt(0)
	v_cmp_eq_f32_e64 s0, s33, 0
	s_and_b32 vcc_lo, exec_lo, s0
	s_cbranch_vccnz .LBB10_51
; %bb.1:
	s_load_dwordx4 s[12:15], s[4:5], 0x0
	s_waitcnt lgkmcnt(0)
	s_add_i32 s0, s14, -1
	s_ashr_i32 s1, s0, 31
	s_lshr_b32 s1, s1, 27
	s_add_i32 s0, s0, s1
	s_ashr_i32 s15, s0, 5
	s_cmp_gt_i32 s7, s15
	s_cbranch_scc1 .LBB10_51
; %bb.2:
	s_clause 0x1
	s_load_dwordx4 s[28:31], s[4:5], 0x70
	s_load_dwordx8 s[36:43], s[4:5], 0x50
	s_mul_i32 s1, s23, s8
	s_mul_hi_u32 s2, s22, s8
	s_mul_i32 s0, s22, s8
	s_add_i32 s1, s2, s1
	s_load_dword s44, s[4:5], 0x8c
	s_lshl_b64 s[22:23], s[0:1], 2
	v_lshlrev_b32_e32 v2, 7, v1
	s_add_u32 s0, s16, s22
	s_addc_u32 s1, s17, s23
	s_lshl_b64 s[34:35], s[18:19], 2
	v_lshlrev_b32_e32 v35, 2, v0
	s_add_u32 s3, s0, s34
	s_addc_u32 s4, s1, s35
	v_add_nc_u32_e32 v36, 0x1000, v2
	v_lshlrev_b32_e32 v6, 2, v1
	v_add_nc_u32_e32 v37, v35, v2
	s_mov_b32 s10, s13
	v_mov_b32_e32 v34, 0
	s_waitcnt lgkmcnt(0)
	s_mul_i32 s1, s31, s8
	s_mul_hi_u32 s2, s30, s8
	s_mul_i32 s0, s30, s8
	s_add_i32 s1, s2, s1
	v_add_nc_u32_e32 v38, v36, v35
	s_lshl_b64 s[0:1], s[0:1], 2
	v_lshl_add_u32 v26, s7, 5, v1
	s_add_u32 s2, s40, s0
	s_addc_u32 s5, s41, s1
	s_lshl_b64 s[0:1], s[42:43], 2
	v_mov_b32_e32 v43, 1.0
	s_add_u32 s30, s2, s0
	s_addc_u32 s31, s5, s1
	s_lshl_b32 s40, s6, 5
	s_cmp_gt_i32 s6, -1
	v_add_nc_u32_e32 v10, s40, v0
	s_mul_i32 s5, s39, s8
	s_cselect_b32 s39, -1, 0
	s_cmpk_eq_i32 s12, 0x84
	s_mul_hi_u32 s6, s38, s8
	v_ashrrev_i32_e32 v11, 31, v10
	v_mul_lo_u32 v4, s21, v10
	v_mad_u64_u32 v[2:3], null, s20, v10, 0
	v_add_co_u32 v12, vcc_lo, v10, 16
	v_mul_lo_u32 v5, s20, v11
	v_add_co_ci_u32_e64 v13, null, 0, v11, vcc_lo
	s_cselect_b32 s41, -1, 0
	s_ashr_i32 s11, s13, 31
	s_ashr_i32 s42, s14, 31
	v_lshlrev_b64 v[18:19], 2, v[10:11]
	s_add_u32 s18, s13, -16
	v_add3_u32 v3, v3, v5, v4
	s_addc_u32 s19, s11, -1
	s_add_i32 s5, s6, s5
	v_add_nc_u32_e32 v4, 16, v10
	v_cmp_le_i32_e64 s0, s13, v10
	v_lshlrev_b64 v[2:3], 2, v[2:3]
	v_cmp_gt_i32_e64 s1, s13, v10
	v_add_nc_u32_e32 v44, 0x400, v35
	v_cmp_gt_i32_e64 s2, s13, v4
	v_ashrrev_i32_e32 v5, 31, v4
	v_add_nc_u32_e32 v45, 0x800, v35
	v_add_co_u32 v2, vcc_lo, s3, v2
	v_add_co_ci_u32_e64 v3, null, s4, v3, vcc_lo
	s_mul_i32 s4, s38, s8
	v_add_co_u32 v39, vcc_lo, v2, v6
	v_add_co_ci_u32_e64 v40, null, 0, v3, vcc_lo
	v_sub_co_u32 v14, vcc_lo, v10, v1
	v_subrev_co_ci_u32_e64 v15, null, 0, v11, vcc_lo
	s_lshl_b64 s[4:5], s[4:5], 2
	s_lshl_b64 s[8:9], s[26:27], 2
	v_add_co_u32 v16, vcc_lo, v14, 16
	v_add_co_ci_u32_e64 v17, null, 0, v15, vcc_lo
	s_add_u32 s4, s4, s8
	v_add_co_u32 v7, vcc_lo, v18, 64
	s_addc_u32 s5, s5, s9
	s_add_u32 s6, s24, s4
	v_add_co_ci_u32_e64 v8, null, 0, v19, vcc_lo
	s_addc_u32 s8, s25, s5
	s_lshl_b64 s[12:13], s[36:37], 2
	s_lshl_b32 s24, s44, 5
	s_add_u32 s4, s34, s22
	s_addc_u32 s5, s35, s23
	v_mul_lo_u32 v8, s20, v8
	v_mad_u64_u32 v[2:3], null, s20, v7, s[4:5]
	v_mul_lo_u32 v7, s21, v7
	v_add_co_u32 v22, s4, s6, v35
	v_add_co_ci_u32_e64 v23, null, s8, 0, s4
	v_add_co_u32 v20, vcc_lo, v14, -16
	v_add_co_ci_u32_e64 v21, null, -1, v15, vcc_lo
	v_add3_u32 v3, v7, v3, v8
	v_add_co_u32 v24, vcc_lo, v22, 64
	v_add_co_ci_u32_e64 v25, null, 0, v23, vcc_lo
	v_add_co_u32 v2, vcc_lo, v2, v6
	v_add_co_ci_u32_e64 v3, null, 0, v3, vcc_lo
	v_cmp_le_i64_e64 s3, s[10:11], v[12:13]
	v_add_co_u32 v41, vcc_lo, s16, v2
	v_lshlrev_b64 v[28:29], 2, v[4:5]
	v_add_co_ci_u32_e64 v42, null, s17, v3, vcc_lo
	v_add_nc_u32_e32 v46, 0xc00, v35
	s_branch .LBB10_4
.LBB10_3:                               ;   in Loop: Header=BB10_4 Depth=1
	s_or_b32 exec_lo, exec_lo, s4
	v_add_nc_u32_e32 v26, s24, v26
	s_add_i32 s7, s44, s7
	s_cmp_le_i32 s7, s15
	s_cbranch_scc0 .LBB10_51
.LBB10_4:                               ; =>This Loop Header: Depth=1
                                        ;     Child Loop BB10_7 Depth 2
	v_lshl_add_u32 v47, s7, 5, v1
	v_mov_b32_e32 v51, 0
	v_mov_b32_e32 v49, 0
	v_mov_b32_e32 v48, 0
	v_mov_b32_e32 v27, 0
	v_ashrrev_i32_e32 v50, 31, v47
	s_andn2_b32 vcc_lo, exec_lo, s39
	s_cbranch_vccnz .LBB10_43
; %bb.5:                                ;   in Loop: Header=BB10_4 Depth=1
	v_ashrrev_i32_e32 v27, 31, v26
	v_mad_u64_u32 v[30:31], null, s12, v26, v[24:25]
	v_mul_lo_u32 v4, s13, v26
	v_mov_b32_e32 v48, 0
	v_lshlrev_b64 v[2:3], 2, v[26:27]
	v_mul_lo_u32 v7, s12, v27
	v_mov_b32_e32 v27, 0
	v_mov_b32_e32 v49, 0
	;; [unrolled: 1-line block ×3, first 2 shown]
	s_mov_b64 s[16:17], 0
	v_add_co_u32 v5, vcc_lo, v2, 64
	v_add_co_ci_u32_e64 v6, null, 0, v3, vcc_lo
	v_sub_co_u32 v2, vcc_lo, s14, v47
	v_mul_lo_u32 v8, s37, v5
	v_mul_lo_u32 v6, s36, v6
	v_mad_u64_u32 v[32:33], null, s36, v5, v[22:23]
	v_sub_co_ci_u32_e64 v3, null, s42, v50, vcc_lo
	v_add3_u32 v31, v4, v31, v7
	s_mov_b64 s[20:21], 0
	v_cmp_lt_i64_e64 s4, 16, v[2:3]
	v_add3_u32 v33, v8, v33, v6
	v_cmp_lt_i64_e32 vcc_lo, 0, v[2:3]
	s_branch .LBB10_7
.LBB10_6:                               ;   in Loop: Header=BB10_7 Depth=2
	s_or_b32 exec_lo, exec_lo, s5
	s_waitcnt lgkmcnt(0)
	s_barrier
	buffer_gl0_inv
	ds_read_b128 v[52:55], v36
	ds_read_b128 v[56:59], v36 offset:16
	ds_read_b128 v[6:9], v36 offset:32
	;; [unrolled: 1-line block ×3, first 2 shown]
	ds_read2_b32 v[64:65], v35 offset1:16
	ds_read_b128 v[60:63], v36 offset:2048
	s_add_u32 s20, s20, 32
	s_addc_u32 s21, s21, 0
	s_sub_i32 s5, s20, 32
	s_add_u32 s16, s16, 0x80
	s_addc_u32 s17, s17, 0
	s_cmp_ge_i32 s5, s40
	s_waitcnt lgkmcnt(1)
	v_fmac_f32_e32 v51, v64, v52
	v_fmac_f32_e32 v49, v65, v52
	s_waitcnt lgkmcnt(0)
	v_fmac_f32_e32 v48, v64, v60
	v_fmac_f32_e32 v27, v65, v60
	ds_read2_b32 v[64:65], v35 offset0:32 offset1:48
	s_waitcnt lgkmcnt(0)
	v_fmac_f32_e32 v51, v64, v53
	v_fmac_f32_e32 v49, v65, v53
	ds_read2_b32 v[52:53], v35 offset0:64 offset1:80
	v_fmac_f32_e32 v48, v64, v61
	v_fmac_f32_e32 v27, v65, v61
	ds_read2_b32 v[60:61], v35 offset0:128 offset1:144
	s_waitcnt lgkmcnt(1)
	v_fmac_f32_e32 v51, v52, v54
	v_fmac_f32_e32 v49, v53, v54
	;; [unrolled: 1-line block ×4, first 2 shown]
	ds_read2_b32 v[52:53], v35 offset0:96 offset1:112
	s_waitcnt lgkmcnt(0)
	v_fmac_f32_e32 v51, v52, v55
	v_fmac_f32_e32 v49, v53, v55
	;; [unrolled: 1-line block ×4, first 2 shown]
	ds_read_b128 v[52:55], v36 offset:2064
	v_fmac_f32_e32 v51, v60, v56
	v_fmac_f32_e32 v49, v61, v56
	s_waitcnt lgkmcnt(0)
	v_fmac_f32_e32 v48, v60, v52
	v_fmac_f32_e32 v27, v61, v52
	ds_read2_b32 v[60:61], v35 offset0:160 offset1:176
	s_waitcnt lgkmcnt(0)
	v_fmac_f32_e32 v48, v60, v53
	v_fmac_f32_e32 v27, v61, v53
	ds_read2_b32 v[52:53], v35 offset0:192 offset1:208
	v_fmac_f32_e32 v51, v60, v57
	v_fmac_f32_e32 v49, v61, v57
	ds_read2_b32 v[56:57], v44 offset1:16
	s_waitcnt lgkmcnt(1)
	v_fmac_f32_e32 v51, v52, v58
	v_fmac_f32_e32 v49, v53, v58
	;; [unrolled: 1-line block ×4, first 2 shown]
	ds_read2_b32 v[52:53], v35 offset0:224 offset1:240
	s_waitcnt lgkmcnt(0)
	v_fmac_f32_e32 v51, v52, v59
	v_fmac_f32_e32 v49, v53, v59
	;; [unrolled: 1-line block ×4, first 2 shown]
	ds_read_b128 v[52:55], v36 offset:2080
	v_fmac_f32_e32 v51, v56, v6
	v_fmac_f32_e32 v49, v57, v6
	s_waitcnt lgkmcnt(0)
	v_fmac_f32_e32 v48, v56, v52
	v_fmac_f32_e32 v27, v57, v52
	ds_read2_b32 v[56:57], v44 offset0:32 offset1:48
	s_waitcnt lgkmcnt(0)
	v_fmac_f32_e32 v51, v56, v7
	v_fmac_f32_e32 v49, v57, v7
	ds_read2_b32 v[6:7], v44 offset0:64 offset1:80
	v_fmac_f32_e32 v48, v56, v53
	v_fmac_f32_e32 v27, v57, v53
	ds_read2_b32 v[52:53], v44 offset0:128 offset1:144
	s_waitcnt lgkmcnt(1)
	v_fmac_f32_e32 v51, v6, v8
	v_fmac_f32_e32 v49, v7, v8
	;; [unrolled: 1-line block ×4, first 2 shown]
	ds_read2_b32 v[6:7], v44 offset0:96 offset1:112
	s_waitcnt lgkmcnt(0)
	v_fmac_f32_e32 v51, v6, v9
	v_fmac_f32_e32 v49, v7, v9
	;; [unrolled: 1-line block ×4, first 2 shown]
	ds_read_b128 v[6:9], v36 offset:2096
	v_fmac_f32_e32 v51, v52, v2
	v_fmac_f32_e32 v49, v53, v2
	s_waitcnt lgkmcnt(0)
	v_fmac_f32_e32 v48, v52, v6
	v_fmac_f32_e32 v27, v53, v6
	ds_read2_b32 v[52:53], v44 offset0:160 offset1:176
	s_waitcnt lgkmcnt(0)
	v_fmac_f32_e32 v51, v52, v3
	v_fmac_f32_e32 v49, v53, v3
	ds_read2_b32 v[2:3], v44 offset0:192 offset1:208
	v_fmac_f32_e32 v48, v52, v7
	v_fmac_f32_e32 v27, v53, v7
	s_waitcnt lgkmcnt(0)
	v_fmac_f32_e32 v51, v2, v4
	v_fmac_f32_e32 v49, v3, v4
	;; [unrolled: 1-line block ×4, first 2 shown]
	ds_read2_b32 v[2:3], v44 offset0:224 offset1:240
	s_waitcnt lgkmcnt(0)
	v_fmac_f32_e32 v51, v2, v5
	v_fmac_f32_e32 v49, v3, v5
	;; [unrolled: 1-line block ×4, first 2 shown]
	ds_read_b128 v[2:5], v36 offset:64
	ds_read2_b32 v[52:53], v45 offset1:16
	ds_read_b128 v[6:9], v36 offset:2112
	s_waitcnt lgkmcnt(1)
	v_fmac_f32_e32 v51, v52, v2
	v_fmac_f32_e32 v49, v53, v2
	s_waitcnt lgkmcnt(0)
	v_fmac_f32_e32 v48, v52, v6
	v_fmac_f32_e32 v27, v53, v6
	ds_read2_b32 v[52:53], v45 offset0:32 offset1:48
	s_waitcnt lgkmcnt(0)
	v_fmac_f32_e32 v51, v52, v3
	v_fmac_f32_e32 v49, v53, v3
	ds_read2_b32 v[2:3], v45 offset0:64 offset1:80
	v_fmac_f32_e32 v48, v52, v7
	v_fmac_f32_e32 v27, v53, v7
	s_waitcnt lgkmcnt(0)
	v_fmac_f32_e32 v51, v2, v4
	v_fmac_f32_e32 v49, v3, v4
	;; [unrolled: 1-line block ×4, first 2 shown]
	ds_read2_b32 v[2:3], v45 offset0:96 offset1:112
	s_waitcnt lgkmcnt(0)
	v_fmac_f32_e32 v51, v2, v5
	v_fmac_f32_e32 v49, v3, v5
	;; [unrolled: 1-line block ×4, first 2 shown]
	ds_read_b128 v[2:5], v36 offset:80
	ds_read2_b32 v[52:53], v45 offset0:128 offset1:144
	ds_read_b128 v[6:9], v36 offset:2128
	s_waitcnt lgkmcnt(1)
	v_fmac_f32_e32 v51, v52, v2
	v_fmac_f32_e32 v49, v53, v2
	s_waitcnt lgkmcnt(0)
	v_fmac_f32_e32 v48, v52, v6
	v_fmac_f32_e32 v27, v53, v6
	ds_read2_b32 v[52:53], v45 offset0:160 offset1:176
	s_waitcnt lgkmcnt(0)
	v_fmac_f32_e32 v51, v52, v3
	v_fmac_f32_e32 v49, v53, v3
	ds_read2_b32 v[2:3], v45 offset0:192 offset1:208
	v_fmac_f32_e32 v48, v52, v7
	v_fmac_f32_e32 v27, v53, v7
	s_waitcnt lgkmcnt(0)
	v_fmac_f32_e32 v51, v2, v4
	v_fmac_f32_e32 v49, v3, v4
	;; [unrolled: 1-line block ×4, first 2 shown]
	ds_read2_b32 v[2:3], v45 offset0:224 offset1:240
	s_waitcnt lgkmcnt(0)
	v_fmac_f32_e32 v51, v2, v5
	v_fmac_f32_e32 v49, v3, v5
	;; [unrolled: 1-line block ×4, first 2 shown]
	ds_read_b128 v[2:5], v36 offset:96
	ds_read2_b32 v[52:53], v46 offset1:16
	ds_read_b128 v[6:9], v36 offset:2144
	s_waitcnt lgkmcnt(1)
	v_fmac_f32_e32 v51, v52, v2
	v_fmac_f32_e32 v49, v53, v2
	s_waitcnt lgkmcnt(0)
	v_fmac_f32_e32 v48, v52, v6
	v_fmac_f32_e32 v27, v53, v6
	ds_read2_b32 v[52:53], v46 offset0:32 offset1:48
	s_waitcnt lgkmcnt(0)
	v_fmac_f32_e32 v51, v52, v3
	v_fmac_f32_e32 v49, v53, v3
	ds_read2_b32 v[2:3], v46 offset0:64 offset1:80
	v_fmac_f32_e32 v48, v52, v7
	v_fmac_f32_e32 v27, v53, v7
	s_waitcnt lgkmcnt(0)
	v_fmac_f32_e32 v51, v2, v4
	v_fmac_f32_e32 v49, v3, v4
	;; [unrolled: 1-line block ×4, first 2 shown]
	ds_read2_b32 v[2:3], v46 offset0:96 offset1:112
	s_waitcnt lgkmcnt(0)
	v_fmac_f32_e32 v51, v2, v5
	v_fmac_f32_e32 v49, v3, v5
	;; [unrolled: 1-line block ×4, first 2 shown]
	ds_read_b128 v[2:5], v36 offset:112
	ds_read2_b32 v[52:53], v46 offset0:128 offset1:144
	ds_read_b128 v[6:9], v36 offset:2160
	s_waitcnt lgkmcnt(1)
	v_fmac_f32_e32 v51, v52, v2
	v_fmac_f32_e32 v49, v53, v2
	s_waitcnt lgkmcnt(0)
	v_fmac_f32_e32 v48, v52, v6
	v_fmac_f32_e32 v27, v53, v6
	ds_read2_b32 v[52:53], v46 offset0:160 offset1:176
	s_waitcnt lgkmcnt(0)
	v_fmac_f32_e32 v51, v52, v3
	v_fmac_f32_e32 v49, v53, v3
	ds_read2_b32 v[2:3], v46 offset0:192 offset1:208
	v_fmac_f32_e32 v48, v52, v7
	v_fmac_f32_e32 v27, v53, v7
	s_waitcnt lgkmcnt(0)
	v_fmac_f32_e32 v51, v2, v4
	v_fmac_f32_e32 v49, v3, v4
	;; [unrolled: 1-line block ×4, first 2 shown]
	ds_read2_b32 v[2:3], v46 offset0:224 offset1:240
	s_waitcnt lgkmcnt(0)
	s_barrier
	buffer_gl0_inv
	v_fmac_f32_e32 v51, v2, v5
	v_fmac_f32_e32 v49, v3, v5
	;; [unrolled: 1-line block ×4, first 2 shown]
	s_cbranch_scc1 .LBB10_43
.LBB10_7:                               ;   Parent Loop BB10_4 Depth=1
                                        ; =>  This Inner Loop Header: Depth=2
	v_add_co_u32 v4, s5, v1, s20
	v_add_co_ci_u32_e64 v5, null, 0, s21, s5
	v_cmp_eq_u64_e64 s8, s[20:21], v[14:15]
                                        ; implicit-def: $vgpr6
	v_cmp_le_i64_e64 s6, s[10:11], v[4:5]
	v_cmp_gt_i64_e64 s5, v[4:5], v[10:11]
	s_and_b32 s22, s41, s8
	v_add_co_u32 v2, s8, v39, s16
	v_add_co_ci_u32_e64 v3, null, s17, v40, s8
	s_or_b32 s9, s6, s5
	s_or_b32 s8, s9, s22
	s_nor_b32 s8, s0, s8
	s_and_saveexec_b32 s9, s8
	s_xor_b32 s8, exec_lo, s9
	s_cbranch_execz .LBB10_9
; %bb.8:                                ;   in Loop: Header=BB10_7 Depth=2
	global_load_dword v6, v[2:3], off
.LBB10_9:                               ;   in Loop: Header=BB10_7 Depth=2
	s_andn2_saveexec_b32 s8, s8
	s_cbranch_execz .LBB10_11
; %bb.10:                               ;   in Loop: Header=BB10_7 Depth=2
	s_waitcnt vmcnt(0)
	v_cndmask_b32_e64 v6, 0, 1.0, s22
.LBB10_11:                              ;   in Loop: Header=BB10_7 Depth=2
	s_or_b32 exec_lo, exec_lo, s8
	v_cmp_eq_u64_e64 s8, s[20:21], v[16:17]
	v_cmp_lt_i64_e64 s9, v[12:13], v[4:5]
	s_waitcnt vmcnt(0)
	ds_write_b32 v37, v6
	s_and_b32 s8, s41, s8
	s_or_b32 s6, s6, s9
	s_or_b32 s6, s6, s8
	s_nor_b32 s6, s3, s6
	s_and_saveexec_b32 s9, s6
	s_xor_b32 s9, exec_lo, s9
	s_cbranch_execz .LBB10_13
; %bb.12:                               ;   in Loop: Header=BB10_7 Depth=2
	v_add_co_u32 v6, s6, v41, s16
	v_add_co_ci_u32_e64 v7, null, s17, v42, s6
	global_load_dword v6, v[6:7], off
	s_waitcnt vmcnt(0)
	ds_write_b32 v37, v6 offset:64
.LBB10_13:                              ;   in Loop: Header=BB10_7 Depth=2
	s_andn2_saveexec_b32 s6, s9
	s_cbranch_execz .LBB10_19
; %bb.14:                               ;   in Loop: Header=BB10_7 Depth=2
	s_xor_b32 s8, s8, -1
	s_and_saveexec_b32 s9, s8
	s_xor_b32 s8, exec_lo, s9
; %bb.15:                               ;   in Loop: Header=BB10_7 Depth=2
	ds_write_b32 v37, v34 offset:64
; %bb.16:                               ;   in Loop: Header=BB10_7 Depth=2
	s_andn2_saveexec_b32 s8, s8
; %bb.17:                               ;   in Loop: Header=BB10_7 Depth=2
	ds_write_b32 v37, v43 offset:64
; %bb.18:                               ;   in Loop: Header=BB10_7 Depth=2
	s_or_b32 exec_lo, exec_lo, s8
.LBB10_19:                              ;   in Loop: Header=BB10_7 Depth=2
	s_or_b32 exec_lo, exec_lo, s6
	v_add_co_u32 v4, s6, v4, 16
	v_add_co_ci_u32_e64 v5, null, 0, v5, s6
	v_cmp_eq_u64_e64 s8, s[20:21], v[20:21]
	v_cmp_le_i64_e64 s6, s[10:11], v[4:5]
	v_cmp_gt_i64_e64 s9, v[4:5], v[10:11]
                                        ; implicit-def: $vgpr4
	s_and_b32 s8, s41, s8
	s_or_b32 s9, s6, s9
	s_or_b32 s9, s9, s8
	s_nor_b32 s9, s0, s9
	s_and_saveexec_b32 s23, s9
	s_xor_b32 s9, exec_lo, s23
	s_cbranch_execz .LBB10_21
; %bb.20:                               ;   in Loop: Header=BB10_7 Depth=2
	global_load_dword v4, v[2:3], off offset:64
.LBB10_21:                              ;   in Loop: Header=BB10_7 Depth=2
	s_andn2_saveexec_b32 s9, s9
	s_cbranch_execz .LBB10_23
; %bb.22:                               ;   in Loop: Header=BB10_7 Depth=2
	s_waitcnt vmcnt(0)
	v_cndmask_b32_e64 v4, 0, 1.0, s8
.LBB10_23:                              ;   in Loop: Header=BB10_7 Depth=2
	s_or_b32 exec_lo, exec_lo, s9
	s_or_b32 s5, s6, s5
	s_waitcnt vmcnt(0)
	ds_write_b32 v37, v4 offset:2048
	s_or_b32 s5, s5, s22
	s_nor_b32 s5, s3, s5
	s_and_saveexec_b32 s6, s5
	s_xor_b32 s6, exec_lo, s6
	s_cbranch_execz .LBB10_25
; %bb.24:                               ;   in Loop: Header=BB10_7 Depth=2
	v_add_co_u32 v2, s5, v41, s16
	v_add_co_ci_u32_e64 v3, null, s17, v42, s5
	global_load_dword v2, v[2:3], off offset:64
	s_waitcnt vmcnt(0)
	ds_write_b32 v37, v2 offset:2112
.LBB10_25:                              ;   in Loop: Header=BB10_7 Depth=2
	s_andn2_saveexec_b32 s5, s6
	s_cbranch_execz .LBB10_31
; %bb.26:                               ;   in Loop: Header=BB10_7 Depth=2
	s_xor_b32 s6, s22, -1
	s_and_saveexec_b32 s8, s6
	s_xor_b32 s6, exec_lo, s8
; %bb.27:                               ;   in Loop: Header=BB10_7 Depth=2
	ds_write_b32 v37, v34 offset:2112
; %bb.28:                               ;   in Loop: Header=BB10_7 Depth=2
	s_andn2_saveexec_b32 s6, s6
; %bb.29:                               ;   in Loop: Header=BB10_7 Depth=2
	ds_write_b32 v37, v43 offset:2112
; %bb.30:                               ;   in Loop: Header=BB10_7 Depth=2
	s_or_b32 exec_lo, exec_lo, s6
.LBB10_31:                              ;   in Loop: Header=BB10_7 Depth=2
	s_or_b32 exec_lo, exec_lo, s5
	v_add_co_u32 v4, s5, v0, s20
	v_add_co_ci_u32_e64 v5, null, 0, s21, s5
	v_add_co_u32 v2, s6, v30, s16
	v_add_co_ci_u32_e64 v3, null, s17, v31, s6
	v_cmp_gt_i64_e64 s5, s[10:11], v[4:5]
	v_mov_b32_e32 v6, 0
	s_and_b32 s8, vcc_lo, s5
	s_and_saveexec_b32 s6, s8
	s_cbranch_execz .LBB10_33
; %bb.32:                               ;   in Loop: Header=BB10_7 Depth=2
	global_load_dword v6, v[2:3], off offset:-64
.LBB10_33:                              ;   in Loop: Header=BB10_7 Depth=2
	s_or_b32 exec_lo, exec_lo, s6
	v_cmp_gt_i64_e64 s6, s[18:19], v[4:5]
	s_waitcnt vmcnt(0)
	ds_write_b32 v38, v6
	s_and_b32 s8, vcc_lo, s6
	s_xor_b32 s8, s8, -1
	s_and_saveexec_b32 s9, s8
	s_xor_b32 s8, exec_lo, s9
; %bb.34:                               ;   in Loop: Header=BB10_7 Depth=2
	ds_write_b32 v38, v34 offset:64
                                        ; implicit-def: $vgpr2_vgpr3
; %bb.35:                               ;   in Loop: Header=BB10_7 Depth=2
	s_andn2_saveexec_b32 s8, s8
	s_cbranch_execz .LBB10_37
; %bb.36:                               ;   in Loop: Header=BB10_7 Depth=2
	global_load_dword v2, v[2:3], off
	s_waitcnt vmcnt(0)
	ds_write_b32 v38, v2 offset:64
.LBB10_37:                              ;   in Loop: Header=BB10_7 Depth=2
	s_or_b32 exec_lo, exec_lo, s8
	v_add_co_u32 v2, s8, v32, s16
	v_add_co_ci_u32_e64 v3, null, s17, v33, s8
	v_mov_b32_e32 v4, 0
	s_and_b32 s8, s4, s5
	s_and_saveexec_b32 s5, s8
	s_cbranch_execz .LBB10_39
; %bb.38:                               ;   in Loop: Header=BB10_7 Depth=2
	global_load_dword v4, v[2:3], off
.LBB10_39:                              ;   in Loop: Header=BB10_7 Depth=2
	s_or_b32 exec_lo, exec_lo, s5
	s_and_b32 s5, s4, s6
	s_waitcnt vmcnt(0)
	ds_write_b32 v38, v4 offset:2048
	s_xor_b32 s5, s5, -1
	s_and_saveexec_b32 s6, s5
	s_xor_b32 s5, exec_lo, s6
; %bb.40:                               ;   in Loop: Header=BB10_7 Depth=2
	ds_write_b32 v38, v34 offset:2112
                                        ; implicit-def: $vgpr2_vgpr3
; %bb.41:                               ;   in Loop: Header=BB10_7 Depth=2
	s_andn2_saveexec_b32 s5, s5
	s_cbranch_execz .LBB10_6
; %bb.42:                               ;   in Loop: Header=BB10_7 Depth=2
	global_load_dword v2, v[2:3], off offset:64
	s_waitcnt vmcnt(0)
	ds_write_b32 v38, v2 offset:2112
	s_branch .LBB10_6
.LBB10_43:                              ;   in Loop: Header=BB10_4 Depth=1
	v_mul_lo_u32 v4, s29, v47
	v_mul_lo_u32 v5, s28, v50
	v_mad_u64_u32 v[2:3], null, s28, v47, 0
	v_cmp_gt_i32_e32 vcc_lo, s14, v47
	v_add3_u32 v3, v3, v5, v4
	v_lshlrev_b64 v[2:3], 2, v[2:3]
	v_add_co_u32 v2, s4, s30, v2
	v_add_co_ci_u32_e64 v3, null, s31, v3, s4
	s_and_b32 s4, s1, vcc_lo
	s_and_saveexec_b32 s5, s4
	s_cbranch_execz .LBB10_45
; %bb.44:                               ;   in Loop: Header=BB10_4 Depth=1
	v_add_co_u32 v4, s4, v2, v18
	v_add_co_ci_u32_e64 v5, null, v3, v19, s4
	global_load_dword v6, v[4:5], off
	s_waitcnt vmcnt(0)
	v_fmac_f32_e32 v6, s33, v51
	global_store_dword v[4:5], v6, off
.LBB10_45:                              ;   in Loop: Header=BB10_4 Depth=1
	s_or_b32 exec_lo, exec_lo, s5
	s_and_b32 s5, s2, vcc_lo
	s_and_saveexec_b32 s4, s5
	s_cbranch_execz .LBB10_47
; %bb.46:                               ;   in Loop: Header=BB10_4 Depth=1
	v_add_co_u32 v2, vcc_lo, v2, v28
	v_add_co_ci_u32_e64 v3, null, v3, v29, vcc_lo
	global_load_dword v4, v[2:3], off
	s_waitcnt vmcnt(0)
	v_fmac_f32_e32 v4, s33, v49
	global_store_dword v[2:3], v4, off
.LBB10_47:                              ;   in Loop: Header=BB10_4 Depth=1
	s_or_b32 exec_lo, exec_lo, s4
	v_add_nc_u32_e32 v4, 16, v47
	v_ashrrev_i32_e32 v5, 31, v4
	v_mul_lo_u32 v6, s29, v4
	v_mad_u64_u32 v[2:3], null, s28, v4, 0
	v_cmp_gt_i32_e32 vcc_lo, s14, v4
	v_mul_lo_u32 v5, s28, v5
	v_add3_u32 v3, v3, v5, v6
	v_lshlrev_b64 v[2:3], 2, v[2:3]
	v_add_co_u32 v2, s4, s30, v2
	v_add_co_ci_u32_e64 v3, null, s31, v3, s4
	s_and_b32 s4, s1, vcc_lo
	s_and_saveexec_b32 s5, s4
	s_cbranch_execz .LBB10_49
; %bb.48:                               ;   in Loop: Header=BB10_4 Depth=1
	v_add_co_u32 v4, s4, v2, v18
	v_add_co_ci_u32_e64 v5, null, v3, v19, s4
	global_load_dword v6, v[4:5], off
	s_waitcnt vmcnt(0)
	v_fmac_f32_e32 v6, s33, v48
	global_store_dword v[4:5], v6, off
.LBB10_49:                              ;   in Loop: Header=BB10_4 Depth=1
	s_or_b32 exec_lo, exec_lo, s5
	s_and_b32 s5, s2, vcc_lo
	s_and_saveexec_b32 s4, s5
	s_cbranch_execz .LBB10_3
; %bb.50:                               ;   in Loop: Header=BB10_4 Depth=1
	v_add_co_u32 v2, vcc_lo, v2, v28
	v_add_co_ci_u32_e64 v3, null, v3, v29, vcc_lo
	global_load_dword v4, v[2:3], off
	s_waitcnt vmcnt(0)
	v_fmac_f32_e32 v4, s33, v27
	global_store_dword v[2:3], v4, off
	s_branch .LBB10_3
.LBB10_51:
	s_endpgm
	.section	.rodata,"a",@progbits
	.p2align	6, 0x0
	.amdhsa_kernel _ZL30rocblas_trmm_outofplace_kernelIfLi32ELi2ELb1ELb1ELb1ELb1EPKfS0_fEv17rocblas_diagonal_iiT6_lPT7_lllS5_lllPT8_llli
		.amdhsa_group_segment_fixed_size 8192
		.amdhsa_private_segment_fixed_size 0
		.amdhsa_kernarg_size 392
		.amdhsa_user_sgpr_count 6
		.amdhsa_user_sgpr_private_segment_buffer 1
		.amdhsa_user_sgpr_dispatch_ptr 0
		.amdhsa_user_sgpr_queue_ptr 0
		.amdhsa_user_sgpr_kernarg_segment_ptr 1
		.amdhsa_user_sgpr_dispatch_id 0
		.amdhsa_user_sgpr_flat_scratch_init 0
		.amdhsa_user_sgpr_private_segment_size 0
		.amdhsa_wavefront_size32 1
		.amdhsa_uses_dynamic_stack 0
		.amdhsa_system_sgpr_private_segment_wavefront_offset 0
		.amdhsa_system_sgpr_workgroup_id_x 1
		.amdhsa_system_sgpr_workgroup_id_y 1
		.amdhsa_system_sgpr_workgroup_id_z 1
		.amdhsa_system_sgpr_workgroup_info 0
		.amdhsa_system_vgpr_workitem_id 1
		.amdhsa_next_free_vgpr 66
		.amdhsa_next_free_sgpr 45
		.amdhsa_reserve_vcc 1
		.amdhsa_reserve_flat_scratch 0
		.amdhsa_float_round_mode_32 0
		.amdhsa_float_round_mode_16_64 0
		.amdhsa_float_denorm_mode_32 3
		.amdhsa_float_denorm_mode_16_64 3
		.amdhsa_dx10_clamp 1
		.amdhsa_ieee_mode 1
		.amdhsa_fp16_overflow 0
		.amdhsa_workgroup_processor_mode 1
		.amdhsa_memory_ordered 1
		.amdhsa_forward_progress 1
		.amdhsa_shared_vgpr_count 0
		.amdhsa_exception_fp_ieee_invalid_op 0
		.amdhsa_exception_fp_denorm_src 0
		.amdhsa_exception_fp_ieee_div_zero 0
		.amdhsa_exception_fp_ieee_overflow 0
		.amdhsa_exception_fp_ieee_underflow 0
		.amdhsa_exception_fp_ieee_inexact 0
		.amdhsa_exception_int_div_zero 0
	.end_amdhsa_kernel
	.section	.text._ZL30rocblas_trmm_outofplace_kernelIfLi32ELi2ELb1ELb1ELb1ELb1EPKfS0_fEv17rocblas_diagonal_iiT6_lPT7_lllS5_lllPT8_llli,"axG",@progbits,_ZL30rocblas_trmm_outofplace_kernelIfLi32ELi2ELb1ELb1ELb1ELb1EPKfS0_fEv17rocblas_diagonal_iiT6_lPT7_lllS5_lllPT8_llli,comdat
.Lfunc_end10:
	.size	_ZL30rocblas_trmm_outofplace_kernelIfLi32ELi2ELb1ELb1ELb1ELb1EPKfS0_fEv17rocblas_diagonal_iiT6_lPT7_lllS5_lllPT8_llli, .Lfunc_end10-_ZL30rocblas_trmm_outofplace_kernelIfLi32ELi2ELb1ELb1ELb1ELb1EPKfS0_fEv17rocblas_diagonal_iiT6_lPT7_lllS5_lllPT8_llli
                                        ; -- End function
	.set _ZL30rocblas_trmm_outofplace_kernelIfLi32ELi2ELb1ELb1ELb1ELb1EPKfS0_fEv17rocblas_diagonal_iiT6_lPT7_lllS5_lllPT8_llli.num_vgpr, 66
	.set _ZL30rocblas_trmm_outofplace_kernelIfLi32ELi2ELb1ELb1ELb1ELb1EPKfS0_fEv17rocblas_diagonal_iiT6_lPT7_lllS5_lllPT8_llli.num_agpr, 0
	.set _ZL30rocblas_trmm_outofplace_kernelIfLi32ELi2ELb1ELb1ELb1ELb1EPKfS0_fEv17rocblas_diagonal_iiT6_lPT7_lllS5_lllPT8_llli.numbered_sgpr, 45
	.set _ZL30rocblas_trmm_outofplace_kernelIfLi32ELi2ELb1ELb1ELb1ELb1EPKfS0_fEv17rocblas_diagonal_iiT6_lPT7_lllS5_lllPT8_llli.num_named_barrier, 0
	.set _ZL30rocblas_trmm_outofplace_kernelIfLi32ELi2ELb1ELb1ELb1ELb1EPKfS0_fEv17rocblas_diagonal_iiT6_lPT7_lllS5_lllPT8_llli.private_seg_size, 0
	.set _ZL30rocblas_trmm_outofplace_kernelIfLi32ELi2ELb1ELb1ELb1ELb1EPKfS0_fEv17rocblas_diagonal_iiT6_lPT7_lllS5_lllPT8_llli.uses_vcc, 1
	.set _ZL30rocblas_trmm_outofplace_kernelIfLi32ELi2ELb1ELb1ELb1ELb1EPKfS0_fEv17rocblas_diagonal_iiT6_lPT7_lllS5_lllPT8_llli.uses_flat_scratch, 0
	.set _ZL30rocblas_trmm_outofplace_kernelIfLi32ELi2ELb1ELb1ELb1ELb1EPKfS0_fEv17rocblas_diagonal_iiT6_lPT7_lllS5_lllPT8_llli.has_dyn_sized_stack, 0
	.set _ZL30rocblas_trmm_outofplace_kernelIfLi32ELi2ELb1ELb1ELb1ELb1EPKfS0_fEv17rocblas_diagonal_iiT6_lPT7_lllS5_lllPT8_llli.has_recursion, 0
	.set _ZL30rocblas_trmm_outofplace_kernelIfLi32ELi2ELb1ELb1ELb1ELb1EPKfS0_fEv17rocblas_diagonal_iiT6_lPT7_lllS5_lllPT8_llli.has_indirect_call, 0
	.section	.AMDGPU.csdata,"",@progbits
; Kernel info:
; codeLenInByte = 3100
; TotalNumSgprs: 47
; NumVgprs: 66
; ScratchSize: 0
; MemoryBound: 0
; FloatMode: 240
; IeeeMode: 1
; LDSByteSize: 8192 bytes/workgroup (compile time only)
; SGPRBlocks: 0
; VGPRBlocks: 8
; NumSGPRsForWavesPerEU: 47
; NumVGPRsForWavesPerEU: 66
; Occupancy: 12
; WaveLimiterHint : 0
; COMPUTE_PGM_RSRC2:SCRATCH_EN: 0
; COMPUTE_PGM_RSRC2:USER_SGPR: 6
; COMPUTE_PGM_RSRC2:TRAP_HANDLER: 0
; COMPUTE_PGM_RSRC2:TGID_X_EN: 1
; COMPUTE_PGM_RSRC2:TGID_Y_EN: 1
; COMPUTE_PGM_RSRC2:TGID_Z_EN: 1
; COMPUTE_PGM_RSRC2:TIDIG_COMP_CNT: 1
	.section	.text._ZL30rocblas_trmm_outofplace_kernelIfLi32ELi2ELb1ELb1ELb1ELb1EfKffEv17rocblas_diagonal_iiT6_lPT7_lllS4_lllPT8_llli,"axG",@progbits,_ZL30rocblas_trmm_outofplace_kernelIfLi32ELi2ELb1ELb1ELb1ELb1EfKffEv17rocblas_diagonal_iiT6_lPT7_lllS4_lllPT8_llli,comdat
	.globl	_ZL30rocblas_trmm_outofplace_kernelIfLi32ELi2ELb1ELb1ELb1ELb1EfKffEv17rocblas_diagonal_iiT6_lPT7_lllS4_lllPT8_llli ; -- Begin function _ZL30rocblas_trmm_outofplace_kernelIfLi32ELi2ELb1ELb1ELb1ELb1EfKffEv17rocblas_diagonal_iiT6_lPT7_lllS4_lllPT8_llli
	.p2align	8
	.type	_ZL30rocblas_trmm_outofplace_kernelIfLi32ELi2ELb1ELb1ELb1ELb1EfKffEv17rocblas_diagonal_iiT6_lPT7_lllS4_lllPT8_llli,@function
_ZL30rocblas_trmm_outofplace_kernelIfLi32ELi2ELb1ELb1ELb1ELb1EfKffEv17rocblas_diagonal_iiT6_lPT7_lllS4_lllPT8_llli: ; @_ZL30rocblas_trmm_outofplace_kernelIfLi32ELi2ELb1ELb1ELb1ELb1EfKffEv17rocblas_diagonal_iiT6_lPT7_lllS4_lllPT8_llli
; %bb.0:
	s_load_dwordx4 s[28:31], s[4:5], 0x0
	s_waitcnt lgkmcnt(0)
	v_cmp_eq_f32_e64 s0, s31, 0
	s_and_b32 vcc_lo, exec_lo, s0
	s_cbranch_vccnz .LBB11_51
; %bb.1:
	s_add_i32 s0, s30, -1
	s_ashr_i32 s1, s0, 31
	s_lshr_b32 s1, s1, 27
	s_add_i32 s0, s0, s1
	s_ashr_i32 s33, s0, 5
	s_cmp_gt_i32 s7, s33
	s_cbranch_scc1 .LBB11_51
; %bb.2:
	s_clause 0x2
	s_load_dwordx16 s[12:27], s[4:5], 0x18
	s_load_dwordx8 s[36:43], s[4:5], 0x58
	s_load_dword s44, s[4:5], 0x84
	v_lshlrev_b32_e32 v2, 7, v1
	v_lshlrev_b32_e32 v34, 2, v0
	;; [unrolled: 1-line block ×3, first 2 shown]
	s_mov_b32 s10, s29
	v_mov_b32_e32 v35, 0
	v_add_nc_u32_e32 v37, 0x1000, v2
	v_add_nc_u32_e32 v36, v34, v2
	v_lshl_add_u32 v26, s7, 5, v1
	v_mov_b32_e32 v43, 1.0
	v_add_nc_u32_e32 v44, 0x400, v34
	v_add_nc_u32_e32 v38, v37, v34
	;; [unrolled: 1-line block ×4, first 2 shown]
	s_waitcnt lgkmcnt(0)
	s_mul_i32 s1, s19, s8
	s_mul_hi_u32 s2, s18, s8
	s_mul_i32 s0, s18, s8
	s_add_i32 s1, s2, s1
	s_mul_i32 s2, s43, s8
	s_lshl_b64 s[4:5], s[0:1], 2
	s_mul_hi_u32 s1, s42, s8
	s_add_u32 s3, s12, s4
	s_addc_u32 s9, s13, s5
	s_lshl_b64 s[34:35], s[14:15], 2
	s_mul_i32 s0, s42, s8
	s_add_u32 s18, s3, s34
	s_addc_u32 s19, s9, s35
	s_add_i32 s1, s1, s2
	s_mul_i32 s3, s27, s8
	s_lshl_b64 s[0:1], s[0:1], 2
	s_add_u32 s2, s36, s0
	s_addc_u32 s9, s37, s1
	s_lshl_b64 s[0:1], s[38:39], 2
	s_mul_hi_u32 s39, s26, s8
	s_add_u32 s27, s2, s0
	s_addc_u32 s36, s9, s1
	s_lshl_b32 s37, s6, 5
	s_cmp_gt_i32 s6, -1
	v_add_nc_u32_e32 v10, s37, v0
	s_cselect_b32 s38, -1, 0
	s_cmpk_eq_i32 s28, 0x84
	s_mul_i32 s2, s26, s8
	s_cselect_b32 s26, -1, 0
	v_ashrrev_i32_e32 v11, 31, v10
	v_mul_lo_u32 v5, s17, v10
	v_mad_u64_u32 v[2:3], null, s16, v10, 0
	v_add_co_u32 v12, vcc_lo, v10, 16
	v_mul_lo_u32 v7, s16, v11
	v_add_co_ci_u32_e64 v13, null, 0, v11, vcc_lo
	v_sub_co_u32 v14, vcc_lo, v10, v1
	v_subrev_co_ci_u32_e64 v15, null, 0, v11, vcc_lo
	s_ashr_i32 s11, s29, 31
	v_add3_u32 v3, v3, v7, v5
	s_ashr_i32 s28, s30, 31
	v_lshlrev_b64 v[18:19], 2, v[10:11]
	s_add_u32 s14, s29, -16
	s_addc_u32 s15, s11, -1
	v_lshlrev_b64 v[2:3], 2, v[2:3]
	s_add_i32 s3, s39, s3
	v_add_nc_u32_e32 v4, 16, v10
	s_lshl_b64 s[8:9], s[2:3], 2
	v_cmp_le_i64_e64 s3, s[10:11], v[12:13]
	v_cmp_le_i32_e64 s0, s29, v10
	v_add_co_u32 v2, vcc_lo, s18, v2
	v_add_co_ci_u32_e64 v3, null, s19, v3, vcc_lo
	s_lshl_b64 s[18:19], s[22:23], 2
	v_add_co_u32 v39, vcc_lo, v2, v6
	v_add_co_ci_u32_e64 v40, null, 0, v3, vcc_lo
	v_add_co_u32 v16, vcc_lo, v14, 16
	v_add_co_ci_u32_e64 v17, null, 0, v15, vcc_lo
	s_add_u32 s6, s8, s18
	v_add_co_u32 v7, vcc_lo, v18, 64
	s_addc_u32 s8, s9, s19
	s_add_u32 s6, s20, s6
	v_add_co_ci_u32_e64 v8, null, 0, v19, vcc_lo
	s_addc_u32 s8, s21, s8
	s_lshl_b64 s[18:19], s[24:25], 2
	s_lshl_b32 s20, s44, 5
	s_add_u32 s4, s34, s4
	s_addc_u32 s5, s35, s5
	v_mul_lo_u32 v8, s16, v8
	v_mad_u64_u32 v[2:3], null, s16, v7, s[4:5]
	v_mul_lo_u32 v7, s17, v7
	v_add_co_u32 v22, s4, s6, v34
	v_add_co_ci_u32_e64 v23, null, s8, 0, s4
	v_add_co_u32 v20, vcc_lo, v14, -16
	v_add_co_ci_u32_e64 v21, null, -1, v15, vcc_lo
	v_add3_u32 v3, v7, v3, v8
	v_add_co_u32 v24, vcc_lo, v22, 64
	v_add_co_ci_u32_e64 v25, null, 0, v23, vcc_lo
	v_add_co_u32 v2, vcc_lo, v2, v6
	v_ashrrev_i32_e32 v5, 31, v4
	v_add_co_ci_u32_e64 v3, null, 0, v3, vcc_lo
	v_add_co_u32 v41, vcc_lo, s12, v2
	v_lshlrev_b64 v[28:29], 2, v[4:5]
	v_cmp_gt_i32_e64 s1, s29, v10
	v_cmp_gt_i32_e64 s2, s29, v4
	v_add_co_ci_u32_e64 v42, null, s13, v3, vcc_lo
	s_mov_b32 s21, s30
	s_branch .LBB11_4
.LBB11_3:                               ;   in Loop: Header=BB11_4 Depth=1
	s_or_b32 exec_lo, exec_lo, s4
	v_add_nc_u32_e32 v26, s20, v26
	s_add_i32 s7, s44, s7
	s_cmp_le_i32 s7, s33
	s_cbranch_scc0 .LBB11_51
.LBB11_4:                               ; =>This Loop Header: Depth=1
                                        ;     Child Loop BB11_7 Depth 2
	v_lshl_add_u32 v47, s7, 5, v1
	v_mov_b32_e32 v51, 0
	v_mov_b32_e32 v49, 0
	;; [unrolled: 1-line block ×4, first 2 shown]
	v_ashrrev_i32_e32 v50, 31, v47
	s_andn2_b32 vcc_lo, exec_lo, s38
	s_cbranch_vccnz .LBB11_43
; %bb.5:                                ;   in Loop: Header=BB11_4 Depth=1
	v_ashrrev_i32_e32 v27, 31, v26
	v_mad_u64_u32 v[30:31], null, s18, v26, v[24:25]
	v_mul_lo_u32 v4, s19, v26
	v_mov_b32_e32 v48, 0
	v_lshlrev_b64 v[2:3], 2, v[26:27]
	v_mul_lo_u32 v7, s18, v27
	v_mov_b32_e32 v27, 0
	v_mov_b32_e32 v49, 0
	;; [unrolled: 1-line block ×3, first 2 shown]
	s_mov_b64 s[12:13], 0
	v_add_co_u32 v5, vcc_lo, v2, 64
	v_add_co_ci_u32_e64 v6, null, 0, v3, vcc_lo
	v_sub_co_u32 v2, vcc_lo, s21, v47
	v_mul_lo_u32 v8, s25, v5
	v_mul_lo_u32 v6, s24, v6
	v_mad_u64_u32 v[32:33], null, s24, v5, v[22:23]
	v_sub_co_ci_u32_e64 v3, null, s28, v50, vcc_lo
	v_add3_u32 v31, v4, v31, v7
	s_mov_b64 s[16:17], 0
	v_cmp_lt_i64_e64 s4, 16, v[2:3]
	v_add3_u32 v33, v8, v33, v6
	v_cmp_lt_i64_e32 vcc_lo, 0, v[2:3]
	s_branch .LBB11_7
.LBB11_6:                               ;   in Loop: Header=BB11_7 Depth=2
	s_or_b32 exec_lo, exec_lo, s5
	s_waitcnt lgkmcnt(0)
	s_barrier
	buffer_gl0_inv
	ds_read_b128 v[52:55], v37
	ds_read_b128 v[56:59], v37 offset:16
	ds_read_b128 v[6:9], v37 offset:32
	ds_read_b128 v[2:5], v37 offset:48
	ds_read2_b32 v[64:65], v34 offset1:16
	ds_read_b128 v[60:63], v37 offset:2048
	s_add_u32 s16, s16, 32
	s_addc_u32 s17, s17, 0
	s_sub_i32 s5, s16, 32
	s_add_u32 s12, s12, 0x80
	s_addc_u32 s13, s13, 0
	s_cmp_ge_i32 s5, s37
	s_waitcnt lgkmcnt(1)
	v_fmac_f32_e32 v51, v64, v52
	v_fmac_f32_e32 v49, v65, v52
	s_waitcnt lgkmcnt(0)
	v_fmac_f32_e32 v48, v64, v60
	v_fmac_f32_e32 v27, v65, v60
	ds_read2_b32 v[64:65], v34 offset0:32 offset1:48
	s_waitcnt lgkmcnt(0)
	v_fmac_f32_e32 v51, v64, v53
	v_fmac_f32_e32 v49, v65, v53
	ds_read2_b32 v[52:53], v34 offset0:64 offset1:80
	v_fmac_f32_e32 v48, v64, v61
	v_fmac_f32_e32 v27, v65, v61
	ds_read2_b32 v[60:61], v34 offset0:128 offset1:144
	s_waitcnt lgkmcnt(1)
	v_fmac_f32_e32 v51, v52, v54
	v_fmac_f32_e32 v49, v53, v54
	;; [unrolled: 1-line block ×4, first 2 shown]
	ds_read2_b32 v[52:53], v34 offset0:96 offset1:112
	s_waitcnt lgkmcnt(0)
	v_fmac_f32_e32 v51, v52, v55
	v_fmac_f32_e32 v49, v53, v55
	;; [unrolled: 1-line block ×4, first 2 shown]
	ds_read_b128 v[52:55], v37 offset:2064
	v_fmac_f32_e32 v51, v60, v56
	v_fmac_f32_e32 v49, v61, v56
	s_waitcnt lgkmcnt(0)
	v_fmac_f32_e32 v48, v60, v52
	v_fmac_f32_e32 v27, v61, v52
	ds_read2_b32 v[60:61], v34 offset0:160 offset1:176
	s_waitcnt lgkmcnt(0)
	v_fmac_f32_e32 v48, v60, v53
	v_fmac_f32_e32 v27, v61, v53
	ds_read2_b32 v[52:53], v34 offset0:192 offset1:208
	v_fmac_f32_e32 v51, v60, v57
	v_fmac_f32_e32 v49, v61, v57
	ds_read2_b32 v[56:57], v44 offset1:16
	s_waitcnt lgkmcnt(1)
	v_fmac_f32_e32 v51, v52, v58
	v_fmac_f32_e32 v49, v53, v58
	;; [unrolled: 1-line block ×4, first 2 shown]
	ds_read2_b32 v[52:53], v34 offset0:224 offset1:240
	s_waitcnt lgkmcnt(0)
	v_fmac_f32_e32 v51, v52, v59
	v_fmac_f32_e32 v49, v53, v59
	;; [unrolled: 1-line block ×4, first 2 shown]
	ds_read_b128 v[52:55], v37 offset:2080
	v_fmac_f32_e32 v51, v56, v6
	v_fmac_f32_e32 v49, v57, v6
	s_waitcnt lgkmcnt(0)
	v_fmac_f32_e32 v48, v56, v52
	v_fmac_f32_e32 v27, v57, v52
	ds_read2_b32 v[56:57], v44 offset0:32 offset1:48
	s_waitcnt lgkmcnt(0)
	v_fmac_f32_e32 v51, v56, v7
	v_fmac_f32_e32 v49, v57, v7
	ds_read2_b32 v[6:7], v44 offset0:64 offset1:80
	v_fmac_f32_e32 v48, v56, v53
	v_fmac_f32_e32 v27, v57, v53
	ds_read2_b32 v[52:53], v44 offset0:128 offset1:144
	s_waitcnt lgkmcnt(1)
	v_fmac_f32_e32 v51, v6, v8
	v_fmac_f32_e32 v49, v7, v8
	;; [unrolled: 1-line block ×4, first 2 shown]
	ds_read2_b32 v[6:7], v44 offset0:96 offset1:112
	s_waitcnt lgkmcnt(0)
	v_fmac_f32_e32 v51, v6, v9
	v_fmac_f32_e32 v49, v7, v9
	;; [unrolled: 1-line block ×4, first 2 shown]
	ds_read_b128 v[6:9], v37 offset:2096
	v_fmac_f32_e32 v51, v52, v2
	v_fmac_f32_e32 v49, v53, v2
	s_waitcnt lgkmcnt(0)
	v_fmac_f32_e32 v48, v52, v6
	v_fmac_f32_e32 v27, v53, v6
	ds_read2_b32 v[52:53], v44 offset0:160 offset1:176
	s_waitcnt lgkmcnt(0)
	v_fmac_f32_e32 v51, v52, v3
	v_fmac_f32_e32 v49, v53, v3
	ds_read2_b32 v[2:3], v44 offset0:192 offset1:208
	v_fmac_f32_e32 v48, v52, v7
	v_fmac_f32_e32 v27, v53, v7
	s_waitcnt lgkmcnt(0)
	v_fmac_f32_e32 v51, v2, v4
	v_fmac_f32_e32 v49, v3, v4
	;; [unrolled: 1-line block ×4, first 2 shown]
	ds_read2_b32 v[2:3], v44 offset0:224 offset1:240
	s_waitcnt lgkmcnt(0)
	v_fmac_f32_e32 v51, v2, v5
	v_fmac_f32_e32 v49, v3, v5
	;; [unrolled: 1-line block ×4, first 2 shown]
	ds_read_b128 v[2:5], v37 offset:64
	ds_read2_b32 v[52:53], v45 offset1:16
	ds_read_b128 v[6:9], v37 offset:2112
	s_waitcnt lgkmcnt(1)
	v_fmac_f32_e32 v51, v52, v2
	v_fmac_f32_e32 v49, v53, v2
	s_waitcnt lgkmcnt(0)
	v_fmac_f32_e32 v48, v52, v6
	v_fmac_f32_e32 v27, v53, v6
	ds_read2_b32 v[52:53], v45 offset0:32 offset1:48
	s_waitcnt lgkmcnt(0)
	v_fmac_f32_e32 v51, v52, v3
	v_fmac_f32_e32 v49, v53, v3
	ds_read2_b32 v[2:3], v45 offset0:64 offset1:80
	v_fmac_f32_e32 v48, v52, v7
	v_fmac_f32_e32 v27, v53, v7
	s_waitcnt lgkmcnt(0)
	v_fmac_f32_e32 v51, v2, v4
	v_fmac_f32_e32 v49, v3, v4
	;; [unrolled: 1-line block ×4, first 2 shown]
	ds_read2_b32 v[2:3], v45 offset0:96 offset1:112
	s_waitcnt lgkmcnt(0)
	v_fmac_f32_e32 v51, v2, v5
	v_fmac_f32_e32 v49, v3, v5
	;; [unrolled: 1-line block ×4, first 2 shown]
	ds_read_b128 v[2:5], v37 offset:80
	ds_read2_b32 v[52:53], v45 offset0:128 offset1:144
	ds_read_b128 v[6:9], v37 offset:2128
	s_waitcnt lgkmcnt(1)
	v_fmac_f32_e32 v51, v52, v2
	v_fmac_f32_e32 v49, v53, v2
	s_waitcnt lgkmcnt(0)
	v_fmac_f32_e32 v48, v52, v6
	v_fmac_f32_e32 v27, v53, v6
	ds_read2_b32 v[52:53], v45 offset0:160 offset1:176
	s_waitcnt lgkmcnt(0)
	v_fmac_f32_e32 v51, v52, v3
	v_fmac_f32_e32 v49, v53, v3
	ds_read2_b32 v[2:3], v45 offset0:192 offset1:208
	v_fmac_f32_e32 v48, v52, v7
	v_fmac_f32_e32 v27, v53, v7
	s_waitcnt lgkmcnt(0)
	v_fmac_f32_e32 v51, v2, v4
	v_fmac_f32_e32 v49, v3, v4
	;; [unrolled: 1-line block ×4, first 2 shown]
	ds_read2_b32 v[2:3], v45 offset0:224 offset1:240
	s_waitcnt lgkmcnt(0)
	v_fmac_f32_e32 v51, v2, v5
	v_fmac_f32_e32 v49, v3, v5
	;; [unrolled: 1-line block ×4, first 2 shown]
	ds_read_b128 v[2:5], v37 offset:96
	ds_read2_b32 v[52:53], v46 offset1:16
	ds_read_b128 v[6:9], v37 offset:2144
	s_waitcnt lgkmcnt(1)
	v_fmac_f32_e32 v51, v52, v2
	v_fmac_f32_e32 v49, v53, v2
	s_waitcnt lgkmcnt(0)
	v_fmac_f32_e32 v48, v52, v6
	v_fmac_f32_e32 v27, v53, v6
	ds_read2_b32 v[52:53], v46 offset0:32 offset1:48
	s_waitcnt lgkmcnt(0)
	v_fmac_f32_e32 v51, v52, v3
	v_fmac_f32_e32 v49, v53, v3
	ds_read2_b32 v[2:3], v46 offset0:64 offset1:80
	v_fmac_f32_e32 v48, v52, v7
	v_fmac_f32_e32 v27, v53, v7
	s_waitcnt lgkmcnt(0)
	v_fmac_f32_e32 v51, v2, v4
	v_fmac_f32_e32 v49, v3, v4
	;; [unrolled: 1-line block ×4, first 2 shown]
	ds_read2_b32 v[2:3], v46 offset0:96 offset1:112
	s_waitcnt lgkmcnt(0)
	v_fmac_f32_e32 v51, v2, v5
	v_fmac_f32_e32 v49, v3, v5
	v_fmac_f32_e32 v48, v2, v9
	v_fmac_f32_e32 v27, v3, v9
	ds_read_b128 v[2:5], v37 offset:112
	ds_read2_b32 v[52:53], v46 offset0:128 offset1:144
	ds_read_b128 v[6:9], v37 offset:2160
	s_waitcnt lgkmcnt(1)
	v_fmac_f32_e32 v51, v52, v2
	v_fmac_f32_e32 v49, v53, v2
	s_waitcnt lgkmcnt(0)
	v_fmac_f32_e32 v48, v52, v6
	v_fmac_f32_e32 v27, v53, v6
	ds_read2_b32 v[52:53], v46 offset0:160 offset1:176
	s_waitcnt lgkmcnt(0)
	v_fmac_f32_e32 v51, v52, v3
	v_fmac_f32_e32 v49, v53, v3
	ds_read2_b32 v[2:3], v46 offset0:192 offset1:208
	v_fmac_f32_e32 v48, v52, v7
	v_fmac_f32_e32 v27, v53, v7
	s_waitcnt lgkmcnt(0)
	v_fmac_f32_e32 v51, v2, v4
	v_fmac_f32_e32 v49, v3, v4
	;; [unrolled: 1-line block ×4, first 2 shown]
	ds_read2_b32 v[2:3], v46 offset0:224 offset1:240
	s_waitcnt lgkmcnt(0)
	s_barrier
	buffer_gl0_inv
	v_fmac_f32_e32 v51, v2, v5
	v_fmac_f32_e32 v49, v3, v5
	;; [unrolled: 1-line block ×4, first 2 shown]
	s_cbranch_scc1 .LBB11_43
.LBB11_7:                               ;   Parent Loop BB11_4 Depth=1
                                        ; =>  This Inner Loop Header: Depth=2
	v_add_co_u32 v4, s5, v1, s16
	v_add_co_ci_u32_e64 v5, null, 0, s17, s5
	v_cmp_eq_u64_e64 s8, s[16:17], v[14:15]
                                        ; implicit-def: $vgpr6
	v_cmp_le_i64_e64 s6, s[10:11], v[4:5]
	v_cmp_gt_i64_e64 s5, v[4:5], v[10:11]
	s_and_b32 s22, s26, s8
	v_add_co_u32 v2, s8, v39, s12
	v_add_co_ci_u32_e64 v3, null, s13, v40, s8
	s_or_b32 s9, s6, s5
	s_or_b32 s8, s9, s22
	s_nor_b32 s8, s0, s8
	s_and_saveexec_b32 s9, s8
	s_xor_b32 s8, exec_lo, s9
	s_cbranch_execz .LBB11_9
; %bb.8:                                ;   in Loop: Header=BB11_7 Depth=2
	global_load_dword v6, v[2:3], off
.LBB11_9:                               ;   in Loop: Header=BB11_7 Depth=2
	s_andn2_saveexec_b32 s8, s8
	s_cbranch_execz .LBB11_11
; %bb.10:                               ;   in Loop: Header=BB11_7 Depth=2
	s_waitcnt vmcnt(0)
	v_cndmask_b32_e64 v6, 0, 1.0, s22
.LBB11_11:                              ;   in Loop: Header=BB11_7 Depth=2
	s_or_b32 exec_lo, exec_lo, s8
	v_cmp_eq_u64_e64 s8, s[16:17], v[16:17]
	v_cmp_lt_i64_e64 s9, v[12:13], v[4:5]
	s_waitcnt vmcnt(0)
	ds_write_b32 v36, v6
	s_and_b32 s8, s26, s8
	s_or_b32 s6, s6, s9
	s_or_b32 s6, s6, s8
	s_nor_b32 s6, s3, s6
	s_and_saveexec_b32 s9, s6
	s_xor_b32 s9, exec_lo, s9
	s_cbranch_execz .LBB11_13
; %bb.12:                               ;   in Loop: Header=BB11_7 Depth=2
	v_add_co_u32 v6, s6, v41, s12
	v_add_co_ci_u32_e64 v7, null, s13, v42, s6
	global_load_dword v6, v[6:7], off
	s_waitcnt vmcnt(0)
	ds_write_b32 v36, v6 offset:64
.LBB11_13:                              ;   in Loop: Header=BB11_7 Depth=2
	s_andn2_saveexec_b32 s6, s9
	s_cbranch_execz .LBB11_19
; %bb.14:                               ;   in Loop: Header=BB11_7 Depth=2
	s_xor_b32 s8, s8, -1
	s_and_saveexec_b32 s9, s8
	s_xor_b32 s8, exec_lo, s9
; %bb.15:                               ;   in Loop: Header=BB11_7 Depth=2
	ds_write_b32 v36, v35 offset:64
; %bb.16:                               ;   in Loop: Header=BB11_7 Depth=2
	s_andn2_saveexec_b32 s8, s8
; %bb.17:                               ;   in Loop: Header=BB11_7 Depth=2
	ds_write_b32 v36, v43 offset:64
; %bb.18:                               ;   in Loop: Header=BB11_7 Depth=2
	s_or_b32 exec_lo, exec_lo, s8
.LBB11_19:                              ;   in Loop: Header=BB11_7 Depth=2
	s_or_b32 exec_lo, exec_lo, s6
	v_add_co_u32 v4, s6, v4, 16
	v_add_co_ci_u32_e64 v5, null, 0, v5, s6
	v_cmp_eq_u64_e64 s8, s[16:17], v[20:21]
	v_cmp_le_i64_e64 s6, s[10:11], v[4:5]
	v_cmp_gt_i64_e64 s9, v[4:5], v[10:11]
                                        ; implicit-def: $vgpr4
	s_and_b32 s8, s26, s8
	s_or_b32 s9, s6, s9
	s_or_b32 s9, s9, s8
	s_nor_b32 s9, s0, s9
	s_and_saveexec_b32 s23, s9
	s_xor_b32 s9, exec_lo, s23
	s_cbranch_execz .LBB11_21
; %bb.20:                               ;   in Loop: Header=BB11_7 Depth=2
	global_load_dword v4, v[2:3], off offset:64
.LBB11_21:                              ;   in Loop: Header=BB11_7 Depth=2
	s_andn2_saveexec_b32 s9, s9
	s_cbranch_execz .LBB11_23
; %bb.22:                               ;   in Loop: Header=BB11_7 Depth=2
	s_waitcnt vmcnt(0)
	v_cndmask_b32_e64 v4, 0, 1.0, s8
.LBB11_23:                              ;   in Loop: Header=BB11_7 Depth=2
	s_or_b32 exec_lo, exec_lo, s9
	s_or_b32 s5, s6, s5
	s_waitcnt vmcnt(0)
	ds_write_b32 v36, v4 offset:2048
	s_or_b32 s5, s5, s22
	s_nor_b32 s5, s3, s5
	s_and_saveexec_b32 s6, s5
	s_xor_b32 s6, exec_lo, s6
	s_cbranch_execz .LBB11_25
; %bb.24:                               ;   in Loop: Header=BB11_7 Depth=2
	v_add_co_u32 v2, s5, v41, s12
	v_add_co_ci_u32_e64 v3, null, s13, v42, s5
	global_load_dword v2, v[2:3], off offset:64
	s_waitcnt vmcnt(0)
	ds_write_b32 v36, v2 offset:2112
.LBB11_25:                              ;   in Loop: Header=BB11_7 Depth=2
	s_andn2_saveexec_b32 s5, s6
	s_cbranch_execz .LBB11_31
; %bb.26:                               ;   in Loop: Header=BB11_7 Depth=2
	s_xor_b32 s6, s22, -1
	s_and_saveexec_b32 s8, s6
	s_xor_b32 s6, exec_lo, s8
; %bb.27:                               ;   in Loop: Header=BB11_7 Depth=2
	ds_write_b32 v36, v35 offset:2112
; %bb.28:                               ;   in Loop: Header=BB11_7 Depth=2
	s_andn2_saveexec_b32 s6, s6
; %bb.29:                               ;   in Loop: Header=BB11_7 Depth=2
	ds_write_b32 v36, v43 offset:2112
; %bb.30:                               ;   in Loop: Header=BB11_7 Depth=2
	s_or_b32 exec_lo, exec_lo, s6
.LBB11_31:                              ;   in Loop: Header=BB11_7 Depth=2
	s_or_b32 exec_lo, exec_lo, s5
	v_add_co_u32 v4, s5, v0, s16
	v_add_co_ci_u32_e64 v5, null, 0, s17, s5
	v_add_co_u32 v2, s6, v30, s12
	v_add_co_ci_u32_e64 v3, null, s13, v31, s6
	v_cmp_gt_i64_e64 s5, s[10:11], v[4:5]
	v_mov_b32_e32 v6, 0
	s_and_b32 s8, vcc_lo, s5
	s_and_saveexec_b32 s6, s8
	s_cbranch_execz .LBB11_33
; %bb.32:                               ;   in Loop: Header=BB11_7 Depth=2
	global_load_dword v6, v[2:3], off offset:-64
.LBB11_33:                              ;   in Loop: Header=BB11_7 Depth=2
	s_or_b32 exec_lo, exec_lo, s6
	v_cmp_gt_i64_e64 s6, s[14:15], v[4:5]
	s_waitcnt vmcnt(0)
	ds_write_b32 v38, v6
	s_and_b32 s8, vcc_lo, s6
	s_xor_b32 s8, s8, -1
	s_and_saveexec_b32 s9, s8
	s_xor_b32 s8, exec_lo, s9
; %bb.34:                               ;   in Loop: Header=BB11_7 Depth=2
	ds_write_b32 v38, v35 offset:64
                                        ; implicit-def: $vgpr2_vgpr3
; %bb.35:                               ;   in Loop: Header=BB11_7 Depth=2
	s_andn2_saveexec_b32 s8, s8
	s_cbranch_execz .LBB11_37
; %bb.36:                               ;   in Loop: Header=BB11_7 Depth=2
	global_load_dword v2, v[2:3], off
	s_waitcnt vmcnt(0)
	ds_write_b32 v38, v2 offset:64
.LBB11_37:                              ;   in Loop: Header=BB11_7 Depth=2
	s_or_b32 exec_lo, exec_lo, s8
	v_add_co_u32 v2, s8, v32, s12
	v_add_co_ci_u32_e64 v3, null, s13, v33, s8
	v_mov_b32_e32 v4, 0
	s_and_b32 s8, s4, s5
	s_and_saveexec_b32 s5, s8
	s_cbranch_execz .LBB11_39
; %bb.38:                               ;   in Loop: Header=BB11_7 Depth=2
	global_load_dword v4, v[2:3], off
.LBB11_39:                              ;   in Loop: Header=BB11_7 Depth=2
	s_or_b32 exec_lo, exec_lo, s5
	s_and_b32 s5, s4, s6
	s_waitcnt vmcnt(0)
	ds_write_b32 v38, v4 offset:2048
	s_xor_b32 s5, s5, -1
	s_and_saveexec_b32 s6, s5
	s_xor_b32 s5, exec_lo, s6
; %bb.40:                               ;   in Loop: Header=BB11_7 Depth=2
	ds_write_b32 v38, v35 offset:2112
                                        ; implicit-def: $vgpr2_vgpr3
; %bb.41:                               ;   in Loop: Header=BB11_7 Depth=2
	s_andn2_saveexec_b32 s5, s5
	s_cbranch_execz .LBB11_6
; %bb.42:                               ;   in Loop: Header=BB11_7 Depth=2
	global_load_dword v2, v[2:3], off offset:64
	s_waitcnt vmcnt(0)
	ds_write_b32 v38, v2 offset:2112
	s_branch .LBB11_6
.LBB11_43:                              ;   in Loop: Header=BB11_4 Depth=1
	v_mul_lo_u32 v4, s41, v47
	v_mul_lo_u32 v5, s40, v50
	v_mad_u64_u32 v[2:3], null, s40, v47, 0
	v_cmp_gt_i32_e32 vcc_lo, s30, v47
	v_add3_u32 v3, v3, v5, v4
	v_lshlrev_b64 v[2:3], 2, v[2:3]
	v_add_co_u32 v2, s4, s27, v2
	v_add_co_ci_u32_e64 v3, null, s36, v3, s4
	s_and_b32 s4, s1, vcc_lo
	s_and_saveexec_b32 s5, s4
	s_cbranch_execz .LBB11_45
; %bb.44:                               ;   in Loop: Header=BB11_4 Depth=1
	v_add_co_u32 v4, s4, v2, v18
	v_add_co_ci_u32_e64 v5, null, v3, v19, s4
	global_load_dword v6, v[4:5], off
	s_waitcnt vmcnt(0)
	v_fmac_f32_e32 v6, s31, v51
	global_store_dword v[4:5], v6, off
.LBB11_45:                              ;   in Loop: Header=BB11_4 Depth=1
	s_or_b32 exec_lo, exec_lo, s5
	s_and_b32 s5, s2, vcc_lo
	s_and_saveexec_b32 s4, s5
	s_cbranch_execz .LBB11_47
; %bb.46:                               ;   in Loop: Header=BB11_4 Depth=1
	v_add_co_u32 v2, vcc_lo, v2, v28
	v_add_co_ci_u32_e64 v3, null, v3, v29, vcc_lo
	global_load_dword v4, v[2:3], off
	s_waitcnt vmcnt(0)
	v_fmac_f32_e32 v4, s31, v49
	global_store_dword v[2:3], v4, off
.LBB11_47:                              ;   in Loop: Header=BB11_4 Depth=1
	s_or_b32 exec_lo, exec_lo, s4
	v_add_nc_u32_e32 v4, 16, v47
	v_ashrrev_i32_e32 v5, 31, v4
	v_mul_lo_u32 v6, s41, v4
	v_mad_u64_u32 v[2:3], null, s40, v4, 0
	v_cmp_gt_i32_e32 vcc_lo, s30, v4
	v_mul_lo_u32 v5, s40, v5
	v_add3_u32 v3, v3, v5, v6
	v_lshlrev_b64 v[2:3], 2, v[2:3]
	v_add_co_u32 v2, s4, s27, v2
	v_add_co_ci_u32_e64 v3, null, s36, v3, s4
	s_and_b32 s4, s1, vcc_lo
	s_and_saveexec_b32 s5, s4
	s_cbranch_execz .LBB11_49
; %bb.48:                               ;   in Loop: Header=BB11_4 Depth=1
	v_add_co_u32 v4, s4, v2, v18
	v_add_co_ci_u32_e64 v5, null, v3, v19, s4
	global_load_dword v6, v[4:5], off
	s_waitcnt vmcnt(0)
	v_fmac_f32_e32 v6, s31, v48
	global_store_dword v[4:5], v6, off
.LBB11_49:                              ;   in Loop: Header=BB11_4 Depth=1
	s_or_b32 exec_lo, exec_lo, s5
	s_and_b32 s5, s2, vcc_lo
	s_and_saveexec_b32 s4, s5
	s_cbranch_execz .LBB11_3
; %bb.50:                               ;   in Loop: Header=BB11_4 Depth=1
	v_add_co_u32 v2, vcc_lo, v2, v28
	v_add_co_ci_u32_e64 v3, null, v3, v29, vcc_lo
	global_load_dword v4, v[2:3], off
	s_waitcnt vmcnt(0)
	v_fmac_f32_e32 v4, s31, v27
	global_store_dword v[2:3], v4, off
	s_branch .LBB11_3
.LBB11_51:
	s_endpgm
	.section	.rodata,"a",@progbits
	.p2align	6, 0x0
	.amdhsa_kernel _ZL30rocblas_trmm_outofplace_kernelIfLi32ELi2ELb1ELb1ELb1ELb1EfKffEv17rocblas_diagonal_iiT6_lPT7_lllS4_lllPT8_llli
		.amdhsa_group_segment_fixed_size 8192
		.amdhsa_private_segment_fixed_size 0
		.amdhsa_kernarg_size 384
		.amdhsa_user_sgpr_count 6
		.amdhsa_user_sgpr_private_segment_buffer 1
		.amdhsa_user_sgpr_dispatch_ptr 0
		.amdhsa_user_sgpr_queue_ptr 0
		.amdhsa_user_sgpr_kernarg_segment_ptr 1
		.amdhsa_user_sgpr_dispatch_id 0
		.amdhsa_user_sgpr_flat_scratch_init 0
		.amdhsa_user_sgpr_private_segment_size 0
		.amdhsa_wavefront_size32 1
		.amdhsa_uses_dynamic_stack 0
		.amdhsa_system_sgpr_private_segment_wavefront_offset 0
		.amdhsa_system_sgpr_workgroup_id_x 1
		.amdhsa_system_sgpr_workgroup_id_y 1
		.amdhsa_system_sgpr_workgroup_id_z 1
		.amdhsa_system_sgpr_workgroup_info 0
		.amdhsa_system_vgpr_workitem_id 1
		.amdhsa_next_free_vgpr 66
		.amdhsa_next_free_sgpr 45
		.amdhsa_reserve_vcc 1
		.amdhsa_reserve_flat_scratch 0
		.amdhsa_float_round_mode_32 0
		.amdhsa_float_round_mode_16_64 0
		.amdhsa_float_denorm_mode_32 3
		.amdhsa_float_denorm_mode_16_64 3
		.amdhsa_dx10_clamp 1
		.amdhsa_ieee_mode 1
		.amdhsa_fp16_overflow 0
		.amdhsa_workgroup_processor_mode 1
		.amdhsa_memory_ordered 1
		.amdhsa_forward_progress 1
		.amdhsa_shared_vgpr_count 0
		.amdhsa_exception_fp_ieee_invalid_op 0
		.amdhsa_exception_fp_denorm_src 0
		.amdhsa_exception_fp_ieee_div_zero 0
		.amdhsa_exception_fp_ieee_overflow 0
		.amdhsa_exception_fp_ieee_underflow 0
		.amdhsa_exception_fp_ieee_inexact 0
		.amdhsa_exception_int_div_zero 0
	.end_amdhsa_kernel
	.section	.text._ZL30rocblas_trmm_outofplace_kernelIfLi32ELi2ELb1ELb1ELb1ELb1EfKffEv17rocblas_diagonal_iiT6_lPT7_lllS4_lllPT8_llli,"axG",@progbits,_ZL30rocblas_trmm_outofplace_kernelIfLi32ELi2ELb1ELb1ELb1ELb1EfKffEv17rocblas_diagonal_iiT6_lPT7_lllS4_lllPT8_llli,comdat
.Lfunc_end11:
	.size	_ZL30rocblas_trmm_outofplace_kernelIfLi32ELi2ELb1ELb1ELb1ELb1EfKffEv17rocblas_diagonal_iiT6_lPT7_lllS4_lllPT8_llli, .Lfunc_end11-_ZL30rocblas_trmm_outofplace_kernelIfLi32ELi2ELb1ELb1ELb1ELb1EfKffEv17rocblas_diagonal_iiT6_lPT7_lllS4_lllPT8_llli
                                        ; -- End function
	.set _ZL30rocblas_trmm_outofplace_kernelIfLi32ELi2ELb1ELb1ELb1ELb1EfKffEv17rocblas_diagonal_iiT6_lPT7_lllS4_lllPT8_llli.num_vgpr, 66
	.set _ZL30rocblas_trmm_outofplace_kernelIfLi32ELi2ELb1ELb1ELb1ELb1EfKffEv17rocblas_diagonal_iiT6_lPT7_lllS4_lllPT8_llli.num_agpr, 0
	.set _ZL30rocblas_trmm_outofplace_kernelIfLi32ELi2ELb1ELb1ELb1ELb1EfKffEv17rocblas_diagonal_iiT6_lPT7_lllS4_lllPT8_llli.numbered_sgpr, 45
	.set _ZL30rocblas_trmm_outofplace_kernelIfLi32ELi2ELb1ELb1ELb1ELb1EfKffEv17rocblas_diagonal_iiT6_lPT7_lllS4_lllPT8_llli.num_named_barrier, 0
	.set _ZL30rocblas_trmm_outofplace_kernelIfLi32ELi2ELb1ELb1ELb1ELb1EfKffEv17rocblas_diagonal_iiT6_lPT7_lllS4_lllPT8_llli.private_seg_size, 0
	.set _ZL30rocblas_trmm_outofplace_kernelIfLi32ELi2ELb1ELb1ELb1ELb1EfKffEv17rocblas_diagonal_iiT6_lPT7_lllS4_lllPT8_llli.uses_vcc, 1
	.set _ZL30rocblas_trmm_outofplace_kernelIfLi32ELi2ELb1ELb1ELb1ELb1EfKffEv17rocblas_diagonal_iiT6_lPT7_lllS4_lllPT8_llli.uses_flat_scratch, 0
	.set _ZL30rocblas_trmm_outofplace_kernelIfLi32ELi2ELb1ELb1ELb1ELb1EfKffEv17rocblas_diagonal_iiT6_lPT7_lllS4_lllPT8_llli.has_dyn_sized_stack, 0
	.set _ZL30rocblas_trmm_outofplace_kernelIfLi32ELi2ELb1ELb1ELb1ELb1EfKffEv17rocblas_diagonal_iiT6_lPT7_lllS4_lllPT8_llli.has_recursion, 0
	.set _ZL30rocblas_trmm_outofplace_kernelIfLi32ELi2ELb1ELb1ELb1ELb1EfKffEv17rocblas_diagonal_iiT6_lPT7_lllS4_lllPT8_llli.has_indirect_call, 0
	.section	.AMDGPU.csdata,"",@progbits
; Kernel info:
; codeLenInByte = 3052
; TotalNumSgprs: 47
; NumVgprs: 66
; ScratchSize: 0
; MemoryBound: 0
; FloatMode: 240
; IeeeMode: 1
; LDSByteSize: 8192 bytes/workgroup (compile time only)
; SGPRBlocks: 0
; VGPRBlocks: 8
; NumSGPRsForWavesPerEU: 47
; NumVGPRsForWavesPerEU: 66
; Occupancy: 12
; WaveLimiterHint : 0
; COMPUTE_PGM_RSRC2:SCRATCH_EN: 0
; COMPUTE_PGM_RSRC2:USER_SGPR: 6
; COMPUTE_PGM_RSRC2:TRAP_HANDLER: 0
; COMPUTE_PGM_RSRC2:TGID_X_EN: 1
; COMPUTE_PGM_RSRC2:TGID_Y_EN: 1
; COMPUTE_PGM_RSRC2:TGID_Z_EN: 1
; COMPUTE_PGM_RSRC2:TIDIG_COMP_CNT: 1
	.section	.text._ZL30rocblas_trmm_outofplace_kernelIfLi32ELi2ELb0ELb0ELb0ELb0EPKfS0_fEv17rocblas_diagonal_iiT6_lPT7_lllS5_lllPT8_llli,"axG",@progbits,_ZL30rocblas_trmm_outofplace_kernelIfLi32ELi2ELb0ELb0ELb0ELb0EPKfS0_fEv17rocblas_diagonal_iiT6_lPT7_lllS5_lllPT8_llli,comdat
	.globl	_ZL30rocblas_trmm_outofplace_kernelIfLi32ELi2ELb0ELb0ELb0ELb0EPKfS0_fEv17rocblas_diagonal_iiT6_lPT7_lllS5_lllPT8_llli ; -- Begin function _ZL30rocblas_trmm_outofplace_kernelIfLi32ELi2ELb0ELb0ELb0ELb0EPKfS0_fEv17rocblas_diagonal_iiT6_lPT7_lllS5_lllPT8_llli
	.p2align	8
	.type	_ZL30rocblas_trmm_outofplace_kernelIfLi32ELi2ELb0ELb0ELb0ELb0EPKfS0_fEv17rocblas_diagonal_iiT6_lPT7_lllS5_lllPT8_llli,@function
_ZL30rocblas_trmm_outofplace_kernelIfLi32ELi2ELb0ELb0ELb0ELb0EPKfS0_fEv17rocblas_diagonal_iiT6_lPT7_lllS5_lllPT8_llli: ; @_ZL30rocblas_trmm_outofplace_kernelIfLi32ELi2ELb0ELb0ELb0ELb0EPKfS0_fEv17rocblas_diagonal_iiT6_lPT7_lllS5_lllPT8_llli
; %bb.0:
	s_load_dwordx16 s[12:27], s[4:5], 0x10
	s_waitcnt lgkmcnt(0)
	s_mul_i32 s0, s15, s8
	s_mul_hi_u32 s1, s14, s8
	s_add_i32 s1, s1, s0
	s_mul_i32 s0, s14, s8
	s_lshl_b64 s[0:1], s[0:1], 2
	s_add_u32 s0, s12, s0
	s_addc_u32 s1, s13, s1
	s_load_dword s11, s[0:1], 0x0
	s_waitcnt lgkmcnt(0)
	v_cmp_eq_f32_e64 s0, s11, 0
	s_and_b32 vcc_lo, exec_lo, s0
	s_cbranch_vccnz .LBB12_51
; %bb.1:
	s_load_dwordx4 s[12:15], s[4:5], 0x0
	s_waitcnt lgkmcnt(0)
	s_add_i32 s0, s14, -1
	s_ashr_i32 s1, s0, 31
	s_lshr_b32 s1, s1, 27
	s_add_i32 s0, s0, s1
	s_ashr_i32 s33, s0, 5
	s_cmp_gt_i32 s7, s33
	s_cbranch_scc1 .LBB12_51
; %bb.2:
	s_clause 0x2
	s_load_dwordx4 s[28:31], s[4:5], 0x70
	s_load_dwordx8 s[36:43], s[4:5], 0x50
	s_load_dword s44, s[4:5], 0x8c
	v_lshl_add_u32 v2, s6, 5, v0
	v_lshlrev_b32_e32 v42, 7, v1
	v_lshlrev_b32_e32 v4, 2, v0
	s_mul_i32 s4, s23, s8
	s_mul_hi_u32 s5, s22, s8
	v_add_nc_u32_e32 v10, 16, v2
	v_cmp_gt_i32_e32 vcc_lo, s13, v2
	v_add_nc_u32_e32 v43, v42, v4
	v_or_b32_e32 v44, 0x1000, v4
	v_ashrrev_i32_e32 v3, 31, v2
	v_ashrrev_i32_e32 v11, 31, v10
	v_mov_b32_e32 v46, 1.0
	v_add_nc_u32_e32 v45, v44, v42
	v_lshlrev_b64 v[16:17], 2, v[2:3]
	v_add_nc_u32_e32 v47, 0x400, v44
	v_add_nc_u32_e32 v48, 0x800, v44
	s_waitcnt lgkmcnt(0)
	s_mul_i32 s1, s31, s8
	s_mul_hi_u32 s2, s30, s8
	s_mul_i32 s0, s30, s8
	s_add_i32 s1, s2, s1
	v_add_nc_u32_e32 v49, 0xc00, v44
	s_lshl_b64 s[0:1], s[0:1], 2
	s_add_u32 s6, s40, s0
	s_addc_u32 s1, s41, s1
	s_lshl_b64 s[2:3], s[42:43], 2
	v_cmp_gt_i32_e64 s0, s13, v10
	s_add_u32 s40, s6, s2
	s_addc_u32 s41, s1, s3
	s_cmpk_eq_i32 s12, 0x84
	v_sub_co_u32 v4, s1, s13, v2
	s_cselect_b32 s42, -1, 0
	s_ashr_i32 s15, s14, 31
	s_ashr_i32 s2, s13, 31
	s_lshl_b64 s[30:31], s[36:37], 7
	s_add_u32 s12, s14, -16
	s_addc_u32 s13, s15, -1
	s_add_i32 s5, s5, s4
	s_mul_i32 s4, s22, s8
	s_lshl_b64 s[18:19], s[18:19], 2
	s_lshl_b64 s[4:5], s[4:5], 2
	s_lshl_b32 s3, s7, 5
	s_lshl_b32 s43, s44, 5
	s_add_u32 s4, s4, s18
	s_addc_u32 s5, s5, s19
	s_add_u32 s16, s16, s4
	s_addc_u32 s17, s17, s5
	s_mul_i32 s4, s39, s8
	s_mul_hi_u32 s5, s38, s8
	s_add_u32 s18, s24, 64
	s_addc_u32 s19, s25, 0
	s_add_i32 s5, s5, s4
	s_mul_i32 s4, s38, s8
	v_sub_co_ci_u32_e64 v5, null, s2, v3, s1
	s_lshl_b64 s[4:5], s[4:5], 2
	s_lshl_b64 s[8:9], s[26:27], 2
	;; [unrolled: 1-line block ×3, first 2 shown]
	v_add_nc_u32_e32 v12, s3, v0
	v_add_nc_u32_e32 v14, s3, v1
	s_add_u32 s3, s4, s8
	s_addc_u32 s4, s5, s9
	v_add_co_u32 v18, s3, s3, v16
	v_cmp_gt_i64_e64 s1, 1, v[4:5]
	v_cmp_gt_i64_e64 s2, 17, v[4:5]
	v_add_co_ci_u32_e64 v19, null, s4, v17, s3
	v_mov_b32_e32 v0, 0
	s_lshl_b64 s[26:27], s[20:21], 2
	s_branch .LBB12_4
.LBB12_3:                               ;   in Loop: Header=BB12_4 Depth=1
	s_or_b32 exec_lo, exec_lo, s4
	v_add_nc_u32_e32 v12, s43, v12
	v_add_nc_u32_e32 v14, s43, v14
	s_add_i32 s7, s44, s7
	s_cmp_le_i32 s7, s33
	s_cbranch_scc0 .LBB12_51
.LBB12_4:                               ; =>This Loop Header: Depth=1
                                        ;     Child Loop BB12_7 Depth 2
	s_lshl_b32 s3, s7, 5
	v_ashrrev_i32_e32 v13, 31, v12
	v_add_nc_u32_e32 v20, s3, v1
	v_ashrrev_i32_e32 v15, 31, v14
	v_mov_b32_e32 v53, 0
	v_mov_b32_e32 v52, 0
	;; [unrolled: 1-line block ×3, first 2 shown]
	v_ashrrev_i32_e32 v21, 31, v20
	v_mov_b32_e32 v50, 0
	s_sub_i32 s38, s14, s3
	s_cmp_lt_i32 s38, 1
	s_cbranch_scc1 .LBB12_43
; %bb.5:                                ;   in Loop: Header=BB12_4 Depth=1
	v_lshlrev_b64 v[2:3], 2, v[14:15]
	v_mad_u64_u32 v[28:29], null, s22, v14, s[18:19]
	v_mul_lo_u32 v6, s22, v15
	v_mul_lo_u32 v7, s23, v14
	v_mad_u64_u32 v[30:31], null, s26, v14, s[16:17]
	v_add_co_u32 v2, s3, v2, 64
	v_add_co_ci_u32_e64 v3, null, 0, v3, s3
	v_sub_co_u32 v22, s3, v14, v12
	v_mul_lo_u32 v36, s37, v2
	v_mul_lo_u32 v4, s20, v3
	;; [unrolled: 1-line block ×3, first 2 shown]
	v_mad_u64_u32 v[32:33], null, s36, v2, s[24:25]
	v_sub_co_ci_u32_e64 v23, null, v15, v13, s3
	v_mul_lo_u32 v5, s21, v2
	v_mad_u64_u32 v[26:27], null, s20, v2, s[16:17]
	v_mul_lo_u32 v8, s26, v15
	v_mul_lo_u32 v9, s27, v14
	v_add_co_u32 v34, s3, v20, 16
	v_add_co_ci_u32_e64 v35, null, 0, v21, s3
	v_add3_u32 v33, v36, v33, v3
	v_add_co_u32 v36, s5, v22, 16
	v_add_co_ci_u32_e64 v37, null, 0, v23, s5
	v_add_co_u32 v38, s5, v22, -16
	v_lshlrev_b64 v[24:25], 2, v[12:13]
	v_cmp_le_i64_e64 s4, s[14:15], v[34:35]
	v_mov_b32_e32 v41, v19
	v_add3_u32 v27, v5, v27, v4
	v_add3_u32 v29, v7, v29, v6
	;; [unrolled: 1-line block ×3, first 2 shown]
	v_cmp_le_i32_e64 s3, s14, v20
	v_add_co_ci_u32_e64 v39, null, -1, v23, s5
	v_mov_b32_e32 v50, 0
	v_mov_b32_e32 v40, v18
	;; [unrolled: 1-line block ×5, first 2 shown]
	s_mov_b64 s[34:35], 0
	s_branch .LBB12_7
.LBB12_6:                               ;   in Loop: Header=BB12_7 Depth=2
	s_or_b32 exec_lo, exec_lo, s5
	s_waitcnt lgkmcnt(0)
	s_barrier
	buffer_gl0_inv
	ds_read_b128 v[54:57], v42
	ds_read_b128 v[58:61], v42 offset:16
	ds_read_b128 v[6:9], v42 offset:32
	;; [unrolled: 1-line block ×3, first 2 shown]
	ds_read2_b32 v[66:67], v44 offset1:16
	ds_read_b128 v[62:65], v42 offset:2048
	v_add_co_u32 v26, s5, 0x80, v26
	v_add_co_ci_u32_e64 v27, null, 0, v27, s5
	v_add_co_u32 v40, s5, v40, s30
	v_add_co_ci_u32_e64 v41, null, s31, v41, s5
	;; [unrolled: 2-line block ×3, first 2 shown]
	s_add_u32 s34, s34, 32
	s_addc_u32 s35, s35, 0
	s_cmp_ge_i32 s34, s38
	s_waitcnt lgkmcnt(1)
	v_fmac_f32_e32 v53, v66, v54
	v_fmac_f32_e32 v52, v67, v54
	s_waitcnt lgkmcnt(0)
	v_fmac_f32_e32 v51, v66, v62
	v_fmac_f32_e32 v50, v67, v62
	ds_read2_b32 v[66:67], v44 offset0:32 offset1:48
	s_waitcnt lgkmcnt(0)
	v_fmac_f32_e32 v53, v66, v55
	v_fmac_f32_e32 v52, v67, v55
	ds_read2_b32 v[54:55], v44 offset0:64 offset1:80
	v_fmac_f32_e32 v51, v66, v63
	v_fmac_f32_e32 v50, v67, v63
	ds_read2_b32 v[62:63], v44 offset0:128 offset1:144
	s_waitcnt lgkmcnt(1)
	v_fmac_f32_e32 v53, v54, v56
	v_fmac_f32_e32 v52, v55, v56
	;; [unrolled: 1-line block ×4, first 2 shown]
	ds_read2_b32 v[54:55], v44 offset0:96 offset1:112
	s_waitcnt lgkmcnt(0)
	v_fmac_f32_e32 v53, v54, v57
	v_fmac_f32_e32 v52, v55, v57
	;; [unrolled: 1-line block ×4, first 2 shown]
	ds_read_b128 v[54:57], v42 offset:2064
	v_fmac_f32_e32 v53, v62, v58
	v_fmac_f32_e32 v52, v63, v58
	s_waitcnt lgkmcnt(0)
	v_fmac_f32_e32 v51, v62, v54
	v_fmac_f32_e32 v50, v63, v54
	ds_read2_b32 v[62:63], v44 offset0:160 offset1:176
	s_waitcnt lgkmcnt(0)
	v_fmac_f32_e32 v51, v62, v55
	v_fmac_f32_e32 v50, v63, v55
	ds_read2_b32 v[54:55], v44 offset0:192 offset1:208
	v_fmac_f32_e32 v53, v62, v59
	v_fmac_f32_e32 v52, v63, v59
	ds_read2_b32 v[58:59], v47 offset1:16
	s_waitcnt lgkmcnt(1)
	v_fmac_f32_e32 v53, v54, v60
	v_fmac_f32_e32 v52, v55, v60
	v_fmac_f32_e32 v51, v54, v56
	v_fmac_f32_e32 v50, v55, v56
	ds_read2_b32 v[54:55], v44 offset0:224 offset1:240
	s_waitcnt lgkmcnt(0)
	v_fmac_f32_e32 v53, v54, v61
	v_fmac_f32_e32 v52, v55, v61
	;; [unrolled: 1-line block ×4, first 2 shown]
	ds_read_b128 v[54:57], v42 offset:2080
	v_fmac_f32_e32 v53, v58, v6
	v_fmac_f32_e32 v52, v59, v6
	s_waitcnt lgkmcnt(0)
	v_fmac_f32_e32 v51, v58, v54
	v_fmac_f32_e32 v50, v59, v54
	ds_read2_b32 v[58:59], v47 offset0:32 offset1:48
	s_waitcnt lgkmcnt(0)
	v_fmac_f32_e32 v53, v58, v7
	v_fmac_f32_e32 v52, v59, v7
	ds_read2_b32 v[6:7], v47 offset0:64 offset1:80
	v_fmac_f32_e32 v51, v58, v55
	v_fmac_f32_e32 v50, v59, v55
	ds_read2_b32 v[54:55], v47 offset0:128 offset1:144
	s_waitcnt lgkmcnt(1)
	v_fmac_f32_e32 v53, v6, v8
	v_fmac_f32_e32 v52, v7, v8
	;; [unrolled: 1-line block ×4, first 2 shown]
	ds_read2_b32 v[6:7], v47 offset0:96 offset1:112
	s_waitcnt lgkmcnt(0)
	v_fmac_f32_e32 v53, v6, v9
	v_fmac_f32_e32 v52, v7, v9
	v_fmac_f32_e32 v51, v6, v57
	v_fmac_f32_e32 v50, v7, v57
	ds_read_b128 v[6:9], v42 offset:2096
	v_fmac_f32_e32 v53, v54, v2
	v_fmac_f32_e32 v52, v55, v2
	s_waitcnt lgkmcnt(0)
	v_fmac_f32_e32 v51, v54, v6
	v_fmac_f32_e32 v50, v55, v6
	ds_read2_b32 v[54:55], v47 offset0:160 offset1:176
	s_waitcnt lgkmcnt(0)
	v_fmac_f32_e32 v53, v54, v3
	v_fmac_f32_e32 v52, v55, v3
	ds_read2_b32 v[2:3], v47 offset0:192 offset1:208
	v_fmac_f32_e32 v51, v54, v7
	v_fmac_f32_e32 v50, v55, v7
	s_waitcnt lgkmcnt(0)
	v_fmac_f32_e32 v53, v2, v4
	v_fmac_f32_e32 v52, v3, v4
	;; [unrolled: 1-line block ×4, first 2 shown]
	ds_read2_b32 v[2:3], v47 offset0:224 offset1:240
	s_waitcnt lgkmcnt(0)
	v_fmac_f32_e32 v53, v2, v5
	v_fmac_f32_e32 v52, v3, v5
	;; [unrolled: 1-line block ×4, first 2 shown]
	ds_read_b128 v[2:5], v42 offset:64
	ds_read2_b32 v[54:55], v48 offset1:16
	ds_read_b128 v[6:9], v42 offset:2112
	s_waitcnt lgkmcnt(1)
	v_fmac_f32_e32 v53, v54, v2
	v_fmac_f32_e32 v52, v55, v2
	s_waitcnt lgkmcnt(0)
	v_fmac_f32_e32 v51, v54, v6
	v_fmac_f32_e32 v50, v55, v6
	ds_read2_b32 v[54:55], v48 offset0:32 offset1:48
	s_waitcnt lgkmcnt(0)
	v_fmac_f32_e32 v53, v54, v3
	v_fmac_f32_e32 v52, v55, v3
	ds_read2_b32 v[2:3], v48 offset0:64 offset1:80
	v_fmac_f32_e32 v51, v54, v7
	v_fmac_f32_e32 v50, v55, v7
	s_waitcnt lgkmcnt(0)
	v_fmac_f32_e32 v53, v2, v4
	v_fmac_f32_e32 v52, v3, v4
	;; [unrolled: 1-line block ×4, first 2 shown]
	ds_read2_b32 v[2:3], v48 offset0:96 offset1:112
	s_waitcnt lgkmcnt(0)
	v_fmac_f32_e32 v53, v2, v5
	v_fmac_f32_e32 v52, v3, v5
	;; [unrolled: 1-line block ×4, first 2 shown]
	ds_read_b128 v[2:5], v42 offset:80
	ds_read2_b32 v[54:55], v48 offset0:128 offset1:144
	ds_read_b128 v[6:9], v42 offset:2128
	s_waitcnt lgkmcnt(1)
	v_fmac_f32_e32 v53, v54, v2
	v_fmac_f32_e32 v52, v55, v2
	s_waitcnt lgkmcnt(0)
	v_fmac_f32_e32 v51, v54, v6
	v_fmac_f32_e32 v50, v55, v6
	ds_read2_b32 v[54:55], v48 offset0:160 offset1:176
	s_waitcnt lgkmcnt(0)
	v_fmac_f32_e32 v53, v54, v3
	v_fmac_f32_e32 v52, v55, v3
	ds_read2_b32 v[2:3], v48 offset0:192 offset1:208
	v_fmac_f32_e32 v51, v54, v7
	v_fmac_f32_e32 v50, v55, v7
	s_waitcnt lgkmcnt(0)
	v_fmac_f32_e32 v53, v2, v4
	v_fmac_f32_e32 v52, v3, v4
	;; [unrolled: 1-line block ×4, first 2 shown]
	ds_read2_b32 v[2:3], v48 offset0:224 offset1:240
	s_waitcnt lgkmcnt(0)
	v_fmac_f32_e32 v53, v2, v5
	v_fmac_f32_e32 v52, v3, v5
	v_fmac_f32_e32 v51, v2, v9
	v_fmac_f32_e32 v50, v3, v9
	ds_read_b128 v[2:5], v42 offset:96
	ds_read2_b32 v[54:55], v49 offset1:16
	ds_read_b128 v[6:9], v42 offset:2144
	s_waitcnt lgkmcnt(1)
	v_fmac_f32_e32 v53, v54, v2
	v_fmac_f32_e32 v52, v55, v2
	s_waitcnt lgkmcnt(0)
	v_fmac_f32_e32 v51, v54, v6
	v_fmac_f32_e32 v50, v55, v6
	ds_read2_b32 v[54:55], v49 offset0:32 offset1:48
	s_waitcnt lgkmcnt(0)
	v_fmac_f32_e32 v53, v54, v3
	v_fmac_f32_e32 v52, v55, v3
	ds_read2_b32 v[2:3], v49 offset0:64 offset1:80
	v_fmac_f32_e32 v51, v54, v7
	v_fmac_f32_e32 v50, v55, v7
	s_waitcnt lgkmcnt(0)
	v_fmac_f32_e32 v53, v2, v4
	v_fmac_f32_e32 v52, v3, v4
	;; [unrolled: 1-line block ×4, first 2 shown]
	ds_read2_b32 v[2:3], v49 offset0:96 offset1:112
	s_waitcnt lgkmcnt(0)
	v_fmac_f32_e32 v53, v2, v5
	v_fmac_f32_e32 v52, v3, v5
	;; [unrolled: 1-line block ×4, first 2 shown]
	ds_read_b128 v[2:5], v42 offset:112
	ds_read2_b32 v[54:55], v49 offset0:128 offset1:144
	ds_read_b128 v[6:9], v42 offset:2160
	s_waitcnt lgkmcnt(1)
	v_fmac_f32_e32 v53, v54, v2
	v_fmac_f32_e32 v52, v55, v2
	s_waitcnt lgkmcnt(0)
	v_fmac_f32_e32 v51, v54, v6
	v_fmac_f32_e32 v50, v55, v6
	ds_read2_b32 v[54:55], v49 offset0:160 offset1:176
	s_waitcnt lgkmcnt(0)
	v_fmac_f32_e32 v53, v54, v3
	v_fmac_f32_e32 v52, v55, v3
	ds_read2_b32 v[2:3], v49 offset0:192 offset1:208
	v_fmac_f32_e32 v51, v54, v7
	v_fmac_f32_e32 v50, v55, v7
	s_waitcnt lgkmcnt(0)
	v_fmac_f32_e32 v53, v2, v4
	v_fmac_f32_e32 v52, v3, v4
	;; [unrolled: 1-line block ×4, first 2 shown]
	ds_read2_b32 v[2:3], v49 offset0:224 offset1:240
	s_waitcnt lgkmcnt(0)
	s_barrier
	buffer_gl0_inv
	v_fmac_f32_e32 v53, v2, v5
	v_fmac_f32_e32 v52, v3, v5
	;; [unrolled: 1-line block ×4, first 2 shown]
	s_cbranch_scc1 .LBB12_43
.LBB12_7:                               ;   Parent Loop BB12_4 Depth=1
                                        ; =>  This Inner Loop Header: Depth=2
	v_add_co_u32 v2, s5, v12, s34
	v_add_co_ci_u32_e64 v3, null, s35, v13, s5
	v_cmp_eq_u64_e64 s8, s[34:35], v[22:23]
	v_add_co_u32 v4, s9, v30, v24
	v_cmp_lt_i64_e64 s5, v[2:3], v[20:21]
	v_cmp_le_i64_e64 s6, s[14:15], v[2:3]
	v_add_co_ci_u32_e64 v5, null, v31, v25, s9
	s_and_b32 s39, s42, s8
                                        ; implicit-def: $vgpr6
	s_or_b32 s9, s3, s5
	s_or_b32 s8, s6, s9
	s_nor_b32 s8, s8, s39
	s_and_saveexec_b32 s9, s8
	s_xor_b32 s8, exec_lo, s9
	s_cbranch_execz .LBB12_9
; %bb.8:                                ;   in Loop: Header=BB12_7 Depth=2
	global_load_dword v6, v[4:5], off
.LBB12_9:                               ;   in Loop: Header=BB12_7 Depth=2
	s_andn2_saveexec_b32 s8, s8
	s_cbranch_execz .LBB12_11
; %bb.10:                               ;   in Loop: Header=BB12_7 Depth=2
	s_waitcnt vmcnt(0)
	v_cndmask_b32_e64 v6, 0, 1.0, s39
.LBB12_11:                              ;   in Loop: Header=BB12_7 Depth=2
	s_or_b32 exec_lo, exec_lo, s8
	v_add_co_u32 v7, s8, v2, 16
	v_add_co_ci_u32_e64 v8, null, 0, v3, s8
	v_cmp_eq_u64_e64 s10, s[34:35], v[38:39]
	s_waitcnt vmcnt(0)
	ds_write_b32 v43, v6
	v_cmp_lt_i64_e64 s9, v[7:8], v[20:21]
	v_cmp_le_i64_e64 s8, s[14:15], v[7:8]
	s_and_b32 s10, s42, s10
	s_or_b32 s9, s3, s9
	s_or_b32 s9, s8, s9
	s_nor_b32 s9, s9, s10
	s_and_saveexec_b32 s45, s9
	s_xor_b32 s9, exec_lo, s45
	s_cbranch_execz .LBB12_13
; %bb.12:                               ;   in Loop: Header=BB12_7 Depth=2
	global_load_dword v4, v[4:5], off offset:64
	s_waitcnt vmcnt(0)
	ds_write_b32 v43, v4 offset:64
.LBB12_13:                              ;   in Loop: Header=BB12_7 Depth=2
	s_andn2_saveexec_b32 s9, s9
	s_cbranch_execz .LBB12_19
; %bb.14:                               ;   in Loop: Header=BB12_7 Depth=2
	s_xor_b32 s10, s10, -1
	s_and_saveexec_b32 s45, s10
	s_xor_b32 s10, exec_lo, s45
; %bb.15:                               ;   in Loop: Header=BB12_7 Depth=2
	ds_write_b32 v43, v0 offset:64
; %bb.16:                               ;   in Loop: Header=BB12_7 Depth=2
	s_andn2_saveexec_b32 s10, s10
; %bb.17:                               ;   in Loop: Header=BB12_7 Depth=2
	ds_write_b32 v43, v46 offset:64
; %bb.18:                               ;   in Loop: Header=BB12_7 Depth=2
	s_or_b32 exec_lo, exec_lo, s10
.LBB12_19:                              ;   in Loop: Header=BB12_7 Depth=2
	s_or_b32 exec_lo, exec_lo, s9
	v_cmp_eq_u64_e64 s9, s[34:35], v[36:37]
	v_cmp_lt_i64_e64 s10, v[2:3], v[34:35]
                                        ; implicit-def: $vgpr4
	s_and_b32 s45, s42, s9
	v_add_co_u32 v2, s9, v26, v24
	s_or_b32 s10, s4, s10
	v_add_co_ci_u32_e64 v3, null, v27, v25, s9
	s_or_b32 s9, s10, s45
	s_nor_b32 s6, s6, s9
	s_and_saveexec_b32 s9, s6
	s_xor_b32 s6, exec_lo, s9
	s_cbranch_execz .LBB12_21
; %bb.20:                               ;   in Loop: Header=BB12_7 Depth=2
	global_load_dword v4, v[2:3], off
.LBB12_21:                              ;   in Loop: Header=BB12_7 Depth=2
	s_andn2_saveexec_b32 s6, s6
	s_cbranch_execz .LBB12_23
; %bb.22:                               ;   in Loop: Header=BB12_7 Depth=2
	s_waitcnt vmcnt(0)
	v_cndmask_b32_e64 v4, 0, 1.0, s45
.LBB12_23:                              ;   in Loop: Header=BB12_7 Depth=2
	s_or_b32 exec_lo, exec_lo, s6
	s_or_b32 s5, s4, s5
	s_waitcnt vmcnt(0)
	ds_write_b32 v43, v4 offset:2048
	s_or_b32 s5, s8, s5
	s_nor_b32 s5, s5, s39
	s_and_saveexec_b32 s6, s5
	s_xor_b32 s5, exec_lo, s6
	s_cbranch_execz .LBB12_25
; %bb.24:                               ;   in Loop: Header=BB12_7 Depth=2
	global_load_dword v2, v[2:3], off offset:64
	s_waitcnt vmcnt(0)
	ds_write_b32 v43, v2 offset:2112
.LBB12_25:                              ;   in Loop: Header=BB12_7 Depth=2
	s_andn2_saveexec_b32 s5, s5
	s_cbranch_execz .LBB12_31
; %bb.26:                               ;   in Loop: Header=BB12_7 Depth=2
	s_xor_b32 s6, s39, -1
	s_and_saveexec_b32 s8, s6
	s_xor_b32 s6, exec_lo, s8
; %bb.27:                               ;   in Loop: Header=BB12_7 Depth=2
	ds_write_b32 v43, v0 offset:2112
; %bb.28:                               ;   in Loop: Header=BB12_7 Depth=2
	s_andn2_saveexec_b32 s6, s6
; %bb.29:                               ;   in Loop: Header=BB12_7 Depth=2
	ds_write_b32 v43, v46 offset:2112
; %bb.30:                               ;   in Loop: Header=BB12_7 Depth=2
	s_or_b32 exec_lo, exec_lo, s6
.LBB12_31:                              ;   in Loop: Header=BB12_7 Depth=2
	s_or_b32 exec_lo, exec_lo, s5
	v_add_co_u32 v2, s5, v14, s34
	v_add_co_ci_u32_e64 v3, null, s35, v15, s5
	v_add_co_u32 v4, s6, v28, v40
	v_add_co_ci_u32_e64 v5, null, v29, v41, s6
	v_cmp_le_i64_e64 s5, s[14:15], v[2:3]
	v_mov_b32_e32 v6, 0
	s_nor_b32 s8, s5, s1
	s_and_saveexec_b32 s6, s8
	s_cbranch_execz .LBB12_33
; %bb.32:                               ;   in Loop: Header=BB12_7 Depth=2
	global_load_dword v6, v[4:5], off offset:-64
.LBB12_33:                              ;   in Loop: Header=BB12_7 Depth=2
	s_or_b32 exec_lo, exec_lo, s6
	s_nor_b32 s5, s5, s2
	s_waitcnt vmcnt(0)
	ds_write_b32 v45, v6
	s_and_saveexec_b32 s6, s5
	s_xor_b32 s5, exec_lo, s6
	s_cbranch_execz .LBB12_35
; %bb.34:                               ;   in Loop: Header=BB12_7 Depth=2
	global_load_dword v4, v[4:5], off
	s_waitcnt vmcnt(0)
	ds_write_b32 v45, v4 offset:64
.LBB12_35:                              ;   in Loop: Header=BB12_7 Depth=2
	s_andn2_saveexec_b32 s5, s5
; %bb.36:                               ;   in Loop: Header=BB12_7 Depth=2
	ds_write_b32 v45, v0 offset:64
; %bb.37:                               ;   in Loop: Header=BB12_7 Depth=2
	s_or_b32 exec_lo, exec_lo, s5
	v_cmp_le_i64_e64 s5, s[12:13], v[2:3]
	v_add_co_u32 v2, s6, v32, v40
	v_add_co_ci_u32_e64 v3, null, v33, v41, s6
	v_mov_b32_e32 v4, 0
	s_nor_b32 s8, s5, s1
	s_and_saveexec_b32 s6, s8
	s_cbranch_execz .LBB12_39
; %bb.38:                               ;   in Loop: Header=BB12_7 Depth=2
	global_load_dword v4, v[2:3], off
.LBB12_39:                              ;   in Loop: Header=BB12_7 Depth=2
	s_or_b32 exec_lo, exec_lo, s6
	s_nor_b32 s5, s5, s2
	s_waitcnt vmcnt(0)
	ds_write_b32 v45, v4 offset:2048
	s_and_saveexec_b32 s6, s5
	s_xor_b32 s5, exec_lo, s6
	s_cbranch_execz .LBB12_41
; %bb.40:                               ;   in Loop: Header=BB12_7 Depth=2
	global_load_dword v2, v[2:3], off offset:64
	s_waitcnt vmcnt(0)
	ds_write_b32 v45, v2 offset:2112
.LBB12_41:                              ;   in Loop: Header=BB12_7 Depth=2
	s_andn2_saveexec_b32 s5, s5
	s_cbranch_execz .LBB12_6
; %bb.42:                               ;   in Loop: Header=BB12_7 Depth=2
	ds_write_b32 v45, v0 offset:2112
	s_branch .LBB12_6
.LBB12_43:                              ;   in Loop: Header=BB12_4 Depth=1
	v_mul_lo_u32 v4, s29, v20
	v_mul_lo_u32 v5, s28, v21
	v_mad_u64_u32 v[2:3], null, s28, v20, 0
	v_cmp_gt_i32_e64 s3, s14, v20
	v_add3_u32 v3, v3, v5, v4
	v_lshlrev_b64 v[2:3], 2, v[2:3]
	v_add_co_u32 v2, s4, s40, v2
	v_add_co_ci_u32_e64 v3, null, s41, v3, s4
	s_and_b32 s4, vcc_lo, s3
	s_and_saveexec_b32 s5, s4
	s_cbranch_execz .LBB12_45
; %bb.44:                               ;   in Loop: Header=BB12_4 Depth=1
	v_add_co_u32 v4, s4, v2, v16
	v_add_co_ci_u32_e64 v5, null, v3, v17, s4
	global_load_dword v6, v[4:5], off
	s_waitcnt vmcnt(0)
	v_fmac_f32_e32 v6, s11, v53
	global_store_dword v[4:5], v6, off
.LBB12_45:                              ;   in Loop: Header=BB12_4 Depth=1
	s_or_b32 exec_lo, exec_lo, s5
	s_and_b32 s3, s0, s3
	s_and_saveexec_b32 s4, s3
	s_cbranch_execz .LBB12_47
; %bb.46:                               ;   in Loop: Header=BB12_4 Depth=1
	v_lshlrev_b64 v[4:5], 2, v[10:11]
	v_add_co_u32 v2, s3, v2, v4
	v_add_co_ci_u32_e64 v3, null, v3, v5, s3
	global_load_dword v4, v[2:3], off
	s_waitcnt vmcnt(0)
	v_fmac_f32_e32 v4, s11, v52
	global_store_dword v[2:3], v4, off
.LBB12_47:                              ;   in Loop: Header=BB12_4 Depth=1
	s_or_b32 exec_lo, exec_lo, s4
	v_add_nc_u32_e32 v4, 16, v20
	v_ashrrev_i32_e32 v5, 31, v4
	v_mul_lo_u32 v6, s29, v4
	v_mad_u64_u32 v[2:3], null, s28, v4, 0
	v_cmp_gt_i32_e64 s3, s14, v4
	v_mul_lo_u32 v5, s28, v5
	v_add3_u32 v3, v3, v5, v6
	v_lshlrev_b64 v[2:3], 2, v[2:3]
	v_add_co_u32 v2, s4, s40, v2
	v_add_co_ci_u32_e64 v3, null, s41, v3, s4
	s_and_b32 s4, vcc_lo, s3
	s_and_saveexec_b32 s5, s4
	s_cbranch_execz .LBB12_49
; %bb.48:                               ;   in Loop: Header=BB12_4 Depth=1
	v_add_co_u32 v4, s4, v2, v16
	v_add_co_ci_u32_e64 v5, null, v3, v17, s4
	global_load_dword v6, v[4:5], off
	s_waitcnt vmcnt(0)
	v_fmac_f32_e32 v6, s11, v51
	global_store_dword v[4:5], v6, off
.LBB12_49:                              ;   in Loop: Header=BB12_4 Depth=1
	s_or_b32 exec_lo, exec_lo, s5
	s_and_b32 s3, s0, s3
	s_and_saveexec_b32 s4, s3
	s_cbranch_execz .LBB12_3
; %bb.50:                               ;   in Loop: Header=BB12_4 Depth=1
	v_lshlrev_b64 v[4:5], 2, v[10:11]
	v_add_co_u32 v2, s3, v2, v4
	v_add_co_ci_u32_e64 v3, null, v3, v5, s3
	global_load_dword v4, v[2:3], off
	s_waitcnt vmcnt(0)
	v_fmac_f32_e32 v4, s11, v50
	global_store_dword v[2:3], v4, off
	s_branch .LBB12_3
.LBB12_51:
	s_endpgm
	.section	.rodata,"a",@progbits
	.p2align	6, 0x0
	.amdhsa_kernel _ZL30rocblas_trmm_outofplace_kernelIfLi32ELi2ELb0ELb0ELb0ELb0EPKfS0_fEv17rocblas_diagonal_iiT6_lPT7_lllS5_lllPT8_llli
		.amdhsa_group_segment_fixed_size 8192
		.amdhsa_private_segment_fixed_size 0
		.amdhsa_kernarg_size 392
		.amdhsa_user_sgpr_count 6
		.amdhsa_user_sgpr_private_segment_buffer 1
		.amdhsa_user_sgpr_dispatch_ptr 0
		.amdhsa_user_sgpr_queue_ptr 0
		.amdhsa_user_sgpr_kernarg_segment_ptr 1
		.amdhsa_user_sgpr_dispatch_id 0
		.amdhsa_user_sgpr_flat_scratch_init 0
		.amdhsa_user_sgpr_private_segment_size 0
		.amdhsa_wavefront_size32 1
		.amdhsa_uses_dynamic_stack 0
		.amdhsa_system_sgpr_private_segment_wavefront_offset 0
		.amdhsa_system_sgpr_workgroup_id_x 1
		.amdhsa_system_sgpr_workgroup_id_y 1
		.amdhsa_system_sgpr_workgroup_id_z 1
		.amdhsa_system_sgpr_workgroup_info 0
		.amdhsa_system_vgpr_workitem_id 1
		.amdhsa_next_free_vgpr 68
		.amdhsa_next_free_sgpr 46
		.amdhsa_reserve_vcc 1
		.amdhsa_reserve_flat_scratch 0
		.amdhsa_float_round_mode_32 0
		.amdhsa_float_round_mode_16_64 0
		.amdhsa_float_denorm_mode_32 3
		.amdhsa_float_denorm_mode_16_64 3
		.amdhsa_dx10_clamp 1
		.amdhsa_ieee_mode 1
		.amdhsa_fp16_overflow 0
		.amdhsa_workgroup_processor_mode 1
		.amdhsa_memory_ordered 1
		.amdhsa_forward_progress 1
		.amdhsa_shared_vgpr_count 0
		.amdhsa_exception_fp_ieee_invalid_op 0
		.amdhsa_exception_fp_denorm_src 0
		.amdhsa_exception_fp_ieee_div_zero 0
		.amdhsa_exception_fp_ieee_overflow 0
		.amdhsa_exception_fp_ieee_underflow 0
		.amdhsa_exception_fp_ieee_inexact 0
		.amdhsa_exception_int_div_zero 0
	.end_amdhsa_kernel
	.section	.text._ZL30rocblas_trmm_outofplace_kernelIfLi32ELi2ELb0ELb0ELb0ELb0EPKfS0_fEv17rocblas_diagonal_iiT6_lPT7_lllS5_lllPT8_llli,"axG",@progbits,_ZL30rocblas_trmm_outofplace_kernelIfLi32ELi2ELb0ELb0ELb0ELb0EPKfS0_fEv17rocblas_diagonal_iiT6_lPT7_lllS5_lllPT8_llli,comdat
.Lfunc_end12:
	.size	_ZL30rocblas_trmm_outofplace_kernelIfLi32ELi2ELb0ELb0ELb0ELb0EPKfS0_fEv17rocblas_diagonal_iiT6_lPT7_lllS5_lllPT8_llli, .Lfunc_end12-_ZL30rocblas_trmm_outofplace_kernelIfLi32ELi2ELb0ELb0ELb0ELb0EPKfS0_fEv17rocblas_diagonal_iiT6_lPT7_lllS5_lllPT8_llli
                                        ; -- End function
	.set _ZL30rocblas_trmm_outofplace_kernelIfLi32ELi2ELb0ELb0ELb0ELb0EPKfS0_fEv17rocblas_diagonal_iiT6_lPT7_lllS5_lllPT8_llli.num_vgpr, 68
	.set _ZL30rocblas_trmm_outofplace_kernelIfLi32ELi2ELb0ELb0ELb0ELb0EPKfS0_fEv17rocblas_diagonal_iiT6_lPT7_lllS5_lllPT8_llli.num_agpr, 0
	.set _ZL30rocblas_trmm_outofplace_kernelIfLi32ELi2ELb0ELb0ELb0ELb0EPKfS0_fEv17rocblas_diagonal_iiT6_lPT7_lllS5_lllPT8_llli.numbered_sgpr, 46
	.set _ZL30rocblas_trmm_outofplace_kernelIfLi32ELi2ELb0ELb0ELb0ELb0EPKfS0_fEv17rocblas_diagonal_iiT6_lPT7_lllS5_lllPT8_llli.num_named_barrier, 0
	.set _ZL30rocblas_trmm_outofplace_kernelIfLi32ELi2ELb0ELb0ELb0ELb0EPKfS0_fEv17rocblas_diagonal_iiT6_lPT7_lllS5_lllPT8_llli.private_seg_size, 0
	.set _ZL30rocblas_trmm_outofplace_kernelIfLi32ELi2ELb0ELb0ELb0ELb0EPKfS0_fEv17rocblas_diagonal_iiT6_lPT7_lllS5_lllPT8_llli.uses_vcc, 1
	.set _ZL30rocblas_trmm_outofplace_kernelIfLi32ELi2ELb0ELb0ELb0ELb0EPKfS0_fEv17rocblas_diagonal_iiT6_lPT7_lllS5_lllPT8_llli.uses_flat_scratch, 0
	.set _ZL30rocblas_trmm_outofplace_kernelIfLi32ELi2ELb0ELb0ELb0ELb0EPKfS0_fEv17rocblas_diagonal_iiT6_lPT7_lllS5_lllPT8_llli.has_dyn_sized_stack, 0
	.set _ZL30rocblas_trmm_outofplace_kernelIfLi32ELi2ELb0ELb0ELb0ELb0EPKfS0_fEv17rocblas_diagonal_iiT6_lPT7_lllS5_lllPT8_llli.has_recursion, 0
	.set _ZL30rocblas_trmm_outofplace_kernelIfLi32ELi2ELb0ELb0ELb0ELb0EPKfS0_fEv17rocblas_diagonal_iiT6_lPT7_lllS5_lllPT8_llli.has_indirect_call, 0
	.section	.AMDGPU.csdata,"",@progbits
; Kernel info:
; codeLenInByte = 3044
; TotalNumSgprs: 48
; NumVgprs: 68
; ScratchSize: 0
; MemoryBound: 0
; FloatMode: 240
; IeeeMode: 1
; LDSByteSize: 8192 bytes/workgroup (compile time only)
; SGPRBlocks: 0
; VGPRBlocks: 8
; NumSGPRsForWavesPerEU: 48
; NumVGPRsForWavesPerEU: 68
; Occupancy: 12
; WaveLimiterHint : 0
; COMPUTE_PGM_RSRC2:SCRATCH_EN: 0
; COMPUTE_PGM_RSRC2:USER_SGPR: 6
; COMPUTE_PGM_RSRC2:TRAP_HANDLER: 0
; COMPUTE_PGM_RSRC2:TGID_X_EN: 1
; COMPUTE_PGM_RSRC2:TGID_Y_EN: 1
; COMPUTE_PGM_RSRC2:TGID_Z_EN: 1
; COMPUTE_PGM_RSRC2:TIDIG_COMP_CNT: 1
	.section	.text._ZL30rocblas_trmm_outofplace_kernelIfLi32ELi2ELb0ELb0ELb0ELb0EfKffEv17rocblas_diagonal_iiT6_lPT7_lllS4_lllPT8_llli,"axG",@progbits,_ZL30rocblas_trmm_outofplace_kernelIfLi32ELi2ELb0ELb0ELb0ELb0EfKffEv17rocblas_diagonal_iiT6_lPT7_lllS4_lllPT8_llli,comdat
	.globl	_ZL30rocblas_trmm_outofplace_kernelIfLi32ELi2ELb0ELb0ELb0ELb0EfKffEv17rocblas_diagonal_iiT6_lPT7_lllS4_lllPT8_llli ; -- Begin function _ZL30rocblas_trmm_outofplace_kernelIfLi32ELi2ELb0ELb0ELb0ELb0EfKffEv17rocblas_diagonal_iiT6_lPT7_lllS4_lllPT8_llli
	.p2align	8
	.type	_ZL30rocblas_trmm_outofplace_kernelIfLi32ELi2ELb0ELb0ELb0ELb0EfKffEv17rocblas_diagonal_iiT6_lPT7_lllS4_lllPT8_llli,@function
_ZL30rocblas_trmm_outofplace_kernelIfLi32ELi2ELb0ELb0ELb0ELb0EfKffEv17rocblas_diagonal_iiT6_lPT7_lllS4_lllPT8_llli: ; @_ZL30rocblas_trmm_outofplace_kernelIfLi32ELi2ELb0ELb0ELb0ELb0EfKffEv17rocblas_diagonal_iiT6_lPT7_lllS4_lllPT8_llli
; %bb.0:
	s_load_dwordx4 s[28:31], s[4:5], 0x0
	s_waitcnt lgkmcnt(0)
	v_cmp_eq_f32_e64 s0, s31, 0
	s_and_b32 vcc_lo, exec_lo, s0
	s_cbranch_vccnz .LBB13_51
; %bb.1:
	s_add_i32 s0, s30, -1
	s_ashr_i32 s1, s0, 31
	s_lshr_b32 s1, s1, 27
	s_add_i32 s0, s0, s1
	s_ashr_i32 s11, s0, 5
	s_cmp_gt_i32 s7, s11
	s_cbranch_scc1 .LBB13_51
; %bb.2:
	s_clause 0x2
	s_load_dwordx8 s[36:43], s[4:5], 0x58
	s_load_dwordx16 s[12:27], s[4:5], 0x18
	s_load_dword s33, s[4:5], 0x84
	v_lshl_add_u32 v2, s6, 5, v0
	v_lshlrev_b32_e32 v4, 2, v0
	v_lshlrev_b32_e32 v42, 7, v1
	v_mov_b32_e32 v46, 1.0
	v_add_nc_u32_e32 v10, 16, v2
	v_ashrrev_i32_e32 v3, 31, v2
	v_or_b32_e32 v43, 0x1000, v4
	v_add_nc_u32_e32 v44, v42, v4
	v_cmp_gt_i32_e32 vcc_lo, s29, v2
	v_ashrrev_i32_e32 v11, 31, v10
	v_lshlrev_b64 v[16:17], 2, v[2:3]
	v_add_nc_u32_e32 v45, v43, v42
	v_add_nc_u32_e32 v47, 0x400, v43
	;; [unrolled: 1-line block ×4, first 2 shown]
	s_waitcnt lgkmcnt(0)
	s_mul_i32 s0, s43, s8
	s_mul_hi_u32 s1, s42, s8
	s_mul_i32 s2, s42, s8
	s_add_i32 s3, s1, s0
	s_mul_i32 s5, s19, s8
	s_lshl_b64 s[2:3], s[2:3], 2
	v_cmp_gt_i32_e64 s0, s29, v10
	s_add_u32 s1, s36, s2
	s_addc_u32 s4, s37, s3
	s_lshl_b64 s[2:3], s[38:39], 2
	s_add_u32 s38, s1, s2
	s_addc_u32 s39, s4, s3
	s_cmpk_eq_i32 s28, 0x84
	s_mul_hi_u32 s2, s18, s8
	s_cselect_b32 s42, -1, 0
	s_ashr_i32 s19, s30, 31
	s_ashr_i32 s3, s29, 31
	s_lshl_b64 s[34:35], s[24:25], 7
	s_add_u32 s28, s30, -16
	v_sub_co_u32 v4, s1, s29, v2
	s_addc_u32 s29, s19, -1
	s_add_i32 s5, s2, s5
	s_mul_i32 s4, s18, s8
	s_lshl_b64 s[14:15], s[14:15], 2
	s_lshl_b64 s[4:5], s[4:5], 2
	v_sub_co_ci_u32_e64 v5, null, s3, v3, s1
	s_lshl_b32 s3, s7, 5
	s_lshl_b32 s43, s33, 5
	s_add_u32 s4, s4, s14
	s_addc_u32 s5, s5, s15
	s_add_u32 s12, s12, s4
	s_addc_u32 s13, s13, s5
	s_mul_i32 s4, s27, s8
	s_mul_hi_u32 s5, s26, s8
	s_add_u32 s14, s20, 64
	s_addc_u32 s15, s21, 0
	s_add_i32 s5, s5, s4
	s_mul_i32 s4, s26, s8
	s_lshl_b64 s[8:9], s[22:23], 2
	s_lshl_b64 s[4:5], s[4:5], 2
	;; [unrolled: 1-line block ×3, first 2 shown]
	v_add_nc_u32_e32 v12, s3, v0
	v_add_nc_u32_e32 v14, s3, v1
	s_add_u32 s3, s4, s8
	s_addc_u32 s4, s5, s9
	v_add_co_u32 v18, s3, s3, v16
	v_cmp_gt_i64_e64 s1, 1, v[4:5]
	v_cmp_gt_i64_e64 s2, 17, v[4:5]
	v_add_co_ci_u32_e64 v19, null, s4, v17, s3
	v_mov_b32_e32 v0, 0
	s_mov_b32 s18, s30
	s_lshl_b64 s[26:27], s[16:17], 2
	s_branch .LBB13_4
.LBB13_3:                               ;   in Loop: Header=BB13_4 Depth=1
	s_or_b32 exec_lo, exec_lo, s4
	v_add_nc_u32_e32 v12, s43, v12
	v_add_nc_u32_e32 v14, s43, v14
	s_add_i32 s7, s33, s7
	s_cmp_le_i32 s7, s11
	s_cbranch_scc0 .LBB13_51
.LBB13_4:                               ; =>This Loop Header: Depth=1
                                        ;     Child Loop BB13_7 Depth 2
	s_lshl_b32 s3, s7, 5
	v_ashrrev_i32_e32 v13, 31, v12
	v_add_nc_u32_e32 v20, s3, v1
	v_ashrrev_i32_e32 v15, 31, v14
	v_mov_b32_e32 v53, 0
	v_mov_b32_e32 v52, 0
	;; [unrolled: 1-line block ×3, first 2 shown]
	v_ashrrev_i32_e32 v21, 31, v20
	v_mov_b32_e32 v50, 0
	s_sub_i32 s44, s30, s3
	s_cmp_lt_i32 s44, 1
	s_cbranch_scc1 .LBB13_43
; %bb.5:                                ;   in Loop: Header=BB13_4 Depth=1
	v_lshlrev_b64 v[2:3], 2, v[14:15]
	v_mad_u64_u32 v[28:29], null, s22, v14, s[14:15]
	v_mul_lo_u32 v6, s22, v15
	v_mul_lo_u32 v7, s23, v14
	v_mad_u64_u32 v[30:31], null, s26, v14, s[12:13]
	v_add_co_u32 v2, s3, v2, 64
	v_add_co_ci_u32_e64 v3, null, 0, v3, s3
	v_sub_co_u32 v22, s3, v14, v12
	v_mul_lo_u32 v36, s25, v2
	v_mul_lo_u32 v4, s16, v3
	;; [unrolled: 1-line block ×3, first 2 shown]
	v_mad_u64_u32 v[32:33], null, s24, v2, s[20:21]
	v_sub_co_ci_u32_e64 v23, null, v15, v13, s3
	v_mul_lo_u32 v5, s17, v2
	v_mad_u64_u32 v[26:27], null, s16, v2, s[12:13]
	v_mul_lo_u32 v8, s26, v15
	v_mul_lo_u32 v9, s27, v14
	v_add_co_u32 v34, s3, v20, 16
	v_add_co_ci_u32_e64 v35, null, 0, v21, s3
	v_add3_u32 v33, v36, v33, v3
	v_add_co_u32 v36, s5, v22, 16
	v_add_co_ci_u32_e64 v37, null, 0, v23, s5
	v_add_co_u32 v38, s5, v22, -16
	v_lshlrev_b64 v[24:25], 2, v[12:13]
	v_cmp_le_i64_e64 s4, s[18:19], v[34:35]
	v_mov_b32_e32 v41, v19
	v_add3_u32 v27, v5, v27, v4
	v_add3_u32 v29, v7, v29, v6
	;; [unrolled: 1-line block ×3, first 2 shown]
	v_cmp_le_i32_e64 s3, s30, v20
	v_add_co_ci_u32_e64 v39, null, -1, v23, s5
	v_mov_b32_e32 v50, 0
	v_mov_b32_e32 v40, v18
	;; [unrolled: 1-line block ×5, first 2 shown]
	s_mov_b64 s[36:37], 0
	s_branch .LBB13_7
.LBB13_6:                               ;   in Loop: Header=BB13_7 Depth=2
	s_or_b32 exec_lo, exec_lo, s5
	s_waitcnt lgkmcnt(0)
	s_barrier
	buffer_gl0_inv
	ds_read_b128 v[54:57], v42
	ds_read_b128 v[58:61], v42 offset:16
	ds_read_b128 v[6:9], v42 offset:32
	;; [unrolled: 1-line block ×3, first 2 shown]
	ds_read2_b32 v[66:67], v43 offset1:16
	ds_read_b128 v[62:65], v42 offset:2048
	v_add_co_u32 v26, s5, 0x80, v26
	v_add_co_ci_u32_e64 v27, null, 0, v27, s5
	v_add_co_u32 v40, s5, v40, s34
	v_add_co_ci_u32_e64 v41, null, s35, v41, s5
	;; [unrolled: 2-line block ×3, first 2 shown]
	s_add_u32 s36, s36, 32
	s_addc_u32 s37, s37, 0
	s_cmp_ge_i32 s36, s44
	s_waitcnt lgkmcnt(1)
	v_fmac_f32_e32 v53, v66, v54
	v_fmac_f32_e32 v52, v67, v54
	s_waitcnt lgkmcnt(0)
	v_fmac_f32_e32 v51, v66, v62
	v_fmac_f32_e32 v50, v67, v62
	ds_read2_b32 v[66:67], v43 offset0:32 offset1:48
	s_waitcnt lgkmcnt(0)
	v_fmac_f32_e32 v53, v66, v55
	v_fmac_f32_e32 v52, v67, v55
	ds_read2_b32 v[54:55], v43 offset0:64 offset1:80
	v_fmac_f32_e32 v51, v66, v63
	v_fmac_f32_e32 v50, v67, v63
	ds_read2_b32 v[62:63], v43 offset0:128 offset1:144
	s_waitcnt lgkmcnt(1)
	v_fmac_f32_e32 v53, v54, v56
	v_fmac_f32_e32 v52, v55, v56
	;; [unrolled: 1-line block ×4, first 2 shown]
	ds_read2_b32 v[54:55], v43 offset0:96 offset1:112
	s_waitcnt lgkmcnt(0)
	v_fmac_f32_e32 v53, v54, v57
	v_fmac_f32_e32 v52, v55, v57
	;; [unrolled: 1-line block ×4, first 2 shown]
	ds_read_b128 v[54:57], v42 offset:2064
	v_fmac_f32_e32 v53, v62, v58
	v_fmac_f32_e32 v52, v63, v58
	s_waitcnt lgkmcnt(0)
	v_fmac_f32_e32 v51, v62, v54
	v_fmac_f32_e32 v50, v63, v54
	ds_read2_b32 v[62:63], v43 offset0:160 offset1:176
	s_waitcnt lgkmcnt(0)
	v_fmac_f32_e32 v51, v62, v55
	v_fmac_f32_e32 v50, v63, v55
	ds_read2_b32 v[54:55], v43 offset0:192 offset1:208
	v_fmac_f32_e32 v53, v62, v59
	v_fmac_f32_e32 v52, v63, v59
	ds_read2_b32 v[58:59], v47 offset1:16
	s_waitcnt lgkmcnt(1)
	v_fmac_f32_e32 v53, v54, v60
	v_fmac_f32_e32 v52, v55, v60
	;; [unrolled: 1-line block ×4, first 2 shown]
	ds_read2_b32 v[54:55], v43 offset0:224 offset1:240
	s_waitcnt lgkmcnt(0)
	v_fmac_f32_e32 v53, v54, v61
	v_fmac_f32_e32 v52, v55, v61
	;; [unrolled: 1-line block ×4, first 2 shown]
	ds_read_b128 v[54:57], v42 offset:2080
	v_fmac_f32_e32 v53, v58, v6
	v_fmac_f32_e32 v52, v59, v6
	s_waitcnt lgkmcnt(0)
	v_fmac_f32_e32 v51, v58, v54
	v_fmac_f32_e32 v50, v59, v54
	ds_read2_b32 v[58:59], v47 offset0:32 offset1:48
	s_waitcnt lgkmcnt(0)
	v_fmac_f32_e32 v53, v58, v7
	v_fmac_f32_e32 v52, v59, v7
	ds_read2_b32 v[6:7], v47 offset0:64 offset1:80
	v_fmac_f32_e32 v51, v58, v55
	v_fmac_f32_e32 v50, v59, v55
	ds_read2_b32 v[54:55], v47 offset0:128 offset1:144
	s_waitcnt lgkmcnt(1)
	v_fmac_f32_e32 v53, v6, v8
	v_fmac_f32_e32 v52, v7, v8
	;; [unrolled: 1-line block ×4, first 2 shown]
	ds_read2_b32 v[6:7], v47 offset0:96 offset1:112
	s_waitcnt lgkmcnt(0)
	v_fmac_f32_e32 v53, v6, v9
	v_fmac_f32_e32 v52, v7, v9
	;; [unrolled: 1-line block ×4, first 2 shown]
	ds_read_b128 v[6:9], v42 offset:2096
	v_fmac_f32_e32 v53, v54, v2
	v_fmac_f32_e32 v52, v55, v2
	s_waitcnt lgkmcnt(0)
	v_fmac_f32_e32 v51, v54, v6
	v_fmac_f32_e32 v50, v55, v6
	ds_read2_b32 v[54:55], v47 offset0:160 offset1:176
	s_waitcnt lgkmcnt(0)
	v_fmac_f32_e32 v53, v54, v3
	v_fmac_f32_e32 v52, v55, v3
	ds_read2_b32 v[2:3], v47 offset0:192 offset1:208
	v_fmac_f32_e32 v51, v54, v7
	v_fmac_f32_e32 v50, v55, v7
	s_waitcnt lgkmcnt(0)
	v_fmac_f32_e32 v53, v2, v4
	v_fmac_f32_e32 v52, v3, v4
	;; [unrolled: 1-line block ×4, first 2 shown]
	ds_read2_b32 v[2:3], v47 offset0:224 offset1:240
	s_waitcnt lgkmcnt(0)
	v_fmac_f32_e32 v53, v2, v5
	v_fmac_f32_e32 v52, v3, v5
	;; [unrolled: 1-line block ×4, first 2 shown]
	ds_read_b128 v[2:5], v42 offset:64
	ds_read2_b32 v[54:55], v48 offset1:16
	ds_read_b128 v[6:9], v42 offset:2112
	s_waitcnt lgkmcnt(1)
	v_fmac_f32_e32 v53, v54, v2
	v_fmac_f32_e32 v52, v55, v2
	s_waitcnt lgkmcnt(0)
	v_fmac_f32_e32 v51, v54, v6
	v_fmac_f32_e32 v50, v55, v6
	ds_read2_b32 v[54:55], v48 offset0:32 offset1:48
	s_waitcnt lgkmcnt(0)
	v_fmac_f32_e32 v53, v54, v3
	v_fmac_f32_e32 v52, v55, v3
	ds_read2_b32 v[2:3], v48 offset0:64 offset1:80
	v_fmac_f32_e32 v51, v54, v7
	v_fmac_f32_e32 v50, v55, v7
	s_waitcnt lgkmcnt(0)
	v_fmac_f32_e32 v53, v2, v4
	v_fmac_f32_e32 v52, v3, v4
	;; [unrolled: 1-line block ×4, first 2 shown]
	ds_read2_b32 v[2:3], v48 offset0:96 offset1:112
	s_waitcnt lgkmcnt(0)
	v_fmac_f32_e32 v53, v2, v5
	v_fmac_f32_e32 v52, v3, v5
	;; [unrolled: 1-line block ×4, first 2 shown]
	ds_read_b128 v[2:5], v42 offset:80
	ds_read2_b32 v[54:55], v48 offset0:128 offset1:144
	ds_read_b128 v[6:9], v42 offset:2128
	s_waitcnt lgkmcnt(1)
	v_fmac_f32_e32 v53, v54, v2
	v_fmac_f32_e32 v52, v55, v2
	s_waitcnt lgkmcnt(0)
	v_fmac_f32_e32 v51, v54, v6
	v_fmac_f32_e32 v50, v55, v6
	ds_read2_b32 v[54:55], v48 offset0:160 offset1:176
	s_waitcnt lgkmcnt(0)
	v_fmac_f32_e32 v53, v54, v3
	v_fmac_f32_e32 v52, v55, v3
	ds_read2_b32 v[2:3], v48 offset0:192 offset1:208
	v_fmac_f32_e32 v51, v54, v7
	v_fmac_f32_e32 v50, v55, v7
	s_waitcnt lgkmcnt(0)
	v_fmac_f32_e32 v53, v2, v4
	v_fmac_f32_e32 v52, v3, v4
	;; [unrolled: 1-line block ×4, first 2 shown]
	ds_read2_b32 v[2:3], v48 offset0:224 offset1:240
	s_waitcnt lgkmcnt(0)
	v_fmac_f32_e32 v53, v2, v5
	v_fmac_f32_e32 v52, v3, v5
	;; [unrolled: 1-line block ×4, first 2 shown]
	ds_read_b128 v[2:5], v42 offset:96
	ds_read2_b32 v[54:55], v49 offset1:16
	ds_read_b128 v[6:9], v42 offset:2144
	s_waitcnt lgkmcnt(1)
	v_fmac_f32_e32 v53, v54, v2
	v_fmac_f32_e32 v52, v55, v2
	s_waitcnt lgkmcnt(0)
	v_fmac_f32_e32 v51, v54, v6
	v_fmac_f32_e32 v50, v55, v6
	ds_read2_b32 v[54:55], v49 offset0:32 offset1:48
	s_waitcnt lgkmcnt(0)
	v_fmac_f32_e32 v53, v54, v3
	v_fmac_f32_e32 v52, v55, v3
	ds_read2_b32 v[2:3], v49 offset0:64 offset1:80
	v_fmac_f32_e32 v51, v54, v7
	v_fmac_f32_e32 v50, v55, v7
	s_waitcnt lgkmcnt(0)
	v_fmac_f32_e32 v53, v2, v4
	v_fmac_f32_e32 v52, v3, v4
	;; [unrolled: 1-line block ×4, first 2 shown]
	ds_read2_b32 v[2:3], v49 offset0:96 offset1:112
	s_waitcnt lgkmcnt(0)
	v_fmac_f32_e32 v53, v2, v5
	v_fmac_f32_e32 v52, v3, v5
	v_fmac_f32_e32 v51, v2, v9
	v_fmac_f32_e32 v50, v3, v9
	ds_read_b128 v[2:5], v42 offset:112
	ds_read2_b32 v[54:55], v49 offset0:128 offset1:144
	ds_read_b128 v[6:9], v42 offset:2160
	s_waitcnt lgkmcnt(1)
	v_fmac_f32_e32 v53, v54, v2
	v_fmac_f32_e32 v52, v55, v2
	s_waitcnt lgkmcnt(0)
	v_fmac_f32_e32 v51, v54, v6
	v_fmac_f32_e32 v50, v55, v6
	ds_read2_b32 v[54:55], v49 offset0:160 offset1:176
	s_waitcnt lgkmcnt(0)
	v_fmac_f32_e32 v53, v54, v3
	v_fmac_f32_e32 v52, v55, v3
	ds_read2_b32 v[2:3], v49 offset0:192 offset1:208
	v_fmac_f32_e32 v51, v54, v7
	v_fmac_f32_e32 v50, v55, v7
	s_waitcnt lgkmcnt(0)
	v_fmac_f32_e32 v53, v2, v4
	v_fmac_f32_e32 v52, v3, v4
	;; [unrolled: 1-line block ×4, first 2 shown]
	ds_read2_b32 v[2:3], v49 offset0:224 offset1:240
	s_waitcnt lgkmcnt(0)
	s_barrier
	buffer_gl0_inv
	v_fmac_f32_e32 v53, v2, v5
	v_fmac_f32_e32 v52, v3, v5
	;; [unrolled: 1-line block ×4, first 2 shown]
	s_cbranch_scc1 .LBB13_43
.LBB13_7:                               ;   Parent Loop BB13_4 Depth=1
                                        ; =>  This Inner Loop Header: Depth=2
	v_add_co_u32 v2, s5, v12, s36
	v_add_co_ci_u32_e64 v3, null, s37, v13, s5
	v_cmp_eq_u64_e64 s8, s[36:37], v[22:23]
	v_add_co_u32 v4, s9, v30, v24
	v_cmp_lt_i64_e64 s5, v[2:3], v[20:21]
	v_cmp_le_i64_e64 s6, s[18:19], v[2:3]
	v_add_co_ci_u32_e64 v5, null, v31, v25, s9
	s_and_b32 s45, s42, s8
                                        ; implicit-def: $vgpr6
	s_or_b32 s9, s3, s5
	s_or_b32 s8, s6, s9
	s_nor_b32 s8, s8, s45
	s_and_saveexec_b32 s9, s8
	s_xor_b32 s8, exec_lo, s9
	s_cbranch_execz .LBB13_9
; %bb.8:                                ;   in Loop: Header=BB13_7 Depth=2
	global_load_dword v6, v[4:5], off
.LBB13_9:                               ;   in Loop: Header=BB13_7 Depth=2
	s_andn2_saveexec_b32 s8, s8
	s_cbranch_execz .LBB13_11
; %bb.10:                               ;   in Loop: Header=BB13_7 Depth=2
	s_waitcnt vmcnt(0)
	v_cndmask_b32_e64 v6, 0, 1.0, s45
.LBB13_11:                              ;   in Loop: Header=BB13_7 Depth=2
	s_or_b32 exec_lo, exec_lo, s8
	v_add_co_u32 v7, s8, v2, 16
	v_add_co_ci_u32_e64 v8, null, 0, v3, s8
	v_cmp_eq_u64_e64 s10, s[36:37], v[38:39]
	s_waitcnt vmcnt(0)
	ds_write_b32 v44, v6
	v_cmp_lt_i64_e64 s9, v[7:8], v[20:21]
	v_cmp_le_i64_e64 s8, s[18:19], v[7:8]
	s_and_b32 s10, s42, s10
	s_or_b32 s9, s3, s9
	s_or_b32 s9, s8, s9
	s_nor_b32 s9, s9, s10
	s_and_saveexec_b32 s46, s9
	s_xor_b32 s9, exec_lo, s46
	s_cbranch_execz .LBB13_13
; %bb.12:                               ;   in Loop: Header=BB13_7 Depth=2
	global_load_dword v4, v[4:5], off offset:64
	s_waitcnt vmcnt(0)
	ds_write_b32 v44, v4 offset:64
.LBB13_13:                              ;   in Loop: Header=BB13_7 Depth=2
	s_andn2_saveexec_b32 s9, s9
	s_cbranch_execz .LBB13_19
; %bb.14:                               ;   in Loop: Header=BB13_7 Depth=2
	s_xor_b32 s10, s10, -1
	s_and_saveexec_b32 s46, s10
	s_xor_b32 s10, exec_lo, s46
; %bb.15:                               ;   in Loop: Header=BB13_7 Depth=2
	ds_write_b32 v44, v0 offset:64
; %bb.16:                               ;   in Loop: Header=BB13_7 Depth=2
	s_andn2_saveexec_b32 s10, s10
; %bb.17:                               ;   in Loop: Header=BB13_7 Depth=2
	ds_write_b32 v44, v46 offset:64
; %bb.18:                               ;   in Loop: Header=BB13_7 Depth=2
	s_or_b32 exec_lo, exec_lo, s10
.LBB13_19:                              ;   in Loop: Header=BB13_7 Depth=2
	s_or_b32 exec_lo, exec_lo, s9
	v_cmp_eq_u64_e64 s9, s[36:37], v[36:37]
	v_cmp_lt_i64_e64 s10, v[2:3], v[34:35]
                                        ; implicit-def: $vgpr4
	s_and_b32 s46, s42, s9
	v_add_co_u32 v2, s9, v26, v24
	s_or_b32 s10, s4, s10
	v_add_co_ci_u32_e64 v3, null, v27, v25, s9
	s_or_b32 s9, s10, s46
	s_nor_b32 s6, s6, s9
	s_and_saveexec_b32 s9, s6
	s_xor_b32 s6, exec_lo, s9
	s_cbranch_execz .LBB13_21
; %bb.20:                               ;   in Loop: Header=BB13_7 Depth=2
	global_load_dword v4, v[2:3], off
.LBB13_21:                              ;   in Loop: Header=BB13_7 Depth=2
	s_andn2_saveexec_b32 s6, s6
	s_cbranch_execz .LBB13_23
; %bb.22:                               ;   in Loop: Header=BB13_7 Depth=2
	s_waitcnt vmcnt(0)
	v_cndmask_b32_e64 v4, 0, 1.0, s46
.LBB13_23:                              ;   in Loop: Header=BB13_7 Depth=2
	s_or_b32 exec_lo, exec_lo, s6
	s_or_b32 s5, s4, s5
	s_waitcnt vmcnt(0)
	ds_write_b32 v44, v4 offset:2048
	s_or_b32 s5, s8, s5
	s_nor_b32 s5, s5, s45
	s_and_saveexec_b32 s6, s5
	s_xor_b32 s5, exec_lo, s6
	s_cbranch_execz .LBB13_25
; %bb.24:                               ;   in Loop: Header=BB13_7 Depth=2
	global_load_dword v2, v[2:3], off offset:64
	s_waitcnt vmcnt(0)
	ds_write_b32 v44, v2 offset:2112
.LBB13_25:                              ;   in Loop: Header=BB13_7 Depth=2
	s_andn2_saveexec_b32 s5, s5
	s_cbranch_execz .LBB13_31
; %bb.26:                               ;   in Loop: Header=BB13_7 Depth=2
	s_xor_b32 s6, s45, -1
	s_and_saveexec_b32 s8, s6
	s_xor_b32 s6, exec_lo, s8
; %bb.27:                               ;   in Loop: Header=BB13_7 Depth=2
	ds_write_b32 v44, v0 offset:2112
; %bb.28:                               ;   in Loop: Header=BB13_7 Depth=2
	s_andn2_saveexec_b32 s6, s6
; %bb.29:                               ;   in Loop: Header=BB13_7 Depth=2
	ds_write_b32 v44, v46 offset:2112
; %bb.30:                               ;   in Loop: Header=BB13_7 Depth=2
	s_or_b32 exec_lo, exec_lo, s6
.LBB13_31:                              ;   in Loop: Header=BB13_7 Depth=2
	s_or_b32 exec_lo, exec_lo, s5
	v_add_co_u32 v2, s5, v14, s36
	v_add_co_ci_u32_e64 v3, null, s37, v15, s5
	v_add_co_u32 v4, s6, v28, v40
	v_add_co_ci_u32_e64 v5, null, v29, v41, s6
	v_cmp_le_i64_e64 s5, s[18:19], v[2:3]
	v_mov_b32_e32 v6, 0
	s_nor_b32 s8, s5, s1
	s_and_saveexec_b32 s6, s8
	s_cbranch_execz .LBB13_33
; %bb.32:                               ;   in Loop: Header=BB13_7 Depth=2
	global_load_dword v6, v[4:5], off offset:-64
.LBB13_33:                              ;   in Loop: Header=BB13_7 Depth=2
	s_or_b32 exec_lo, exec_lo, s6
	s_nor_b32 s5, s5, s2
	s_waitcnt vmcnt(0)
	ds_write_b32 v45, v6
	s_and_saveexec_b32 s6, s5
	s_xor_b32 s5, exec_lo, s6
	s_cbranch_execz .LBB13_35
; %bb.34:                               ;   in Loop: Header=BB13_7 Depth=2
	global_load_dword v4, v[4:5], off
	s_waitcnt vmcnt(0)
	ds_write_b32 v45, v4 offset:64
.LBB13_35:                              ;   in Loop: Header=BB13_7 Depth=2
	s_andn2_saveexec_b32 s5, s5
; %bb.36:                               ;   in Loop: Header=BB13_7 Depth=2
	ds_write_b32 v45, v0 offset:64
; %bb.37:                               ;   in Loop: Header=BB13_7 Depth=2
	s_or_b32 exec_lo, exec_lo, s5
	v_cmp_le_i64_e64 s5, s[28:29], v[2:3]
	v_add_co_u32 v2, s6, v32, v40
	v_add_co_ci_u32_e64 v3, null, v33, v41, s6
	v_mov_b32_e32 v4, 0
	s_nor_b32 s8, s5, s1
	s_and_saveexec_b32 s6, s8
	s_cbranch_execz .LBB13_39
; %bb.38:                               ;   in Loop: Header=BB13_7 Depth=2
	global_load_dword v4, v[2:3], off
.LBB13_39:                              ;   in Loop: Header=BB13_7 Depth=2
	s_or_b32 exec_lo, exec_lo, s6
	s_nor_b32 s5, s5, s2
	s_waitcnt vmcnt(0)
	ds_write_b32 v45, v4 offset:2048
	s_and_saveexec_b32 s6, s5
	s_xor_b32 s5, exec_lo, s6
	s_cbranch_execz .LBB13_41
; %bb.40:                               ;   in Loop: Header=BB13_7 Depth=2
	global_load_dword v2, v[2:3], off offset:64
	s_waitcnt vmcnt(0)
	ds_write_b32 v45, v2 offset:2112
.LBB13_41:                              ;   in Loop: Header=BB13_7 Depth=2
	s_andn2_saveexec_b32 s5, s5
	s_cbranch_execz .LBB13_6
; %bb.42:                               ;   in Loop: Header=BB13_7 Depth=2
	ds_write_b32 v45, v0 offset:2112
	s_branch .LBB13_6
.LBB13_43:                              ;   in Loop: Header=BB13_4 Depth=1
	v_mul_lo_u32 v4, s41, v20
	v_mul_lo_u32 v5, s40, v21
	v_mad_u64_u32 v[2:3], null, s40, v20, 0
	v_cmp_gt_i32_e64 s3, s30, v20
	v_add3_u32 v3, v3, v5, v4
	v_lshlrev_b64 v[2:3], 2, v[2:3]
	v_add_co_u32 v2, s4, s38, v2
	v_add_co_ci_u32_e64 v3, null, s39, v3, s4
	s_and_b32 s4, vcc_lo, s3
	s_and_saveexec_b32 s5, s4
	s_cbranch_execz .LBB13_45
; %bb.44:                               ;   in Loop: Header=BB13_4 Depth=1
	v_add_co_u32 v4, s4, v2, v16
	v_add_co_ci_u32_e64 v5, null, v3, v17, s4
	global_load_dword v6, v[4:5], off
	s_waitcnt vmcnt(0)
	v_fmac_f32_e32 v6, s31, v53
	global_store_dword v[4:5], v6, off
.LBB13_45:                              ;   in Loop: Header=BB13_4 Depth=1
	s_or_b32 exec_lo, exec_lo, s5
	s_and_b32 s3, s0, s3
	s_and_saveexec_b32 s4, s3
	s_cbranch_execz .LBB13_47
; %bb.46:                               ;   in Loop: Header=BB13_4 Depth=1
	v_lshlrev_b64 v[4:5], 2, v[10:11]
	v_add_co_u32 v2, s3, v2, v4
	v_add_co_ci_u32_e64 v3, null, v3, v5, s3
	global_load_dword v4, v[2:3], off
	s_waitcnt vmcnt(0)
	v_fmac_f32_e32 v4, s31, v52
	global_store_dword v[2:3], v4, off
.LBB13_47:                              ;   in Loop: Header=BB13_4 Depth=1
	s_or_b32 exec_lo, exec_lo, s4
	v_add_nc_u32_e32 v4, 16, v20
	v_ashrrev_i32_e32 v5, 31, v4
	v_mul_lo_u32 v6, s41, v4
	v_mad_u64_u32 v[2:3], null, s40, v4, 0
	v_cmp_gt_i32_e64 s3, s30, v4
	v_mul_lo_u32 v5, s40, v5
	v_add3_u32 v3, v3, v5, v6
	v_lshlrev_b64 v[2:3], 2, v[2:3]
	v_add_co_u32 v2, s4, s38, v2
	v_add_co_ci_u32_e64 v3, null, s39, v3, s4
	s_and_b32 s4, vcc_lo, s3
	s_and_saveexec_b32 s5, s4
	s_cbranch_execz .LBB13_49
; %bb.48:                               ;   in Loop: Header=BB13_4 Depth=1
	v_add_co_u32 v4, s4, v2, v16
	v_add_co_ci_u32_e64 v5, null, v3, v17, s4
	global_load_dword v6, v[4:5], off
	s_waitcnt vmcnt(0)
	v_fmac_f32_e32 v6, s31, v51
	global_store_dword v[4:5], v6, off
.LBB13_49:                              ;   in Loop: Header=BB13_4 Depth=1
	s_or_b32 exec_lo, exec_lo, s5
	s_and_b32 s3, s0, s3
	s_and_saveexec_b32 s4, s3
	s_cbranch_execz .LBB13_3
; %bb.50:                               ;   in Loop: Header=BB13_4 Depth=1
	v_lshlrev_b64 v[4:5], 2, v[10:11]
	v_add_co_u32 v2, s3, v2, v4
	v_add_co_ci_u32_e64 v3, null, v3, v5, s3
	global_load_dword v4, v[2:3], off
	s_waitcnt vmcnt(0)
	v_fmac_f32_e32 v4, s31, v50
	global_store_dword v[2:3], v4, off
	s_branch .LBB13_3
.LBB13_51:
	s_endpgm
	.section	.rodata,"a",@progbits
	.p2align	6, 0x0
	.amdhsa_kernel _ZL30rocblas_trmm_outofplace_kernelIfLi32ELi2ELb0ELb0ELb0ELb0EfKffEv17rocblas_diagonal_iiT6_lPT7_lllS4_lllPT8_llli
		.amdhsa_group_segment_fixed_size 8192
		.amdhsa_private_segment_fixed_size 0
		.amdhsa_kernarg_size 384
		.amdhsa_user_sgpr_count 6
		.amdhsa_user_sgpr_private_segment_buffer 1
		.amdhsa_user_sgpr_dispatch_ptr 0
		.amdhsa_user_sgpr_queue_ptr 0
		.amdhsa_user_sgpr_kernarg_segment_ptr 1
		.amdhsa_user_sgpr_dispatch_id 0
		.amdhsa_user_sgpr_flat_scratch_init 0
		.amdhsa_user_sgpr_private_segment_size 0
		.amdhsa_wavefront_size32 1
		.amdhsa_uses_dynamic_stack 0
		.amdhsa_system_sgpr_private_segment_wavefront_offset 0
		.amdhsa_system_sgpr_workgroup_id_x 1
		.amdhsa_system_sgpr_workgroup_id_y 1
		.amdhsa_system_sgpr_workgroup_id_z 1
		.amdhsa_system_sgpr_workgroup_info 0
		.amdhsa_system_vgpr_workitem_id 1
		.amdhsa_next_free_vgpr 68
		.amdhsa_next_free_sgpr 47
		.amdhsa_reserve_vcc 1
		.amdhsa_reserve_flat_scratch 0
		.amdhsa_float_round_mode_32 0
		.amdhsa_float_round_mode_16_64 0
		.amdhsa_float_denorm_mode_32 3
		.amdhsa_float_denorm_mode_16_64 3
		.amdhsa_dx10_clamp 1
		.amdhsa_ieee_mode 1
		.amdhsa_fp16_overflow 0
		.amdhsa_workgroup_processor_mode 1
		.amdhsa_memory_ordered 1
		.amdhsa_forward_progress 1
		.amdhsa_shared_vgpr_count 0
		.amdhsa_exception_fp_ieee_invalid_op 0
		.amdhsa_exception_fp_denorm_src 0
		.amdhsa_exception_fp_ieee_div_zero 0
		.amdhsa_exception_fp_ieee_overflow 0
		.amdhsa_exception_fp_ieee_underflow 0
		.amdhsa_exception_fp_ieee_inexact 0
		.amdhsa_exception_int_div_zero 0
	.end_amdhsa_kernel
	.section	.text._ZL30rocblas_trmm_outofplace_kernelIfLi32ELi2ELb0ELb0ELb0ELb0EfKffEv17rocblas_diagonal_iiT6_lPT7_lllS4_lllPT8_llli,"axG",@progbits,_ZL30rocblas_trmm_outofplace_kernelIfLi32ELi2ELb0ELb0ELb0ELb0EfKffEv17rocblas_diagonal_iiT6_lPT7_lllS4_lllPT8_llli,comdat
.Lfunc_end13:
	.size	_ZL30rocblas_trmm_outofplace_kernelIfLi32ELi2ELb0ELb0ELb0ELb0EfKffEv17rocblas_diagonal_iiT6_lPT7_lllS4_lllPT8_llli, .Lfunc_end13-_ZL30rocblas_trmm_outofplace_kernelIfLi32ELi2ELb0ELb0ELb0ELb0EfKffEv17rocblas_diagonal_iiT6_lPT7_lllS4_lllPT8_llli
                                        ; -- End function
	.set _ZL30rocblas_trmm_outofplace_kernelIfLi32ELi2ELb0ELb0ELb0ELb0EfKffEv17rocblas_diagonal_iiT6_lPT7_lllS4_lllPT8_llli.num_vgpr, 68
	.set _ZL30rocblas_trmm_outofplace_kernelIfLi32ELi2ELb0ELb0ELb0ELb0EfKffEv17rocblas_diagonal_iiT6_lPT7_lllS4_lllPT8_llli.num_agpr, 0
	.set _ZL30rocblas_trmm_outofplace_kernelIfLi32ELi2ELb0ELb0ELb0ELb0EfKffEv17rocblas_diagonal_iiT6_lPT7_lllS4_lllPT8_llli.numbered_sgpr, 47
	.set _ZL30rocblas_trmm_outofplace_kernelIfLi32ELi2ELb0ELb0ELb0ELb0EfKffEv17rocblas_diagonal_iiT6_lPT7_lllS4_lllPT8_llli.num_named_barrier, 0
	.set _ZL30rocblas_trmm_outofplace_kernelIfLi32ELi2ELb0ELb0ELb0ELb0EfKffEv17rocblas_diagonal_iiT6_lPT7_lllS4_lllPT8_llli.private_seg_size, 0
	.set _ZL30rocblas_trmm_outofplace_kernelIfLi32ELi2ELb0ELb0ELb0ELb0EfKffEv17rocblas_diagonal_iiT6_lPT7_lllS4_lllPT8_llli.uses_vcc, 1
	.set _ZL30rocblas_trmm_outofplace_kernelIfLi32ELi2ELb0ELb0ELb0ELb0EfKffEv17rocblas_diagonal_iiT6_lPT7_lllS4_lllPT8_llli.uses_flat_scratch, 0
	.set _ZL30rocblas_trmm_outofplace_kernelIfLi32ELi2ELb0ELb0ELb0ELb0EfKffEv17rocblas_diagonal_iiT6_lPT7_lllS4_lllPT8_llli.has_dyn_sized_stack, 0
	.set _ZL30rocblas_trmm_outofplace_kernelIfLi32ELi2ELb0ELb0ELb0ELb0EfKffEv17rocblas_diagonal_iiT6_lPT7_lllS4_lllPT8_llli.has_recursion, 0
	.set _ZL30rocblas_trmm_outofplace_kernelIfLi32ELi2ELb0ELb0ELb0ELb0EfKffEv17rocblas_diagonal_iiT6_lPT7_lllS4_lllPT8_llli.has_indirect_call, 0
	.section	.AMDGPU.csdata,"",@progbits
; Kernel info:
; codeLenInByte = 2996
; TotalNumSgprs: 49
; NumVgprs: 68
; ScratchSize: 0
; MemoryBound: 0
; FloatMode: 240
; IeeeMode: 1
; LDSByteSize: 8192 bytes/workgroup (compile time only)
; SGPRBlocks: 0
; VGPRBlocks: 8
; NumSGPRsForWavesPerEU: 49
; NumVGPRsForWavesPerEU: 68
; Occupancy: 12
; WaveLimiterHint : 0
; COMPUTE_PGM_RSRC2:SCRATCH_EN: 0
; COMPUTE_PGM_RSRC2:USER_SGPR: 6
; COMPUTE_PGM_RSRC2:TRAP_HANDLER: 0
; COMPUTE_PGM_RSRC2:TGID_X_EN: 1
; COMPUTE_PGM_RSRC2:TGID_Y_EN: 1
; COMPUTE_PGM_RSRC2:TGID_Z_EN: 1
; COMPUTE_PGM_RSRC2:TIDIG_COMP_CNT: 1
	.section	.text._ZL30rocblas_trmm_outofplace_kernelIfLi32ELi2ELb0ELb1ELb0ELb0EPKfS0_fEv17rocblas_diagonal_iiT6_lPT7_lllS5_lllPT8_llli,"axG",@progbits,_ZL30rocblas_trmm_outofplace_kernelIfLi32ELi2ELb0ELb1ELb0ELb0EPKfS0_fEv17rocblas_diagonal_iiT6_lPT7_lllS5_lllPT8_llli,comdat
	.globl	_ZL30rocblas_trmm_outofplace_kernelIfLi32ELi2ELb0ELb1ELb0ELb0EPKfS0_fEv17rocblas_diagonal_iiT6_lPT7_lllS5_lllPT8_llli ; -- Begin function _ZL30rocblas_trmm_outofplace_kernelIfLi32ELi2ELb0ELb1ELb0ELb0EPKfS0_fEv17rocblas_diagonal_iiT6_lPT7_lllS5_lllPT8_llli
	.p2align	8
	.type	_ZL30rocblas_trmm_outofplace_kernelIfLi32ELi2ELb0ELb1ELb0ELb0EPKfS0_fEv17rocblas_diagonal_iiT6_lPT7_lllS5_lllPT8_llli,@function
_ZL30rocblas_trmm_outofplace_kernelIfLi32ELi2ELb0ELb1ELb0ELb0EPKfS0_fEv17rocblas_diagonal_iiT6_lPT7_lllS5_lllPT8_llli: ; @_ZL30rocblas_trmm_outofplace_kernelIfLi32ELi2ELb0ELb1ELb0ELb0EPKfS0_fEv17rocblas_diagonal_iiT6_lPT7_lllS5_lllPT8_llli
; %bb.0:
	s_load_dwordx16 s[12:27], s[4:5], 0x10
	s_waitcnt lgkmcnt(0)
	s_mul_i32 s0, s15, s8
	s_mul_hi_u32 s1, s14, s8
	s_add_i32 s1, s1, s0
	s_mul_i32 s0, s14, s8
	s_lshl_b64 s[0:1], s[0:1], 2
	s_add_u32 s0, s12, s0
	s_addc_u32 s1, s13, s1
	s_load_dword s11, s[0:1], 0x0
	s_waitcnt lgkmcnt(0)
	v_cmp_eq_f32_e64 s0, s11, 0
	s_and_b32 vcc_lo, exec_lo, s0
	s_cbranch_vccnz .LBB14_51
; %bb.1:
	s_load_dwordx4 s[12:15], s[4:5], 0x0
	s_waitcnt lgkmcnt(0)
	s_add_i32 s0, s14, -1
	s_ashr_i32 s1, s0, 31
	s_lshr_b32 s1, s1, 27
	s_add_i32 s0, s0, s1
	s_ashr_i32 s33, s0, 5
	s_cmp_gt_i32 s7, s33
	s_cbranch_scc1 .LBB14_51
; %bb.2:
	s_clause 0x2
	s_load_dwordx8 s[36:43], s[4:5], 0x50
	s_load_dwordx4 s[28:31], s[4:5], 0x70
	s_load_dword s34, s[4:5], 0x8c
	v_lshl_add_u32 v2, s6, 5, v0
	v_lshl_add_u32 v8, v1, 2, 64
	v_lshlrev_b32_e32 v37, 2, v0
	v_lshlrev_b32_e32 v36, 7, v1
	v_mov_b32_e32 v38, 0
	v_ashrrev_i32_e32 v3, 31, v2
	v_sub_co_u32 v6, vcc_lo, s13, v2
	v_or_b32_e32 v40, 0x1000, v37
	v_add_nc_u32_e32 v39, v36, v37
	v_lshlrev_b64 v[10:11], 2, v[2:3]
	v_lshl_add_u32 v16, s7, 5, v1
	v_mov_b32_e32 v46, 1.0
	v_add_nc_u32_e32 v41, v40, v36
	v_add_nc_u32_e32 v47, 0x400, v40
	;; [unrolled: 1-line block ×4, first 2 shown]
	s_waitcnt lgkmcnt(0)
	s_mul_i32 s1, s39, s8
	s_mul_hi_u32 s2, s38, s8
	s_mul_i32 s0, s38, s8
	s_add_i32 s1, s2, s1
	s_mul_i32 s3, s31, s8
	s_lshl_b64 s[0:1], s[0:1], 2
	s_mul_hi_u32 s4, s30, s8
	s_add_u32 s5, s24, s0
	s_addc_u32 s6, s25, s1
	s_lshl_b64 s[0:1], s[26:27], 2
	s_mul_i32 s2, s30, s8
	s_add_u32 s5, s5, s0
	s_addc_u32 s6, s6, s1
	s_add_i32 s3, s4, s3
	v_mad_u64_u32 v[4:5], null, s36, v1, 0
	s_lshl_b64 s[0:1], s[2:3], 2
	v_mad_u64_u32 v[14:15], null, s36, v8, 0
	s_add_u32 s2, s40, s0
	s_addc_u32 s3, s41, s1
	s_lshl_b64 s[0:1], s[42:43], 2
	s_mul_hi_u32 s4, s22, s8
	s_add_u32 s30, s2, s0
	s_addc_u32 s31, s3, s1
	s_cmpk_eq_i32 s12, 0x84
	v_cmp_gt_i32_e64 s1, s13, v2
	s_cselect_b32 s35, -1, 0
	s_ashr_i32 s0, s13, 31
	v_sub_co_u32 v42, s3, 0, v0
	v_sub_co_ci_u32_e64 v7, null, s0, v3, vcc_lo
	v_add_co_u32 v12, vcc_lo, s5, v10
	v_add_co_ci_u32_e64 v13, null, s6, v11, vcc_lo
	v_cmp_gt_i64_e32 vcc_lo, 1, v[6:7]
	v_cmp_gt_i64_e64 s0, 17, v[6:7]
	v_add_nc_u32_e32 v6, 16, v2
	v_mov_b32_e32 v2, v5
	s_ashr_i32 s15, s14, 31
	s_lshl_b64 s[24:25], s[36:37], 7
	v_sub_co_ci_u32_e64 v43, null, 0, 0, s3
	v_mad_u64_u32 v[2:3], null, s37, v1, v[2:3]
	v_ashrrev_i32_e32 v7, 31, v6
	s_mul_i32 s3, s23, s8
	s_add_u32 s26, s14, -16
	s_addc_u32 s27, s15, -1
	s_add_i32 s5, s4, s3
	s_mul_i32 s4, s22, s8
	v_mov_b32_e32 v5, v2
	v_mov_b32_e32 v2, v15
	s_lshl_b64 s[4:5], s[4:5], 2
	s_lshl_b64 s[8:9], s[18:19], 2
	s_lshl_b32 s22, s34, 5
	v_lshlrev_b64 v[3:4], 2, v[4:5]
	v_lshlrev_b64 v[18:19], 2, v[6:7]
	v_cmp_gt_i32_e64 s2, s13, v6
	s_add_u32 s4, s4, s8
	s_addc_u32 s5, s5, s9
	s_add_u32 s12, s16, s4
	v_mad_u64_u32 v[8:9], null, s37, v8, v[2:3]
	v_add_co_u32 v15, s3, v3, 64
	v_add_co_ci_u32_e64 v44, null, 0, v4, s3
	s_addc_u32 s13, s17, s5
	s_lshl_b64 s[16:17], s[20:21], 2
	v_mov_b32_e32 v45, v8
	s_branch .LBB14_4
.LBB14_3:                               ;   in Loop: Header=BB14_4 Depth=1
	s_or_b32 exec_lo, exec_lo, s4
	v_add_nc_u32_e32 v16, s22, v16
	s_add_i32 s7, s34, s7
	s_cmp_le_i32 s7, s33
	s_cbranch_scc0 .LBB14_51
.LBB14_4:                               ; =>This Loop Header: Depth=1
                                        ;     Child Loop BB14_7 Depth 2
	s_lshl_b32 s23, s7, 5
	v_mov_b32_e32 v52, 0
	v_add_nc_u32_e32 v20, s23, v1
	v_mov_b32_e32 v51, 0
	v_mov_b32_e32 v50, 0
	;; [unrolled: 1-line block ×3, first 2 shown]
	s_cmp_lt_i32 s7, 0
	v_ashrrev_i32_e32 v21, 31, v20
	s_cbranch_scc1 .LBB14_43
; %bb.5:                                ;   in Loop: Header=BB14_4 Depth=1
	v_ashrrev_i32_e32 v17, 31, v16
	v_add_co_u32 v26, s4, v20, 16
	v_add_co_ci_u32_e64 v27, null, 0, v21, s4
	v_lshlrev_b64 v[2:3], 2, v[16:17]
	v_add_co_u32 v28, s4, v42, v16
	v_mad_u64_u32 v[22:23], null, s16, v16, s[12:13]
	v_mul_lo_u32 v4, s17, v16
	v_add_co_u32 v2, s3, v2, 64
	v_add_co_ci_u32_e64 v3, null, 0, v3, s3
	v_mul_lo_u32 v5, s16, v17
	v_mul_lo_u32 v6, s21, v2
	v_mad_u64_u32 v[24:25], null, s20, v2, s[12:13]
	v_mul_lo_u32 v3, s20, v3
	v_add_co_ci_u32_e64 v29, null, v43, v17, s4
	v_add_co_u32 v30, s5, v28, 16
	v_cmp_le_i64_e64 s4, s[14:15], v[26:27]
	v_add_co_ci_u32_e64 v31, null, 0, v29, s5
	v_add_co_u32 v32, s5, v28, -16
	v_mov_b32_e32 v35, v13
	v_cmp_le_i32_e64 s3, s14, v20
	v_add3_u32 v23, v4, v23, v5
	v_add3_u32 v25, v6, v25, v3
	v_add_co_ci_u32_e64 v33, null, -1, v29, s5
	v_mov_b32_e32 v17, 0
	v_mov_b32_e32 v34, v12
	;; [unrolled: 1-line block ×5, first 2 shown]
	s_mov_b64 s[18:19], 0
	s_branch .LBB14_7
.LBB14_6:                               ;   in Loop: Header=BB14_7 Depth=2
	s_or_b32 exec_lo, exec_lo, s5
	s_waitcnt lgkmcnt(0)
	s_barrier
	buffer_gl0_inv
	ds_read_b128 v[53:56], v36
	ds_read_b128 v[57:60], v36 offset:16
	ds_read_b128 v[6:9], v36 offset:32
	;; [unrolled: 1-line block ×3, first 2 shown]
	ds_read2_b32 v[65:66], v40 offset1:16
	ds_read_b128 v[61:64], v36 offset:2048
	v_add_co_u32 v24, s5, 0x80, v24
	v_add_co_ci_u32_e64 v25, null, 0, v25, s5
	v_add_co_u32 v34, s5, v34, s24
	v_add_co_ci_u32_e64 v35, null, s25, v35, s5
	v_add_co_u32 v22, s5, 0x80, v22
	s_add_u32 s18, s18, 32
	v_add_co_ci_u32_e64 v23, null, 0, v23, s5
	s_addc_u32 s19, s19, 0
	s_sub_i32 s6, s18, 32
	s_cmp_ge_i32 s6, s23
	s_waitcnt lgkmcnt(1)
	v_fmac_f32_e32 v52, v65, v53
	v_fmac_f32_e32 v51, v66, v53
	s_waitcnt lgkmcnt(0)
	v_fmac_f32_e32 v50, v65, v61
	v_fmac_f32_e32 v17, v66, v61
	ds_read2_b32 v[65:66], v40 offset0:32 offset1:48
	s_waitcnt lgkmcnt(0)
	v_fmac_f32_e32 v52, v65, v54
	v_fmac_f32_e32 v51, v66, v54
	ds_read2_b32 v[53:54], v40 offset0:64 offset1:80
	v_fmac_f32_e32 v50, v65, v62
	v_fmac_f32_e32 v17, v66, v62
	ds_read2_b32 v[61:62], v40 offset0:128 offset1:144
	s_waitcnt lgkmcnt(1)
	v_fmac_f32_e32 v52, v53, v55
	v_fmac_f32_e32 v51, v54, v55
	;; [unrolled: 1-line block ×4, first 2 shown]
	ds_read2_b32 v[53:54], v40 offset0:96 offset1:112
	s_waitcnt lgkmcnt(0)
	v_fmac_f32_e32 v52, v53, v56
	v_fmac_f32_e32 v51, v54, v56
	;; [unrolled: 1-line block ×4, first 2 shown]
	ds_read_b128 v[53:56], v36 offset:2064
	v_fmac_f32_e32 v52, v61, v57
	v_fmac_f32_e32 v51, v62, v57
	s_waitcnt lgkmcnt(0)
	v_fmac_f32_e32 v50, v61, v53
	v_fmac_f32_e32 v17, v62, v53
	ds_read2_b32 v[61:62], v40 offset0:160 offset1:176
	s_waitcnt lgkmcnt(0)
	v_fmac_f32_e32 v50, v61, v54
	v_fmac_f32_e32 v17, v62, v54
	ds_read2_b32 v[53:54], v40 offset0:192 offset1:208
	v_fmac_f32_e32 v52, v61, v58
	v_fmac_f32_e32 v51, v62, v58
	ds_read2_b32 v[57:58], v47 offset1:16
	s_waitcnt lgkmcnt(1)
	v_fmac_f32_e32 v52, v53, v59
	v_fmac_f32_e32 v51, v54, v59
	;; [unrolled: 1-line block ×4, first 2 shown]
	ds_read2_b32 v[53:54], v40 offset0:224 offset1:240
	s_waitcnt lgkmcnt(0)
	v_fmac_f32_e32 v52, v53, v60
	v_fmac_f32_e32 v51, v54, v60
	;; [unrolled: 1-line block ×4, first 2 shown]
	ds_read_b128 v[53:56], v36 offset:2080
	v_fmac_f32_e32 v52, v57, v6
	v_fmac_f32_e32 v51, v58, v6
	s_waitcnt lgkmcnt(0)
	v_fmac_f32_e32 v50, v57, v53
	v_fmac_f32_e32 v17, v58, v53
	ds_read2_b32 v[57:58], v47 offset0:32 offset1:48
	s_waitcnt lgkmcnt(0)
	v_fmac_f32_e32 v52, v57, v7
	v_fmac_f32_e32 v51, v58, v7
	ds_read2_b32 v[6:7], v47 offset0:64 offset1:80
	v_fmac_f32_e32 v50, v57, v54
	v_fmac_f32_e32 v17, v58, v54
	ds_read2_b32 v[53:54], v47 offset0:128 offset1:144
	s_waitcnt lgkmcnt(1)
	v_fmac_f32_e32 v52, v6, v8
	v_fmac_f32_e32 v51, v7, v8
	v_fmac_f32_e32 v50, v6, v55
	v_fmac_f32_e32 v17, v7, v55
	ds_read2_b32 v[6:7], v47 offset0:96 offset1:112
	s_waitcnt lgkmcnt(0)
	v_fmac_f32_e32 v52, v6, v9
	v_fmac_f32_e32 v51, v7, v9
	;; [unrolled: 1-line block ×4, first 2 shown]
	ds_read_b128 v[6:9], v36 offset:2096
	v_fmac_f32_e32 v52, v53, v2
	v_fmac_f32_e32 v51, v54, v2
	s_waitcnt lgkmcnt(0)
	v_fmac_f32_e32 v50, v53, v6
	v_fmac_f32_e32 v17, v54, v6
	ds_read2_b32 v[53:54], v47 offset0:160 offset1:176
	s_waitcnt lgkmcnt(0)
	v_fmac_f32_e32 v52, v53, v3
	v_fmac_f32_e32 v51, v54, v3
	ds_read2_b32 v[2:3], v47 offset0:192 offset1:208
	v_fmac_f32_e32 v50, v53, v7
	v_fmac_f32_e32 v17, v54, v7
	s_waitcnt lgkmcnt(0)
	v_fmac_f32_e32 v52, v2, v4
	v_fmac_f32_e32 v51, v3, v4
	;; [unrolled: 1-line block ×4, first 2 shown]
	ds_read2_b32 v[2:3], v47 offset0:224 offset1:240
	s_waitcnt lgkmcnt(0)
	v_fmac_f32_e32 v52, v2, v5
	v_fmac_f32_e32 v51, v3, v5
	;; [unrolled: 1-line block ×4, first 2 shown]
	ds_read_b128 v[2:5], v36 offset:64
	ds_read2_b32 v[53:54], v48 offset1:16
	ds_read_b128 v[6:9], v36 offset:2112
	s_waitcnt lgkmcnt(1)
	v_fmac_f32_e32 v52, v53, v2
	v_fmac_f32_e32 v51, v54, v2
	s_waitcnt lgkmcnt(0)
	v_fmac_f32_e32 v50, v53, v6
	v_fmac_f32_e32 v17, v54, v6
	ds_read2_b32 v[53:54], v48 offset0:32 offset1:48
	s_waitcnt lgkmcnt(0)
	v_fmac_f32_e32 v52, v53, v3
	v_fmac_f32_e32 v51, v54, v3
	ds_read2_b32 v[2:3], v48 offset0:64 offset1:80
	v_fmac_f32_e32 v50, v53, v7
	v_fmac_f32_e32 v17, v54, v7
	s_waitcnt lgkmcnt(0)
	v_fmac_f32_e32 v52, v2, v4
	v_fmac_f32_e32 v51, v3, v4
	;; [unrolled: 1-line block ×4, first 2 shown]
	ds_read2_b32 v[2:3], v48 offset0:96 offset1:112
	s_waitcnt lgkmcnt(0)
	v_fmac_f32_e32 v52, v2, v5
	v_fmac_f32_e32 v51, v3, v5
	;; [unrolled: 1-line block ×4, first 2 shown]
	ds_read_b128 v[2:5], v36 offset:80
	ds_read2_b32 v[53:54], v48 offset0:128 offset1:144
	ds_read_b128 v[6:9], v36 offset:2128
	s_waitcnt lgkmcnt(1)
	v_fmac_f32_e32 v52, v53, v2
	v_fmac_f32_e32 v51, v54, v2
	s_waitcnt lgkmcnt(0)
	v_fmac_f32_e32 v50, v53, v6
	v_fmac_f32_e32 v17, v54, v6
	ds_read2_b32 v[53:54], v48 offset0:160 offset1:176
	s_waitcnt lgkmcnt(0)
	v_fmac_f32_e32 v52, v53, v3
	v_fmac_f32_e32 v51, v54, v3
	ds_read2_b32 v[2:3], v48 offset0:192 offset1:208
	v_fmac_f32_e32 v50, v53, v7
	v_fmac_f32_e32 v17, v54, v7
	s_waitcnt lgkmcnt(0)
	v_fmac_f32_e32 v52, v2, v4
	v_fmac_f32_e32 v51, v3, v4
	;; [unrolled: 1-line block ×4, first 2 shown]
	ds_read2_b32 v[2:3], v48 offset0:224 offset1:240
	s_waitcnt lgkmcnt(0)
	v_fmac_f32_e32 v52, v2, v5
	v_fmac_f32_e32 v51, v3, v5
	;; [unrolled: 1-line block ×4, first 2 shown]
	ds_read_b128 v[2:5], v36 offset:96
	ds_read2_b32 v[53:54], v49 offset1:16
	ds_read_b128 v[6:9], v36 offset:2144
	s_waitcnt lgkmcnt(1)
	v_fmac_f32_e32 v52, v53, v2
	v_fmac_f32_e32 v51, v54, v2
	s_waitcnt lgkmcnt(0)
	v_fmac_f32_e32 v50, v53, v6
	v_fmac_f32_e32 v17, v54, v6
	ds_read2_b32 v[53:54], v49 offset0:32 offset1:48
	s_waitcnt lgkmcnt(0)
	v_fmac_f32_e32 v52, v53, v3
	v_fmac_f32_e32 v51, v54, v3
	ds_read2_b32 v[2:3], v49 offset0:64 offset1:80
	v_fmac_f32_e32 v50, v53, v7
	v_fmac_f32_e32 v17, v54, v7
	s_waitcnt lgkmcnt(0)
	v_fmac_f32_e32 v52, v2, v4
	v_fmac_f32_e32 v51, v3, v4
	;; [unrolled: 1-line block ×4, first 2 shown]
	ds_read2_b32 v[2:3], v49 offset0:96 offset1:112
	s_waitcnt lgkmcnt(0)
	v_fmac_f32_e32 v52, v2, v5
	v_fmac_f32_e32 v51, v3, v5
	;; [unrolled: 1-line block ×4, first 2 shown]
	ds_read_b128 v[2:5], v36 offset:112
	ds_read2_b32 v[53:54], v49 offset0:128 offset1:144
	ds_read_b128 v[6:9], v36 offset:2160
	s_waitcnt lgkmcnt(1)
	v_fmac_f32_e32 v52, v53, v2
	v_fmac_f32_e32 v51, v54, v2
	s_waitcnt lgkmcnt(0)
	v_fmac_f32_e32 v50, v53, v6
	v_fmac_f32_e32 v17, v54, v6
	ds_read2_b32 v[53:54], v49 offset0:160 offset1:176
	s_waitcnt lgkmcnt(0)
	v_fmac_f32_e32 v52, v53, v3
	v_fmac_f32_e32 v51, v54, v3
	ds_read2_b32 v[2:3], v49 offset0:192 offset1:208
	v_fmac_f32_e32 v50, v53, v7
	v_fmac_f32_e32 v17, v54, v7
	s_waitcnt lgkmcnt(0)
	v_fmac_f32_e32 v52, v2, v4
	v_fmac_f32_e32 v51, v3, v4
	v_fmac_f32_e32 v50, v2, v8
	v_fmac_f32_e32 v17, v3, v8
	ds_read2_b32 v[2:3], v49 offset0:224 offset1:240
	s_waitcnt lgkmcnt(0)
	s_barrier
	buffer_gl0_inv
	v_fmac_f32_e32 v52, v2, v5
	v_fmac_f32_e32 v51, v3, v5
	;; [unrolled: 1-line block ×4, first 2 shown]
	s_cbranch_scc1 .LBB14_43
.LBB14_7:                               ;   Parent Loop BB14_4 Depth=1
                                        ; =>  This Inner Loop Header: Depth=2
	v_add_co_u32 v2, s5, v0, s18
	v_add_co_ci_u32_e64 v3, null, 0, s19, s5
	v_cmp_eq_u64_e64 s8, s[18:19], v[28:29]
                                        ; implicit-def: $vgpr6
	v_cmp_gt_i64_e64 s5, v[2:3], v[20:21]
	v_cmp_le_i64_e64 s6, s[14:15], v[2:3]
	s_and_b32 s36, s35, s8
	v_add_co_u32 v4, s8, v22, v37
	s_or_b32 s9, s3, s5
	v_add_co_ci_u32_e64 v5, null, 0, v23, s8
	s_or_b32 s8, s9, s36
	s_nor_b32 s8, s6, s8
	s_and_saveexec_b32 s9, s8
	s_xor_b32 s8, exec_lo, s9
	s_cbranch_execz .LBB14_9
; %bb.8:                                ;   in Loop: Header=BB14_7 Depth=2
	global_load_dword v6, v[4:5], off
.LBB14_9:                               ;   in Loop: Header=BB14_7 Depth=2
	s_andn2_saveexec_b32 s8, s8
	s_cbranch_execz .LBB14_11
; %bb.10:                               ;   in Loop: Header=BB14_7 Depth=2
	s_waitcnt vmcnt(0)
	v_cndmask_b32_e64 v6, 0, 1.0, s36
.LBB14_11:                              ;   in Loop: Header=BB14_7 Depth=2
	s_or_b32 exec_lo, exec_lo, s8
	v_add_co_u32 v7, s8, v2, 16
	v_add_co_ci_u32_e64 v8, null, 0, v3, s8
	v_cmp_eq_u64_e64 s9, s[18:19], v[32:33]
	s_waitcnt vmcnt(0)
	ds_write_b32 v39, v6
	v_cmp_gt_i64_e64 s10, v[7:8], v[20:21]
	v_cmp_le_i64_e64 s8, s[14:15], v[7:8]
	s_and_b32 s37, s35, s9
	s_or_b32 s9, s3, s10
	s_or_b32 s9, s9, s37
	s_nor_b32 s9, s8, s9
	s_and_saveexec_b32 s10, s9
	s_xor_b32 s9, exec_lo, s10
	s_cbranch_execz .LBB14_13
; %bb.12:                               ;   in Loop: Header=BB14_7 Depth=2
	global_load_dword v4, v[4:5], off offset:64
	s_waitcnt vmcnt(0)
	ds_write_b32 v39, v4 offset:64
.LBB14_13:                              ;   in Loop: Header=BB14_7 Depth=2
	s_andn2_saveexec_b32 s9, s9
	s_cbranch_execz .LBB14_19
; %bb.14:                               ;   in Loop: Header=BB14_7 Depth=2
	s_xor_b32 s10, s37, -1
	s_and_saveexec_b32 s37, s10
	s_xor_b32 s10, exec_lo, s37
; %bb.15:                               ;   in Loop: Header=BB14_7 Depth=2
	ds_write_b32 v39, v38 offset:64
; %bb.16:                               ;   in Loop: Header=BB14_7 Depth=2
	s_andn2_saveexec_b32 s10, s10
; %bb.17:                               ;   in Loop: Header=BB14_7 Depth=2
	ds_write_b32 v39, v46 offset:64
; %bb.18:                               ;   in Loop: Header=BB14_7 Depth=2
	s_or_b32 exec_lo, exec_lo, s10
.LBB14_19:                              ;   in Loop: Header=BB14_7 Depth=2
	s_or_b32 exec_lo, exec_lo, s9
	v_cmp_eq_u64_e64 s9, s[18:19], v[30:31]
	v_cmp_gt_i64_e64 s10, v[2:3], v[26:27]
                                        ; implicit-def: $vgpr4
	s_and_b32 s37, s35, s9
	v_add_co_u32 v2, s9, v24, v37
	s_or_b32 s10, s4, s10
	v_add_co_ci_u32_e64 v3, null, 0, v25, s9
	s_or_b32 s9, s10, s37
	s_nor_b32 s6, s6, s9
	s_and_saveexec_b32 s9, s6
	s_xor_b32 s6, exec_lo, s9
	s_cbranch_execz .LBB14_21
; %bb.20:                               ;   in Loop: Header=BB14_7 Depth=2
	global_load_dword v4, v[2:3], off
.LBB14_21:                              ;   in Loop: Header=BB14_7 Depth=2
	s_andn2_saveexec_b32 s6, s6
	s_cbranch_execz .LBB14_23
; %bb.22:                               ;   in Loop: Header=BB14_7 Depth=2
	s_waitcnt vmcnt(0)
	v_cndmask_b32_e64 v4, 0, 1.0, s37
.LBB14_23:                              ;   in Loop: Header=BB14_7 Depth=2
	s_or_b32 exec_lo, exec_lo, s6
	s_or_b32 s5, s4, s5
	s_waitcnt vmcnt(0)
	ds_write_b32 v39, v4 offset:2048
	s_or_b32 s5, s5, s36
	s_nor_b32 s5, s8, s5
	s_and_saveexec_b32 s6, s5
	s_xor_b32 s5, exec_lo, s6
	s_cbranch_execz .LBB14_25
; %bb.24:                               ;   in Loop: Header=BB14_7 Depth=2
	global_load_dword v2, v[2:3], off offset:64
	s_waitcnt vmcnt(0)
	ds_write_b32 v39, v2 offset:2112
.LBB14_25:                              ;   in Loop: Header=BB14_7 Depth=2
	s_andn2_saveexec_b32 s5, s5
	s_cbranch_execz .LBB14_31
; %bb.26:                               ;   in Loop: Header=BB14_7 Depth=2
	s_xor_b32 s6, s36, -1
	s_and_saveexec_b32 s8, s6
	s_xor_b32 s6, exec_lo, s8
; %bb.27:                               ;   in Loop: Header=BB14_7 Depth=2
	ds_write_b32 v39, v38 offset:2112
; %bb.28:                               ;   in Loop: Header=BB14_7 Depth=2
	s_andn2_saveexec_b32 s6, s6
; %bb.29:                               ;   in Loop: Header=BB14_7 Depth=2
	ds_write_b32 v39, v46 offset:2112
; %bb.30:                               ;   in Loop: Header=BB14_7 Depth=2
	s_or_b32 exec_lo, exec_lo, s6
.LBB14_31:                              ;   in Loop: Header=BB14_7 Depth=2
	s_or_b32 exec_lo, exec_lo, s5
	v_add_co_u32 v2, s5, v1, s18
	v_add_co_ci_u32_e64 v3, null, 0, s19, s5
	v_add_co_u32 v4, s6, v34, v15
	v_add_co_ci_u32_e64 v5, null, v35, v44, s6
	v_cmp_le_i64_e64 s5, s[14:15], v[2:3]
	v_mov_b32_e32 v6, 0
	s_nor_b32 s8, s5, vcc_lo
	s_and_saveexec_b32 s6, s8
	s_cbranch_execz .LBB14_33
; %bb.32:                               ;   in Loop: Header=BB14_7 Depth=2
	global_load_dword v6, v[4:5], off offset:-64
.LBB14_33:                              ;   in Loop: Header=BB14_7 Depth=2
	s_or_b32 exec_lo, exec_lo, s6
	s_nor_b32 s5, s5, s0
	s_waitcnt vmcnt(0)
	ds_write_b32 v41, v6
	s_and_saveexec_b32 s6, s5
	s_xor_b32 s5, exec_lo, s6
	s_cbranch_execz .LBB14_35
; %bb.34:                               ;   in Loop: Header=BB14_7 Depth=2
	global_load_dword v4, v[4:5], off
	s_waitcnt vmcnt(0)
	ds_write_b32 v41, v4 offset:64
.LBB14_35:                              ;   in Loop: Header=BB14_7 Depth=2
	s_andn2_saveexec_b32 s5, s5
; %bb.36:                               ;   in Loop: Header=BB14_7 Depth=2
	ds_write_b32 v41, v38 offset:64
; %bb.37:                               ;   in Loop: Header=BB14_7 Depth=2
	s_or_b32 exec_lo, exec_lo, s5
	v_cmp_le_i64_e64 s5, s[26:27], v[2:3]
	v_add_co_u32 v2, s6, v34, v14
	v_add_co_ci_u32_e64 v3, null, v35, v45, s6
	v_mov_b32_e32 v4, 0
	s_nor_b32 s8, s5, vcc_lo
	s_and_saveexec_b32 s6, s8
	s_cbranch_execz .LBB14_39
; %bb.38:                               ;   in Loop: Header=BB14_7 Depth=2
	global_load_dword v4, v[2:3], off
.LBB14_39:                              ;   in Loop: Header=BB14_7 Depth=2
	s_or_b32 exec_lo, exec_lo, s6
	s_nor_b32 s5, s5, s0
	s_waitcnt vmcnt(0)
	ds_write_b32 v41, v4 offset:2048
	s_and_saveexec_b32 s6, s5
	s_xor_b32 s5, exec_lo, s6
	s_cbranch_execz .LBB14_41
; %bb.40:                               ;   in Loop: Header=BB14_7 Depth=2
	global_load_dword v2, v[2:3], off offset:64
	s_waitcnt vmcnt(0)
	ds_write_b32 v41, v2 offset:2112
.LBB14_41:                              ;   in Loop: Header=BB14_7 Depth=2
	s_andn2_saveexec_b32 s5, s5
	s_cbranch_execz .LBB14_6
; %bb.42:                               ;   in Loop: Header=BB14_7 Depth=2
	ds_write_b32 v41, v38 offset:2112
	s_branch .LBB14_6
.LBB14_43:                              ;   in Loop: Header=BB14_4 Depth=1
	v_mul_lo_u32 v4, s29, v20
	v_mul_lo_u32 v5, s28, v21
	v_mad_u64_u32 v[2:3], null, s28, v20, 0
	v_cmp_gt_i32_e64 s3, s14, v20
	v_add3_u32 v3, v3, v5, v4
	v_lshlrev_b64 v[2:3], 2, v[2:3]
	v_add_co_u32 v2, s4, s30, v2
	v_add_co_ci_u32_e64 v3, null, s31, v3, s4
	s_and_b32 s4, s1, s3
	s_and_saveexec_b32 s5, s4
	s_cbranch_execz .LBB14_45
; %bb.44:                               ;   in Loop: Header=BB14_4 Depth=1
	v_add_co_u32 v4, s4, v2, v10
	v_add_co_ci_u32_e64 v5, null, v3, v11, s4
	global_load_dword v6, v[4:5], off
	s_waitcnt vmcnt(0)
	v_fmac_f32_e32 v6, s11, v52
	global_store_dword v[4:5], v6, off
.LBB14_45:                              ;   in Loop: Header=BB14_4 Depth=1
	s_or_b32 exec_lo, exec_lo, s5
	s_and_b32 s3, s2, s3
	s_and_saveexec_b32 s4, s3
	s_cbranch_execz .LBB14_47
; %bb.46:                               ;   in Loop: Header=BB14_4 Depth=1
	v_add_co_u32 v2, s3, v2, v18
	v_add_co_ci_u32_e64 v3, null, v3, v19, s3
	global_load_dword v4, v[2:3], off
	s_waitcnt vmcnt(0)
	v_fmac_f32_e32 v4, s11, v51
	global_store_dword v[2:3], v4, off
.LBB14_47:                              ;   in Loop: Header=BB14_4 Depth=1
	s_or_b32 exec_lo, exec_lo, s4
	v_add_nc_u32_e32 v4, 16, v20
	v_ashrrev_i32_e32 v5, 31, v4
	v_mul_lo_u32 v6, s29, v4
	v_mad_u64_u32 v[2:3], null, s28, v4, 0
	v_cmp_gt_i32_e64 s3, s14, v4
	v_mul_lo_u32 v5, s28, v5
	v_add3_u32 v3, v3, v5, v6
	v_lshlrev_b64 v[2:3], 2, v[2:3]
	v_add_co_u32 v2, s4, s30, v2
	v_add_co_ci_u32_e64 v3, null, s31, v3, s4
	s_and_b32 s4, s1, s3
	s_and_saveexec_b32 s5, s4
	s_cbranch_execz .LBB14_49
; %bb.48:                               ;   in Loop: Header=BB14_4 Depth=1
	v_add_co_u32 v4, s4, v2, v10
	v_add_co_ci_u32_e64 v5, null, v3, v11, s4
	global_load_dword v6, v[4:5], off
	s_waitcnt vmcnt(0)
	v_fmac_f32_e32 v6, s11, v50
	global_store_dword v[4:5], v6, off
.LBB14_49:                              ;   in Loop: Header=BB14_4 Depth=1
	s_or_b32 exec_lo, exec_lo, s5
	s_and_b32 s3, s2, s3
	s_and_saveexec_b32 s4, s3
	s_cbranch_execz .LBB14_3
; %bb.50:                               ;   in Loop: Header=BB14_4 Depth=1
	v_add_co_u32 v2, s3, v2, v18
	v_add_co_ci_u32_e64 v3, null, v3, v19, s3
	global_load_dword v4, v[2:3], off
	s_waitcnt vmcnt(0)
	v_fmac_f32_e32 v4, s11, v17
	global_store_dword v[2:3], v4, off
	s_branch .LBB14_3
.LBB14_51:
	s_endpgm
	.section	.rodata,"a",@progbits
	.p2align	6, 0x0
	.amdhsa_kernel _ZL30rocblas_trmm_outofplace_kernelIfLi32ELi2ELb0ELb1ELb0ELb0EPKfS0_fEv17rocblas_diagonal_iiT6_lPT7_lllS5_lllPT8_llli
		.amdhsa_group_segment_fixed_size 8192
		.amdhsa_private_segment_fixed_size 0
		.amdhsa_kernarg_size 392
		.amdhsa_user_sgpr_count 6
		.amdhsa_user_sgpr_private_segment_buffer 1
		.amdhsa_user_sgpr_dispatch_ptr 0
		.amdhsa_user_sgpr_queue_ptr 0
		.amdhsa_user_sgpr_kernarg_segment_ptr 1
		.amdhsa_user_sgpr_dispatch_id 0
		.amdhsa_user_sgpr_flat_scratch_init 0
		.amdhsa_user_sgpr_private_segment_size 0
		.amdhsa_wavefront_size32 1
		.amdhsa_uses_dynamic_stack 0
		.amdhsa_system_sgpr_private_segment_wavefront_offset 0
		.amdhsa_system_sgpr_workgroup_id_x 1
		.amdhsa_system_sgpr_workgroup_id_y 1
		.amdhsa_system_sgpr_workgroup_id_z 1
		.amdhsa_system_sgpr_workgroup_info 0
		.amdhsa_system_vgpr_workitem_id 1
		.amdhsa_next_free_vgpr 67
		.amdhsa_next_free_sgpr 44
		.amdhsa_reserve_vcc 1
		.amdhsa_reserve_flat_scratch 0
		.amdhsa_float_round_mode_32 0
		.amdhsa_float_round_mode_16_64 0
		.amdhsa_float_denorm_mode_32 3
		.amdhsa_float_denorm_mode_16_64 3
		.amdhsa_dx10_clamp 1
		.amdhsa_ieee_mode 1
		.amdhsa_fp16_overflow 0
		.amdhsa_workgroup_processor_mode 1
		.amdhsa_memory_ordered 1
		.amdhsa_forward_progress 1
		.amdhsa_shared_vgpr_count 0
		.amdhsa_exception_fp_ieee_invalid_op 0
		.amdhsa_exception_fp_denorm_src 0
		.amdhsa_exception_fp_ieee_div_zero 0
		.amdhsa_exception_fp_ieee_overflow 0
		.amdhsa_exception_fp_ieee_underflow 0
		.amdhsa_exception_fp_ieee_inexact 0
		.amdhsa_exception_int_div_zero 0
	.end_amdhsa_kernel
	.section	.text._ZL30rocblas_trmm_outofplace_kernelIfLi32ELi2ELb0ELb1ELb0ELb0EPKfS0_fEv17rocblas_diagonal_iiT6_lPT7_lllS5_lllPT8_llli,"axG",@progbits,_ZL30rocblas_trmm_outofplace_kernelIfLi32ELi2ELb0ELb1ELb0ELb0EPKfS0_fEv17rocblas_diagonal_iiT6_lPT7_lllS5_lllPT8_llli,comdat
.Lfunc_end14:
	.size	_ZL30rocblas_trmm_outofplace_kernelIfLi32ELi2ELb0ELb1ELb0ELb0EPKfS0_fEv17rocblas_diagonal_iiT6_lPT7_lllS5_lllPT8_llli, .Lfunc_end14-_ZL30rocblas_trmm_outofplace_kernelIfLi32ELi2ELb0ELb1ELb0ELb0EPKfS0_fEv17rocblas_diagonal_iiT6_lPT7_lllS5_lllPT8_llli
                                        ; -- End function
	.set _ZL30rocblas_trmm_outofplace_kernelIfLi32ELi2ELb0ELb1ELb0ELb0EPKfS0_fEv17rocblas_diagonal_iiT6_lPT7_lllS5_lllPT8_llli.num_vgpr, 67
	.set _ZL30rocblas_trmm_outofplace_kernelIfLi32ELi2ELb0ELb1ELb0ELb0EPKfS0_fEv17rocblas_diagonal_iiT6_lPT7_lllS5_lllPT8_llli.num_agpr, 0
	.set _ZL30rocblas_trmm_outofplace_kernelIfLi32ELi2ELb0ELb1ELb0ELb0EPKfS0_fEv17rocblas_diagonal_iiT6_lPT7_lllS5_lllPT8_llli.numbered_sgpr, 44
	.set _ZL30rocblas_trmm_outofplace_kernelIfLi32ELi2ELb0ELb1ELb0ELb0EPKfS0_fEv17rocblas_diagonal_iiT6_lPT7_lllS5_lllPT8_llli.num_named_barrier, 0
	.set _ZL30rocblas_trmm_outofplace_kernelIfLi32ELi2ELb0ELb1ELb0ELb0EPKfS0_fEv17rocblas_diagonal_iiT6_lPT7_lllS5_lllPT8_llli.private_seg_size, 0
	.set _ZL30rocblas_trmm_outofplace_kernelIfLi32ELi2ELb0ELb1ELb0ELb0EPKfS0_fEv17rocblas_diagonal_iiT6_lPT7_lllS5_lllPT8_llli.uses_vcc, 1
	.set _ZL30rocblas_trmm_outofplace_kernelIfLi32ELi2ELb0ELb1ELb0ELb0EPKfS0_fEv17rocblas_diagonal_iiT6_lPT7_lllS5_lllPT8_llli.uses_flat_scratch, 0
	.set _ZL30rocblas_trmm_outofplace_kernelIfLi32ELi2ELb0ELb1ELb0ELb0EPKfS0_fEv17rocblas_diagonal_iiT6_lPT7_lllS5_lllPT8_llli.has_dyn_sized_stack, 0
	.set _ZL30rocblas_trmm_outofplace_kernelIfLi32ELi2ELb0ELb1ELb0ELb0EPKfS0_fEv17rocblas_diagonal_iiT6_lPT7_lllS5_lllPT8_llli.has_recursion, 0
	.set _ZL30rocblas_trmm_outofplace_kernelIfLi32ELi2ELb0ELb1ELb0ELb0EPKfS0_fEv17rocblas_diagonal_iiT6_lPT7_lllS5_lllPT8_llli.has_indirect_call, 0
	.section	.AMDGPU.csdata,"",@progbits
; Kernel info:
; codeLenInByte = 3044
; TotalNumSgprs: 46
; NumVgprs: 67
; ScratchSize: 0
; MemoryBound: 0
; FloatMode: 240
; IeeeMode: 1
; LDSByteSize: 8192 bytes/workgroup (compile time only)
; SGPRBlocks: 0
; VGPRBlocks: 8
; NumSGPRsForWavesPerEU: 46
; NumVGPRsForWavesPerEU: 67
; Occupancy: 12
; WaveLimiterHint : 0
; COMPUTE_PGM_RSRC2:SCRATCH_EN: 0
; COMPUTE_PGM_RSRC2:USER_SGPR: 6
; COMPUTE_PGM_RSRC2:TRAP_HANDLER: 0
; COMPUTE_PGM_RSRC2:TGID_X_EN: 1
; COMPUTE_PGM_RSRC2:TGID_Y_EN: 1
; COMPUTE_PGM_RSRC2:TGID_Z_EN: 1
; COMPUTE_PGM_RSRC2:TIDIG_COMP_CNT: 1
	.section	.text._ZL30rocblas_trmm_outofplace_kernelIfLi32ELi2ELb0ELb1ELb0ELb0EfKffEv17rocblas_diagonal_iiT6_lPT7_lllS4_lllPT8_llli,"axG",@progbits,_ZL30rocblas_trmm_outofplace_kernelIfLi32ELi2ELb0ELb1ELb0ELb0EfKffEv17rocblas_diagonal_iiT6_lPT7_lllS4_lllPT8_llli,comdat
	.globl	_ZL30rocblas_trmm_outofplace_kernelIfLi32ELi2ELb0ELb1ELb0ELb0EfKffEv17rocblas_diagonal_iiT6_lPT7_lllS4_lllPT8_llli ; -- Begin function _ZL30rocblas_trmm_outofplace_kernelIfLi32ELi2ELb0ELb1ELb0ELb0EfKffEv17rocblas_diagonal_iiT6_lPT7_lllS4_lllPT8_llli
	.p2align	8
	.type	_ZL30rocblas_trmm_outofplace_kernelIfLi32ELi2ELb0ELb1ELb0ELb0EfKffEv17rocblas_diagonal_iiT6_lPT7_lllS4_lllPT8_llli,@function
_ZL30rocblas_trmm_outofplace_kernelIfLi32ELi2ELb0ELb1ELb0ELb0EfKffEv17rocblas_diagonal_iiT6_lPT7_lllS4_lllPT8_llli: ; @_ZL30rocblas_trmm_outofplace_kernelIfLi32ELi2ELb0ELb1ELb0ELb0EfKffEv17rocblas_diagonal_iiT6_lPT7_lllS4_lllPT8_llli
; %bb.0:
	s_load_dwordx4 s[28:31], s[4:5], 0x0
	s_waitcnt lgkmcnt(0)
	v_cmp_eq_f32_e64 s0, s31, 0
	s_and_b32 vcc_lo, exec_lo, s0
	s_cbranch_vccnz .LBB15_51
; %bb.1:
	s_add_i32 s0, s30, -1
	s_ashr_i32 s1, s0, 31
	s_lshr_b32 s1, s1, 27
	s_add_i32 s0, s0, s1
	s_ashr_i32 s11, s0, 5
	s_cmp_gt_i32 s7, s11
	s_cbranch_scc1 .LBB15_51
; %bb.2:
	s_clause 0x2
	s_load_dwordx16 s[12:27], s[4:5], 0x18
	s_load_dwordx8 s[36:43], s[4:5], 0x58
	s_load_dword s33, s[4:5], 0x84
	v_lshl_add_u32 v2, s6, 5, v0
	v_lshl_add_u32 v8, v1, 2, 64
	v_lshlrev_b32_e32 v37, 2, v0
	v_lshlrev_b32_e32 v36, 7, v1
	v_mov_b32_e32 v38, 0
	v_ashrrev_i32_e32 v3, 31, v2
	v_sub_co_u32 v6, vcc_lo, s29, v2
	v_or_b32_e32 v40, 0x1000, v37
	v_add_nc_u32_e32 v39, v36, v37
	v_lshlrev_b64 v[10:11], 2, v[2:3]
	v_lshl_add_u32 v16, s7, 5, v1
	v_mov_b32_e32 v46, 1.0
	v_add_nc_u32_e32 v41, v40, v36
	v_add_nc_u32_e32 v47, 0x400, v40
	;; [unrolled: 1-line block ×4, first 2 shown]
	s_waitcnt lgkmcnt(0)
	s_mul_i32 s1, s27, s8
	s_mul_hi_u32 s2, s26, s8
	s_mul_i32 s0, s26, s8
	s_add_i32 s1, s2, s1
	s_mul_i32 s3, s43, s8
	s_lshl_b64 s[0:1], s[0:1], 2
	s_mul_hi_u32 s4, s42, s8
	s_add_u32 s5, s20, s0
	s_addc_u32 s6, s21, s1
	s_lshl_b64 s[0:1], s[22:23], 2
	s_mul_i32 s2, s42, s8
	s_add_u32 s5, s5, s0
	s_addc_u32 s6, s6, s1
	s_add_i32 s3, s4, s3
	v_mad_u64_u32 v[4:5], null, s24, v1, 0
	s_lshl_b64 s[0:1], s[2:3], 2
	v_mad_u64_u32 v[14:15], null, s24, v8, 0
	s_add_u32 s2, s36, s0
	s_addc_u32 s3, s37, s1
	s_lshl_b64 s[0:1], s[38:39], 2
	s_mul_hi_u32 s4, s18, s8
	s_add_u32 s26, s2, s0
	s_addc_u32 s27, s3, s1
	s_cmpk_eq_i32 s28, 0x84
	v_cmp_gt_i32_e64 s1, s29, v2
	s_cselect_b32 s28, -1, 0
	s_ashr_i32 s0, s29, 31
	v_sub_co_u32 v42, s3, 0, v0
	v_sub_co_ci_u32_e64 v7, null, s0, v3, vcc_lo
	v_add_co_u32 v12, vcc_lo, s5, v10
	v_add_co_ci_u32_e64 v13, null, s6, v11, vcc_lo
	v_cmp_gt_i64_e32 vcc_lo, 1, v[6:7]
	v_cmp_gt_i64_e64 s0, 17, v[6:7]
	v_add_nc_u32_e32 v6, 16, v2
	v_mov_b32_e32 v2, v5
	s_ashr_i32 s35, s30, 31
	s_lshl_b64 s[20:21], s[24:25], 7
	v_sub_co_ci_u32_e64 v43, null, 0, 0, s3
	v_mad_u64_u32 v[2:3], null, s25, v1, v[2:3]
	v_ashrrev_i32_e32 v7, 31, v6
	s_mul_i32 s3, s19, s8
	s_add_u32 s22, s30, -16
	s_addc_u32 s23, s35, -1
	s_add_i32 s5, s4, s3
	s_mul_i32 s4, s18, s8
	v_mov_b32_e32 v5, v2
	v_mov_b32_e32 v2, v15
	s_lshl_b64 s[4:5], s[4:5], 2
	s_lshl_b64 s[8:9], s[14:15], 2
	s_lshl_b32 s24, s33, 5
	v_lshlrev_b64 v[3:4], 2, v[4:5]
	v_lshlrev_b64 v[18:19], 2, v[6:7]
	v_cmp_gt_i32_e64 s2, s29, v6
	s_add_u32 s4, s4, s8
	s_addc_u32 s5, s5, s9
	s_add_u32 s12, s12, s4
	v_mad_u64_u32 v[8:9], null, s25, v8, v[2:3]
	v_add_co_u32 v15, s3, v3, 64
	v_add_co_ci_u32_e64 v44, null, 0, v4, s3
	s_mov_b32 s34, s30
	s_addc_u32 s13, s13, s5
	v_mov_b32_e32 v45, v8
	s_lshl_b64 s[14:15], s[16:17], 2
	s_branch .LBB15_4
.LBB15_3:                               ;   in Loop: Header=BB15_4 Depth=1
	s_or_b32 exec_lo, exec_lo, s4
	v_add_nc_u32_e32 v16, s24, v16
	s_add_i32 s7, s33, s7
	s_cmp_le_i32 s7, s11
	s_cbranch_scc0 .LBB15_51
.LBB15_4:                               ; =>This Loop Header: Depth=1
                                        ;     Child Loop BB15_7 Depth 2
	s_lshl_b32 s25, s7, 5
	v_mov_b32_e32 v52, 0
	v_add_nc_u32_e32 v20, s25, v1
	v_mov_b32_e32 v51, 0
	v_mov_b32_e32 v50, 0
	;; [unrolled: 1-line block ×3, first 2 shown]
	s_cmp_lt_i32 s7, 0
	v_ashrrev_i32_e32 v21, 31, v20
	s_cbranch_scc1 .LBB15_43
; %bb.5:                                ;   in Loop: Header=BB15_4 Depth=1
	v_ashrrev_i32_e32 v17, 31, v16
	v_add_co_u32 v26, s4, v20, 16
	v_add_co_ci_u32_e64 v27, null, 0, v21, s4
	v_lshlrev_b64 v[2:3], 2, v[16:17]
	v_add_co_u32 v28, s4, v42, v16
	v_mad_u64_u32 v[22:23], null, s14, v16, s[12:13]
	v_mul_lo_u32 v4, s15, v16
	v_add_co_u32 v2, s3, v2, 64
	v_add_co_ci_u32_e64 v3, null, 0, v3, s3
	v_mul_lo_u32 v5, s14, v17
	v_mul_lo_u32 v6, s17, v2
	v_mad_u64_u32 v[24:25], null, s16, v2, s[12:13]
	v_mul_lo_u32 v3, s16, v3
	v_add_co_ci_u32_e64 v29, null, v43, v17, s4
	v_add_co_u32 v30, s5, v28, 16
	v_cmp_le_i64_e64 s4, s[34:35], v[26:27]
	v_add_co_ci_u32_e64 v31, null, 0, v29, s5
	v_add_co_u32 v32, s5, v28, -16
	v_mov_b32_e32 v35, v13
	v_cmp_le_i32_e64 s3, s30, v20
	v_add3_u32 v23, v4, v23, v5
	v_add3_u32 v25, v6, v25, v3
	v_add_co_ci_u32_e64 v33, null, -1, v29, s5
	v_mov_b32_e32 v17, 0
	v_mov_b32_e32 v34, v12
	v_mov_b32_e32 v50, 0
	v_mov_b32_e32 v51, 0
	v_mov_b32_e32 v52, 0
	s_mov_b64 s[18:19], 0
	s_branch .LBB15_7
.LBB15_6:                               ;   in Loop: Header=BB15_7 Depth=2
	s_or_b32 exec_lo, exec_lo, s5
	s_waitcnt lgkmcnt(0)
	s_barrier
	buffer_gl0_inv
	ds_read_b128 v[53:56], v36
	ds_read_b128 v[57:60], v36 offset:16
	ds_read_b128 v[6:9], v36 offset:32
	;; [unrolled: 1-line block ×3, first 2 shown]
	ds_read2_b32 v[65:66], v40 offset1:16
	ds_read_b128 v[61:64], v36 offset:2048
	v_add_co_u32 v24, s5, 0x80, v24
	v_add_co_ci_u32_e64 v25, null, 0, v25, s5
	v_add_co_u32 v34, s5, v34, s20
	v_add_co_ci_u32_e64 v35, null, s21, v35, s5
	v_add_co_u32 v22, s5, 0x80, v22
	s_add_u32 s18, s18, 32
	v_add_co_ci_u32_e64 v23, null, 0, v23, s5
	s_addc_u32 s19, s19, 0
	s_sub_i32 s6, s18, 32
	s_cmp_ge_i32 s6, s25
	s_waitcnt lgkmcnt(1)
	v_fmac_f32_e32 v52, v65, v53
	v_fmac_f32_e32 v51, v66, v53
	s_waitcnt lgkmcnt(0)
	v_fmac_f32_e32 v50, v65, v61
	v_fmac_f32_e32 v17, v66, v61
	ds_read2_b32 v[65:66], v40 offset0:32 offset1:48
	s_waitcnt lgkmcnt(0)
	v_fmac_f32_e32 v52, v65, v54
	v_fmac_f32_e32 v51, v66, v54
	ds_read2_b32 v[53:54], v40 offset0:64 offset1:80
	v_fmac_f32_e32 v50, v65, v62
	v_fmac_f32_e32 v17, v66, v62
	ds_read2_b32 v[61:62], v40 offset0:128 offset1:144
	s_waitcnt lgkmcnt(1)
	v_fmac_f32_e32 v52, v53, v55
	v_fmac_f32_e32 v51, v54, v55
	;; [unrolled: 1-line block ×4, first 2 shown]
	ds_read2_b32 v[53:54], v40 offset0:96 offset1:112
	s_waitcnt lgkmcnt(0)
	v_fmac_f32_e32 v52, v53, v56
	v_fmac_f32_e32 v51, v54, v56
	;; [unrolled: 1-line block ×4, first 2 shown]
	ds_read_b128 v[53:56], v36 offset:2064
	v_fmac_f32_e32 v52, v61, v57
	v_fmac_f32_e32 v51, v62, v57
	s_waitcnt lgkmcnt(0)
	v_fmac_f32_e32 v50, v61, v53
	v_fmac_f32_e32 v17, v62, v53
	ds_read2_b32 v[61:62], v40 offset0:160 offset1:176
	s_waitcnt lgkmcnt(0)
	v_fmac_f32_e32 v50, v61, v54
	v_fmac_f32_e32 v17, v62, v54
	ds_read2_b32 v[53:54], v40 offset0:192 offset1:208
	v_fmac_f32_e32 v52, v61, v58
	v_fmac_f32_e32 v51, v62, v58
	ds_read2_b32 v[57:58], v47 offset1:16
	s_waitcnt lgkmcnt(1)
	v_fmac_f32_e32 v52, v53, v59
	v_fmac_f32_e32 v51, v54, v59
	;; [unrolled: 1-line block ×4, first 2 shown]
	ds_read2_b32 v[53:54], v40 offset0:224 offset1:240
	s_waitcnt lgkmcnt(0)
	v_fmac_f32_e32 v52, v53, v60
	v_fmac_f32_e32 v51, v54, v60
	;; [unrolled: 1-line block ×4, first 2 shown]
	ds_read_b128 v[53:56], v36 offset:2080
	v_fmac_f32_e32 v52, v57, v6
	v_fmac_f32_e32 v51, v58, v6
	s_waitcnt lgkmcnt(0)
	v_fmac_f32_e32 v50, v57, v53
	v_fmac_f32_e32 v17, v58, v53
	ds_read2_b32 v[57:58], v47 offset0:32 offset1:48
	s_waitcnt lgkmcnt(0)
	v_fmac_f32_e32 v52, v57, v7
	v_fmac_f32_e32 v51, v58, v7
	ds_read2_b32 v[6:7], v47 offset0:64 offset1:80
	v_fmac_f32_e32 v50, v57, v54
	v_fmac_f32_e32 v17, v58, v54
	ds_read2_b32 v[53:54], v47 offset0:128 offset1:144
	s_waitcnt lgkmcnt(1)
	v_fmac_f32_e32 v52, v6, v8
	v_fmac_f32_e32 v51, v7, v8
	;; [unrolled: 1-line block ×4, first 2 shown]
	ds_read2_b32 v[6:7], v47 offset0:96 offset1:112
	s_waitcnt lgkmcnt(0)
	v_fmac_f32_e32 v52, v6, v9
	v_fmac_f32_e32 v51, v7, v9
	;; [unrolled: 1-line block ×4, first 2 shown]
	ds_read_b128 v[6:9], v36 offset:2096
	v_fmac_f32_e32 v52, v53, v2
	v_fmac_f32_e32 v51, v54, v2
	s_waitcnt lgkmcnt(0)
	v_fmac_f32_e32 v50, v53, v6
	v_fmac_f32_e32 v17, v54, v6
	ds_read2_b32 v[53:54], v47 offset0:160 offset1:176
	s_waitcnt lgkmcnt(0)
	v_fmac_f32_e32 v52, v53, v3
	v_fmac_f32_e32 v51, v54, v3
	ds_read2_b32 v[2:3], v47 offset0:192 offset1:208
	v_fmac_f32_e32 v50, v53, v7
	v_fmac_f32_e32 v17, v54, v7
	s_waitcnt lgkmcnt(0)
	v_fmac_f32_e32 v52, v2, v4
	v_fmac_f32_e32 v51, v3, v4
	;; [unrolled: 1-line block ×4, first 2 shown]
	ds_read2_b32 v[2:3], v47 offset0:224 offset1:240
	s_waitcnt lgkmcnt(0)
	v_fmac_f32_e32 v52, v2, v5
	v_fmac_f32_e32 v51, v3, v5
	;; [unrolled: 1-line block ×4, first 2 shown]
	ds_read_b128 v[2:5], v36 offset:64
	ds_read2_b32 v[53:54], v48 offset1:16
	ds_read_b128 v[6:9], v36 offset:2112
	s_waitcnt lgkmcnt(1)
	v_fmac_f32_e32 v52, v53, v2
	v_fmac_f32_e32 v51, v54, v2
	s_waitcnt lgkmcnt(0)
	v_fmac_f32_e32 v50, v53, v6
	v_fmac_f32_e32 v17, v54, v6
	ds_read2_b32 v[53:54], v48 offset0:32 offset1:48
	s_waitcnt lgkmcnt(0)
	v_fmac_f32_e32 v52, v53, v3
	v_fmac_f32_e32 v51, v54, v3
	ds_read2_b32 v[2:3], v48 offset0:64 offset1:80
	v_fmac_f32_e32 v50, v53, v7
	v_fmac_f32_e32 v17, v54, v7
	s_waitcnt lgkmcnt(0)
	v_fmac_f32_e32 v52, v2, v4
	v_fmac_f32_e32 v51, v3, v4
	;; [unrolled: 1-line block ×4, first 2 shown]
	ds_read2_b32 v[2:3], v48 offset0:96 offset1:112
	s_waitcnt lgkmcnt(0)
	v_fmac_f32_e32 v52, v2, v5
	v_fmac_f32_e32 v51, v3, v5
	;; [unrolled: 1-line block ×4, first 2 shown]
	ds_read_b128 v[2:5], v36 offset:80
	ds_read2_b32 v[53:54], v48 offset0:128 offset1:144
	ds_read_b128 v[6:9], v36 offset:2128
	s_waitcnt lgkmcnt(1)
	v_fmac_f32_e32 v52, v53, v2
	v_fmac_f32_e32 v51, v54, v2
	s_waitcnt lgkmcnt(0)
	v_fmac_f32_e32 v50, v53, v6
	v_fmac_f32_e32 v17, v54, v6
	ds_read2_b32 v[53:54], v48 offset0:160 offset1:176
	s_waitcnt lgkmcnt(0)
	v_fmac_f32_e32 v52, v53, v3
	v_fmac_f32_e32 v51, v54, v3
	ds_read2_b32 v[2:3], v48 offset0:192 offset1:208
	v_fmac_f32_e32 v50, v53, v7
	v_fmac_f32_e32 v17, v54, v7
	s_waitcnt lgkmcnt(0)
	v_fmac_f32_e32 v52, v2, v4
	v_fmac_f32_e32 v51, v3, v4
	;; [unrolled: 1-line block ×4, first 2 shown]
	ds_read2_b32 v[2:3], v48 offset0:224 offset1:240
	s_waitcnt lgkmcnt(0)
	v_fmac_f32_e32 v52, v2, v5
	v_fmac_f32_e32 v51, v3, v5
	;; [unrolled: 1-line block ×4, first 2 shown]
	ds_read_b128 v[2:5], v36 offset:96
	ds_read2_b32 v[53:54], v49 offset1:16
	ds_read_b128 v[6:9], v36 offset:2144
	s_waitcnt lgkmcnt(1)
	v_fmac_f32_e32 v52, v53, v2
	v_fmac_f32_e32 v51, v54, v2
	s_waitcnt lgkmcnt(0)
	v_fmac_f32_e32 v50, v53, v6
	v_fmac_f32_e32 v17, v54, v6
	ds_read2_b32 v[53:54], v49 offset0:32 offset1:48
	s_waitcnt lgkmcnt(0)
	v_fmac_f32_e32 v52, v53, v3
	v_fmac_f32_e32 v51, v54, v3
	ds_read2_b32 v[2:3], v49 offset0:64 offset1:80
	v_fmac_f32_e32 v50, v53, v7
	v_fmac_f32_e32 v17, v54, v7
	s_waitcnt lgkmcnt(0)
	v_fmac_f32_e32 v52, v2, v4
	v_fmac_f32_e32 v51, v3, v4
	;; [unrolled: 1-line block ×4, first 2 shown]
	ds_read2_b32 v[2:3], v49 offset0:96 offset1:112
	s_waitcnt lgkmcnt(0)
	v_fmac_f32_e32 v52, v2, v5
	v_fmac_f32_e32 v51, v3, v5
	;; [unrolled: 1-line block ×4, first 2 shown]
	ds_read_b128 v[2:5], v36 offset:112
	ds_read2_b32 v[53:54], v49 offset0:128 offset1:144
	ds_read_b128 v[6:9], v36 offset:2160
	s_waitcnt lgkmcnt(1)
	v_fmac_f32_e32 v52, v53, v2
	v_fmac_f32_e32 v51, v54, v2
	s_waitcnt lgkmcnt(0)
	v_fmac_f32_e32 v50, v53, v6
	v_fmac_f32_e32 v17, v54, v6
	ds_read2_b32 v[53:54], v49 offset0:160 offset1:176
	s_waitcnt lgkmcnt(0)
	v_fmac_f32_e32 v52, v53, v3
	v_fmac_f32_e32 v51, v54, v3
	ds_read2_b32 v[2:3], v49 offset0:192 offset1:208
	v_fmac_f32_e32 v50, v53, v7
	v_fmac_f32_e32 v17, v54, v7
	s_waitcnt lgkmcnt(0)
	v_fmac_f32_e32 v52, v2, v4
	v_fmac_f32_e32 v51, v3, v4
	v_fmac_f32_e32 v50, v2, v8
	v_fmac_f32_e32 v17, v3, v8
	ds_read2_b32 v[2:3], v49 offset0:224 offset1:240
	s_waitcnt lgkmcnt(0)
	s_barrier
	buffer_gl0_inv
	v_fmac_f32_e32 v52, v2, v5
	v_fmac_f32_e32 v51, v3, v5
	;; [unrolled: 1-line block ×4, first 2 shown]
	s_cbranch_scc1 .LBB15_43
.LBB15_7:                               ;   Parent Loop BB15_4 Depth=1
                                        ; =>  This Inner Loop Header: Depth=2
	v_add_co_u32 v2, s5, v0, s18
	v_add_co_ci_u32_e64 v3, null, 0, s19, s5
	v_cmp_eq_u64_e64 s8, s[18:19], v[28:29]
                                        ; implicit-def: $vgpr6
	v_cmp_gt_i64_e64 s5, v[2:3], v[20:21]
	v_cmp_le_i64_e64 s6, s[34:35], v[2:3]
	s_and_b32 s29, s28, s8
	v_add_co_u32 v4, s8, v22, v37
	s_or_b32 s9, s3, s5
	v_add_co_ci_u32_e64 v5, null, 0, v23, s8
	s_or_b32 s8, s9, s29
	s_nor_b32 s8, s6, s8
	s_and_saveexec_b32 s9, s8
	s_xor_b32 s8, exec_lo, s9
	s_cbranch_execz .LBB15_9
; %bb.8:                                ;   in Loop: Header=BB15_7 Depth=2
	global_load_dword v6, v[4:5], off
.LBB15_9:                               ;   in Loop: Header=BB15_7 Depth=2
	s_andn2_saveexec_b32 s8, s8
	s_cbranch_execz .LBB15_11
; %bb.10:                               ;   in Loop: Header=BB15_7 Depth=2
	s_waitcnt vmcnt(0)
	v_cndmask_b32_e64 v6, 0, 1.0, s29
.LBB15_11:                              ;   in Loop: Header=BB15_7 Depth=2
	s_or_b32 exec_lo, exec_lo, s8
	v_add_co_u32 v7, s8, v2, 16
	v_add_co_ci_u32_e64 v8, null, 0, v3, s8
	v_cmp_eq_u64_e64 s9, s[18:19], v[32:33]
	s_waitcnt vmcnt(0)
	ds_write_b32 v39, v6
	v_cmp_gt_i64_e64 s10, v[7:8], v[20:21]
	v_cmp_le_i64_e64 s8, s[34:35], v[7:8]
	s_and_b32 s36, s28, s9
	s_or_b32 s9, s3, s10
	s_or_b32 s9, s9, s36
	s_nor_b32 s9, s8, s9
	s_and_saveexec_b32 s10, s9
	s_xor_b32 s9, exec_lo, s10
	s_cbranch_execz .LBB15_13
; %bb.12:                               ;   in Loop: Header=BB15_7 Depth=2
	global_load_dword v4, v[4:5], off offset:64
	s_waitcnt vmcnt(0)
	ds_write_b32 v39, v4 offset:64
.LBB15_13:                              ;   in Loop: Header=BB15_7 Depth=2
	s_andn2_saveexec_b32 s9, s9
	s_cbranch_execz .LBB15_19
; %bb.14:                               ;   in Loop: Header=BB15_7 Depth=2
	s_xor_b32 s10, s36, -1
	s_and_saveexec_b32 s36, s10
	s_xor_b32 s10, exec_lo, s36
; %bb.15:                               ;   in Loop: Header=BB15_7 Depth=2
	ds_write_b32 v39, v38 offset:64
; %bb.16:                               ;   in Loop: Header=BB15_7 Depth=2
	s_andn2_saveexec_b32 s10, s10
; %bb.17:                               ;   in Loop: Header=BB15_7 Depth=2
	ds_write_b32 v39, v46 offset:64
; %bb.18:                               ;   in Loop: Header=BB15_7 Depth=2
	s_or_b32 exec_lo, exec_lo, s10
.LBB15_19:                              ;   in Loop: Header=BB15_7 Depth=2
	s_or_b32 exec_lo, exec_lo, s9
	v_cmp_eq_u64_e64 s9, s[18:19], v[30:31]
	v_cmp_gt_i64_e64 s10, v[2:3], v[26:27]
                                        ; implicit-def: $vgpr4
	s_and_b32 s36, s28, s9
	v_add_co_u32 v2, s9, v24, v37
	s_or_b32 s10, s4, s10
	v_add_co_ci_u32_e64 v3, null, 0, v25, s9
	s_or_b32 s9, s10, s36
	s_nor_b32 s6, s6, s9
	s_and_saveexec_b32 s9, s6
	s_xor_b32 s6, exec_lo, s9
	s_cbranch_execz .LBB15_21
; %bb.20:                               ;   in Loop: Header=BB15_7 Depth=2
	global_load_dword v4, v[2:3], off
.LBB15_21:                              ;   in Loop: Header=BB15_7 Depth=2
	s_andn2_saveexec_b32 s6, s6
	s_cbranch_execz .LBB15_23
; %bb.22:                               ;   in Loop: Header=BB15_7 Depth=2
	s_waitcnt vmcnt(0)
	v_cndmask_b32_e64 v4, 0, 1.0, s36
.LBB15_23:                              ;   in Loop: Header=BB15_7 Depth=2
	s_or_b32 exec_lo, exec_lo, s6
	s_or_b32 s5, s4, s5
	s_waitcnt vmcnt(0)
	ds_write_b32 v39, v4 offset:2048
	s_or_b32 s5, s5, s29
	s_nor_b32 s5, s8, s5
	s_and_saveexec_b32 s6, s5
	s_xor_b32 s5, exec_lo, s6
	s_cbranch_execz .LBB15_25
; %bb.24:                               ;   in Loop: Header=BB15_7 Depth=2
	global_load_dword v2, v[2:3], off offset:64
	s_waitcnt vmcnt(0)
	ds_write_b32 v39, v2 offset:2112
.LBB15_25:                              ;   in Loop: Header=BB15_7 Depth=2
	s_andn2_saveexec_b32 s5, s5
	s_cbranch_execz .LBB15_31
; %bb.26:                               ;   in Loop: Header=BB15_7 Depth=2
	s_xor_b32 s6, s29, -1
	s_and_saveexec_b32 s8, s6
	s_xor_b32 s6, exec_lo, s8
; %bb.27:                               ;   in Loop: Header=BB15_7 Depth=2
	ds_write_b32 v39, v38 offset:2112
; %bb.28:                               ;   in Loop: Header=BB15_7 Depth=2
	s_andn2_saveexec_b32 s6, s6
; %bb.29:                               ;   in Loop: Header=BB15_7 Depth=2
	ds_write_b32 v39, v46 offset:2112
; %bb.30:                               ;   in Loop: Header=BB15_7 Depth=2
	s_or_b32 exec_lo, exec_lo, s6
.LBB15_31:                              ;   in Loop: Header=BB15_7 Depth=2
	s_or_b32 exec_lo, exec_lo, s5
	v_add_co_u32 v2, s5, v1, s18
	v_add_co_ci_u32_e64 v3, null, 0, s19, s5
	v_add_co_u32 v4, s6, v34, v15
	v_add_co_ci_u32_e64 v5, null, v35, v44, s6
	v_cmp_le_i64_e64 s5, s[34:35], v[2:3]
	v_mov_b32_e32 v6, 0
	s_nor_b32 s8, s5, vcc_lo
	s_and_saveexec_b32 s6, s8
	s_cbranch_execz .LBB15_33
; %bb.32:                               ;   in Loop: Header=BB15_7 Depth=2
	global_load_dword v6, v[4:5], off offset:-64
.LBB15_33:                              ;   in Loop: Header=BB15_7 Depth=2
	s_or_b32 exec_lo, exec_lo, s6
	s_nor_b32 s5, s5, s0
	s_waitcnt vmcnt(0)
	ds_write_b32 v41, v6
	s_and_saveexec_b32 s6, s5
	s_xor_b32 s5, exec_lo, s6
	s_cbranch_execz .LBB15_35
; %bb.34:                               ;   in Loop: Header=BB15_7 Depth=2
	global_load_dword v4, v[4:5], off
	s_waitcnt vmcnt(0)
	ds_write_b32 v41, v4 offset:64
.LBB15_35:                              ;   in Loop: Header=BB15_7 Depth=2
	s_andn2_saveexec_b32 s5, s5
; %bb.36:                               ;   in Loop: Header=BB15_7 Depth=2
	ds_write_b32 v41, v38 offset:64
; %bb.37:                               ;   in Loop: Header=BB15_7 Depth=2
	s_or_b32 exec_lo, exec_lo, s5
	v_cmp_le_i64_e64 s5, s[22:23], v[2:3]
	v_add_co_u32 v2, s6, v34, v14
	v_add_co_ci_u32_e64 v3, null, v35, v45, s6
	v_mov_b32_e32 v4, 0
	s_nor_b32 s8, s5, vcc_lo
	s_and_saveexec_b32 s6, s8
	s_cbranch_execz .LBB15_39
; %bb.38:                               ;   in Loop: Header=BB15_7 Depth=2
	global_load_dword v4, v[2:3], off
.LBB15_39:                              ;   in Loop: Header=BB15_7 Depth=2
	s_or_b32 exec_lo, exec_lo, s6
	s_nor_b32 s5, s5, s0
	s_waitcnt vmcnt(0)
	ds_write_b32 v41, v4 offset:2048
	s_and_saveexec_b32 s6, s5
	s_xor_b32 s5, exec_lo, s6
	s_cbranch_execz .LBB15_41
; %bb.40:                               ;   in Loop: Header=BB15_7 Depth=2
	global_load_dword v2, v[2:3], off offset:64
	s_waitcnt vmcnt(0)
	ds_write_b32 v41, v2 offset:2112
.LBB15_41:                              ;   in Loop: Header=BB15_7 Depth=2
	s_andn2_saveexec_b32 s5, s5
	s_cbranch_execz .LBB15_6
; %bb.42:                               ;   in Loop: Header=BB15_7 Depth=2
	ds_write_b32 v41, v38 offset:2112
	s_branch .LBB15_6
.LBB15_43:                              ;   in Loop: Header=BB15_4 Depth=1
	v_mul_lo_u32 v4, s41, v20
	v_mul_lo_u32 v5, s40, v21
	v_mad_u64_u32 v[2:3], null, s40, v20, 0
	v_cmp_gt_i32_e64 s3, s30, v20
	v_add3_u32 v3, v3, v5, v4
	v_lshlrev_b64 v[2:3], 2, v[2:3]
	v_add_co_u32 v2, s4, s26, v2
	v_add_co_ci_u32_e64 v3, null, s27, v3, s4
	s_and_b32 s4, s1, s3
	s_and_saveexec_b32 s5, s4
	s_cbranch_execz .LBB15_45
; %bb.44:                               ;   in Loop: Header=BB15_4 Depth=1
	v_add_co_u32 v4, s4, v2, v10
	v_add_co_ci_u32_e64 v5, null, v3, v11, s4
	global_load_dword v6, v[4:5], off
	s_waitcnt vmcnt(0)
	v_fmac_f32_e32 v6, s31, v52
	global_store_dword v[4:5], v6, off
.LBB15_45:                              ;   in Loop: Header=BB15_4 Depth=1
	s_or_b32 exec_lo, exec_lo, s5
	s_and_b32 s3, s2, s3
	s_and_saveexec_b32 s4, s3
	s_cbranch_execz .LBB15_47
; %bb.46:                               ;   in Loop: Header=BB15_4 Depth=1
	v_add_co_u32 v2, s3, v2, v18
	v_add_co_ci_u32_e64 v3, null, v3, v19, s3
	global_load_dword v4, v[2:3], off
	s_waitcnt vmcnt(0)
	v_fmac_f32_e32 v4, s31, v51
	global_store_dword v[2:3], v4, off
.LBB15_47:                              ;   in Loop: Header=BB15_4 Depth=1
	s_or_b32 exec_lo, exec_lo, s4
	v_add_nc_u32_e32 v4, 16, v20
	v_ashrrev_i32_e32 v5, 31, v4
	v_mul_lo_u32 v6, s41, v4
	v_mad_u64_u32 v[2:3], null, s40, v4, 0
	v_cmp_gt_i32_e64 s3, s30, v4
	v_mul_lo_u32 v5, s40, v5
	v_add3_u32 v3, v3, v5, v6
	v_lshlrev_b64 v[2:3], 2, v[2:3]
	v_add_co_u32 v2, s4, s26, v2
	v_add_co_ci_u32_e64 v3, null, s27, v3, s4
	s_and_b32 s4, s1, s3
	s_and_saveexec_b32 s5, s4
	s_cbranch_execz .LBB15_49
; %bb.48:                               ;   in Loop: Header=BB15_4 Depth=1
	v_add_co_u32 v4, s4, v2, v10
	v_add_co_ci_u32_e64 v5, null, v3, v11, s4
	global_load_dword v6, v[4:5], off
	s_waitcnt vmcnt(0)
	v_fmac_f32_e32 v6, s31, v50
	global_store_dword v[4:5], v6, off
.LBB15_49:                              ;   in Loop: Header=BB15_4 Depth=1
	s_or_b32 exec_lo, exec_lo, s5
	s_and_b32 s3, s2, s3
	s_and_saveexec_b32 s4, s3
	s_cbranch_execz .LBB15_3
; %bb.50:                               ;   in Loop: Header=BB15_4 Depth=1
	v_add_co_u32 v2, s3, v2, v18
	v_add_co_ci_u32_e64 v3, null, v3, v19, s3
	global_load_dword v4, v[2:3], off
	s_waitcnt vmcnt(0)
	v_fmac_f32_e32 v4, s31, v17
	global_store_dword v[2:3], v4, off
	s_branch .LBB15_3
.LBB15_51:
	s_endpgm
	.section	.rodata,"a",@progbits
	.p2align	6, 0x0
	.amdhsa_kernel _ZL30rocblas_trmm_outofplace_kernelIfLi32ELi2ELb0ELb1ELb0ELb0EfKffEv17rocblas_diagonal_iiT6_lPT7_lllS4_lllPT8_llli
		.amdhsa_group_segment_fixed_size 8192
		.amdhsa_private_segment_fixed_size 0
		.amdhsa_kernarg_size 384
		.amdhsa_user_sgpr_count 6
		.amdhsa_user_sgpr_private_segment_buffer 1
		.amdhsa_user_sgpr_dispatch_ptr 0
		.amdhsa_user_sgpr_queue_ptr 0
		.amdhsa_user_sgpr_kernarg_segment_ptr 1
		.amdhsa_user_sgpr_dispatch_id 0
		.amdhsa_user_sgpr_flat_scratch_init 0
		.amdhsa_user_sgpr_private_segment_size 0
		.amdhsa_wavefront_size32 1
		.amdhsa_uses_dynamic_stack 0
		.amdhsa_system_sgpr_private_segment_wavefront_offset 0
		.amdhsa_system_sgpr_workgroup_id_x 1
		.amdhsa_system_sgpr_workgroup_id_y 1
		.amdhsa_system_sgpr_workgroup_id_z 1
		.amdhsa_system_sgpr_workgroup_info 0
		.amdhsa_system_vgpr_workitem_id 1
		.amdhsa_next_free_vgpr 67
		.amdhsa_next_free_sgpr 44
		.amdhsa_reserve_vcc 1
		.amdhsa_reserve_flat_scratch 0
		.amdhsa_float_round_mode_32 0
		.amdhsa_float_round_mode_16_64 0
		.amdhsa_float_denorm_mode_32 3
		.amdhsa_float_denorm_mode_16_64 3
		.amdhsa_dx10_clamp 1
		.amdhsa_ieee_mode 1
		.amdhsa_fp16_overflow 0
		.amdhsa_workgroup_processor_mode 1
		.amdhsa_memory_ordered 1
		.amdhsa_forward_progress 1
		.amdhsa_shared_vgpr_count 0
		.amdhsa_exception_fp_ieee_invalid_op 0
		.amdhsa_exception_fp_denorm_src 0
		.amdhsa_exception_fp_ieee_div_zero 0
		.amdhsa_exception_fp_ieee_overflow 0
		.amdhsa_exception_fp_ieee_underflow 0
		.amdhsa_exception_fp_ieee_inexact 0
		.amdhsa_exception_int_div_zero 0
	.end_amdhsa_kernel
	.section	.text._ZL30rocblas_trmm_outofplace_kernelIfLi32ELi2ELb0ELb1ELb0ELb0EfKffEv17rocblas_diagonal_iiT6_lPT7_lllS4_lllPT8_llli,"axG",@progbits,_ZL30rocblas_trmm_outofplace_kernelIfLi32ELi2ELb0ELb1ELb0ELb0EfKffEv17rocblas_diagonal_iiT6_lPT7_lllS4_lllPT8_llli,comdat
.Lfunc_end15:
	.size	_ZL30rocblas_trmm_outofplace_kernelIfLi32ELi2ELb0ELb1ELb0ELb0EfKffEv17rocblas_diagonal_iiT6_lPT7_lllS4_lllPT8_llli, .Lfunc_end15-_ZL30rocblas_trmm_outofplace_kernelIfLi32ELi2ELb0ELb1ELb0ELb0EfKffEv17rocblas_diagonal_iiT6_lPT7_lllS4_lllPT8_llli
                                        ; -- End function
	.set _ZL30rocblas_trmm_outofplace_kernelIfLi32ELi2ELb0ELb1ELb0ELb0EfKffEv17rocblas_diagonal_iiT6_lPT7_lllS4_lllPT8_llli.num_vgpr, 67
	.set _ZL30rocblas_trmm_outofplace_kernelIfLi32ELi2ELb0ELb1ELb0ELb0EfKffEv17rocblas_diagonal_iiT6_lPT7_lllS4_lllPT8_llli.num_agpr, 0
	.set _ZL30rocblas_trmm_outofplace_kernelIfLi32ELi2ELb0ELb1ELb0ELb0EfKffEv17rocblas_diagonal_iiT6_lPT7_lllS4_lllPT8_llli.numbered_sgpr, 44
	.set _ZL30rocblas_trmm_outofplace_kernelIfLi32ELi2ELb0ELb1ELb0ELb0EfKffEv17rocblas_diagonal_iiT6_lPT7_lllS4_lllPT8_llli.num_named_barrier, 0
	.set _ZL30rocblas_trmm_outofplace_kernelIfLi32ELi2ELb0ELb1ELb0ELb0EfKffEv17rocblas_diagonal_iiT6_lPT7_lllS4_lllPT8_llli.private_seg_size, 0
	.set _ZL30rocblas_trmm_outofplace_kernelIfLi32ELi2ELb0ELb1ELb0ELb0EfKffEv17rocblas_diagonal_iiT6_lPT7_lllS4_lllPT8_llli.uses_vcc, 1
	.set _ZL30rocblas_trmm_outofplace_kernelIfLi32ELi2ELb0ELb1ELb0ELb0EfKffEv17rocblas_diagonal_iiT6_lPT7_lllS4_lllPT8_llli.uses_flat_scratch, 0
	.set _ZL30rocblas_trmm_outofplace_kernelIfLi32ELi2ELb0ELb1ELb0ELb0EfKffEv17rocblas_diagonal_iiT6_lPT7_lllS4_lllPT8_llli.has_dyn_sized_stack, 0
	.set _ZL30rocblas_trmm_outofplace_kernelIfLi32ELi2ELb0ELb1ELb0ELb0EfKffEv17rocblas_diagonal_iiT6_lPT7_lllS4_lllPT8_llli.has_recursion, 0
	.set _ZL30rocblas_trmm_outofplace_kernelIfLi32ELi2ELb0ELb1ELb0ELb0EfKffEv17rocblas_diagonal_iiT6_lPT7_lllS4_lllPT8_llli.has_indirect_call, 0
	.section	.AMDGPU.csdata,"",@progbits
; Kernel info:
; codeLenInByte = 2996
; TotalNumSgprs: 46
; NumVgprs: 67
; ScratchSize: 0
; MemoryBound: 0
; FloatMode: 240
; IeeeMode: 1
; LDSByteSize: 8192 bytes/workgroup (compile time only)
; SGPRBlocks: 0
; VGPRBlocks: 8
; NumSGPRsForWavesPerEU: 46
; NumVGPRsForWavesPerEU: 67
; Occupancy: 12
; WaveLimiterHint : 0
; COMPUTE_PGM_RSRC2:SCRATCH_EN: 0
; COMPUTE_PGM_RSRC2:USER_SGPR: 6
; COMPUTE_PGM_RSRC2:TRAP_HANDLER: 0
; COMPUTE_PGM_RSRC2:TGID_X_EN: 1
; COMPUTE_PGM_RSRC2:TGID_Y_EN: 1
; COMPUTE_PGM_RSRC2:TGID_Z_EN: 1
; COMPUTE_PGM_RSRC2:TIDIG_COMP_CNT: 1
	.section	.text._ZL30rocblas_trmm_outofplace_kernelIfLi32ELi2ELb0ELb0ELb1ELb0EPKfS0_fEv17rocblas_diagonal_iiT6_lPT7_lllS5_lllPT8_llli,"axG",@progbits,_ZL30rocblas_trmm_outofplace_kernelIfLi32ELi2ELb0ELb0ELb1ELb0EPKfS0_fEv17rocblas_diagonal_iiT6_lPT7_lllS5_lllPT8_llli,comdat
	.globl	_ZL30rocblas_trmm_outofplace_kernelIfLi32ELi2ELb0ELb0ELb1ELb0EPKfS0_fEv17rocblas_diagonal_iiT6_lPT7_lllS5_lllPT8_llli ; -- Begin function _ZL30rocblas_trmm_outofplace_kernelIfLi32ELi2ELb0ELb0ELb1ELb0EPKfS0_fEv17rocblas_diagonal_iiT6_lPT7_lllS5_lllPT8_llli
	.p2align	8
	.type	_ZL30rocblas_trmm_outofplace_kernelIfLi32ELi2ELb0ELb0ELb1ELb0EPKfS0_fEv17rocblas_diagonal_iiT6_lPT7_lllS5_lllPT8_llli,@function
_ZL30rocblas_trmm_outofplace_kernelIfLi32ELi2ELb0ELb0ELb1ELb0EPKfS0_fEv17rocblas_diagonal_iiT6_lPT7_lllS5_lllPT8_llli: ; @_ZL30rocblas_trmm_outofplace_kernelIfLi32ELi2ELb0ELb0ELb1ELb0EPKfS0_fEv17rocblas_diagonal_iiT6_lPT7_lllS5_lllPT8_llli
; %bb.0:
	s_load_dwordx16 s[12:27], s[4:5], 0x10
	s_waitcnt lgkmcnt(0)
	s_mul_i32 s0, s15, s8
	s_mul_hi_u32 s1, s14, s8
	s_add_i32 s1, s1, s0
	s_mul_i32 s0, s14, s8
	s_lshl_b64 s[0:1], s[0:1], 2
	s_add_u32 s0, s12, s0
	s_addc_u32 s1, s13, s1
	s_load_dword s11, s[0:1], 0x0
	s_waitcnt lgkmcnt(0)
	v_cmp_eq_f32_e64 s0, s11, 0
	s_and_b32 vcc_lo, exec_lo, s0
	s_cbranch_vccnz .LBB16_51
; %bb.1:
	s_load_dwordx4 s[12:15], s[4:5], 0x0
	s_waitcnt lgkmcnt(0)
	s_add_i32 s0, s14, -1
	s_ashr_i32 s1, s0, 31
	s_lshr_b32 s1, s1, 27
	s_add_i32 s0, s0, s1
	s_ashr_i32 s33, s0, 5
	s_cmp_gt_i32 s7, s33
	s_cbranch_scc1 .LBB16_51
; %bb.2:
	s_clause 0x1
	s_load_dwordx8 s[36:43], s[4:5], 0x50
	s_load_dwordx4 s[28:31], s[4:5], 0x70
	s_mul_i32 s1, s23, s8
	s_mul_hi_u32 s2, s22, s8
	v_mad_u64_u32 v[2:3], null, s20, v0, 0
	s_mul_i32 s0, s22, s8
	s_add_i32 s1, s2, s1
	s_load_dword s34, s[4:5], 0x8c
	s_lshl_b64 s[0:1], s[0:1], 2
	v_lshlrev_b32_e32 v16, 2, v0
	s_add_u32 s9, s16, s0
	s_addc_u32 s10, s17, s1
	s_lshl_b64 s[2:3], s[18:19], 2
	v_mad_u64_u32 v[3:4], null, s21, v0, v[3:4]
	s_add_u32 s15, s9, s2
	s_addc_u32 s10, s10, s3
	v_lshl_add_u32 v4, s6, 5, v0
	v_lshlrev_b32_e32 v42, 7, v1
	s_waitcnt lgkmcnt(0)
	s_mul_i32 s5, s39, s8
	s_mul_hi_u32 s9, s38, s8
	s_mul_i32 s4, s38, s8
	s_add_i32 s5, s9, s5
	v_lshlrev_b64 v[2:3], 2, v[2:3]
	s_lshl_b64 s[4:5], s[4:5], 2
	s_mul_i32 s9, s31, s8
	s_add_u32 s19, s24, s4
	s_addc_u32 s22, s25, s5
	s_lshl_b64 s[4:5], s[26:27], 2
	s_mul_hi_u32 s18, s30, s8
	v_ashrrev_i32_e32 v5, 31, v4
	s_add_u32 s19, s19, s4
	s_mul_i32 s8, s30, s8
	s_addc_u32 s22, s22, s5
	s_add_i32 s9, s18, s9
	v_lshlrev_b64 v[10:11], 2, v[4:5]
	s_lshl_b64 s[4:5], s[8:9], 2
	v_add_co_u32 v12, vcc_lo, s15, v2
	s_add_u32 s6, s40, s4
	s_addc_u32 s8, s41, s5
	s_lshl_b64 s[4:5], s[42:43], 2
	v_add_co_ci_u32_e64 v13, null, s10, v3, vcc_lo
	v_mad_u64_u32 v[2:3], null, s36, v1, 0
	s_add_u32 s26, s6, s4
	s_addc_u32 s27, s8, s5
	s_cmpk_eq_i32 s12, 0x84
	v_add_co_u32 v14, vcc_lo, s19, v10
	v_add_co_ci_u32_e64 v15, null, s22, v11, vcc_lo
	s_cselect_b32 s30, -1, 0
	s_ashr_i32 s15, s14, 31
	s_ashr_i32 s4, s13, 31
	s_lshl_b64 s[18:19], s[20:21], 7
	s_lshl_b64 s[22:23], s[36:37], 7
	s_add_u32 s24, s14, -16
	s_addc_u32 s25, s15, -1
	s_lshl_b32 s31, s34, 5
	v_mad_u64_u32 v[8:9], null, s37, v1, v[3:4]
	v_add_nc_u32_e32 v9, 64, v16
	s_add_u32 s2, s16, s2
	s_addc_u32 s3, s17, s3
	s_add_u32 s0, s2, s0
	s_addc_u32 s1, s3, s1
	v_add_nc_u32_e32 v43, v42, v16
	v_or_b32_e32 v44, 0x1000, v16
	v_mad_u64_u32 v[16:17], null, s20, v9, s[0:1]
	v_lshl_add_u32 v20, v1, 2, 64
	v_sub_co_u32 v6, vcc_lo, s13, v4
	v_sub_co_ci_u32_e64 v7, null, s4, v5, vcc_lo
	v_add_nc_u32_e32 v5, 16, v4
	v_mad_u64_u32 v[18:19], null, s36, v20, 0
	v_cmp_gt_i32_e64 s1, s13, v4
	v_mov_b32_e32 v4, v17
	v_mov_b32_e32 v3, v8
	v_cmp_gt_i64_e32 vcc_lo, 1, v[6:7]
	v_cmp_gt_i64_e64 s0, 17, v[6:7]
	v_ashrrev_i32_e32 v6, 31, v5
	v_mad_u64_u32 v[8:9], null, s21, v9, v[4:5]
	v_mov_b32_e32 v7, v19
	v_lshlrev_b64 v[2:3], 2, v[2:3]
	v_sub_co_u32 v46, s3, 0, v0
	v_sub_co_ci_u32_e64 v47, null, 0, 0, s3
	v_mad_u64_u32 v[20:21], null, s37, v20, v[7:8]
	v_add_co_u32 v48, s3, v2, 64
	v_lshlrev_b64 v[21:22], 2, v[5:6]
	v_mov_b32_e32 v41, 0
	v_add_nc_u32_e32 v45, v44, v42
	v_cmp_gt_i32_e64 s2, s13, v5
	v_lshl_add_u32 v19, s7, 5, v1
	v_add_co_ci_u32_e64 v49, null, 0, v3, s3
	v_mov_b32_e32 v17, v8
	v_mov_b32_e32 v50, v20
	v_mov_b32_e32 v51, 1.0
	v_add_nc_u32_e32 v52, 0x400, v44
	v_add_nc_u32_e32 v53, 0x800, v44
	;; [unrolled: 1-line block ×3, first 2 shown]
	s_branch .LBB16_4
.LBB16_3:                               ;   in Loop: Header=BB16_4 Depth=1
	s_or_b32 exec_lo, exec_lo, s4
	v_add_nc_u32_e32 v19, s31, v19
	s_add_i32 s7, s34, s7
	s_cmp_le_i32 s7, s33
	s_cbranch_scc0 .LBB16_51
.LBB16_4:                               ; =>This Loop Header: Depth=1
                                        ;     Child Loop BB16_7 Depth 2
	s_lshl_b32 s16, s7, 5
	v_mov_b32_e32 v57, 0
	v_add_nc_u32_e32 v23, s16, v1
	v_mov_b32_e32 v56, 0
	v_mov_b32_e32 v55, 0
	;; [unrolled: 1-line block ×3, first 2 shown]
	s_cmp_lt_i32 s7, 0
	v_ashrrev_i32_e32 v24, 31, v23
	s_cbranch_scc1 .LBB16_43
; %bb.5:                                ;   in Loop: Header=BB16_4 Depth=1
	v_ashrrev_i32_e32 v20, 31, v19
	v_add_co_u32 v25, s3, v23, 16
	v_add_co_ci_u32_e64 v26, null, 0, v24, s3
	v_add_co_u32 v27, s3, v46, v19
	v_add_co_ci_u32_e64 v28, null, v47, v20, s3
	v_lshlrev_b64 v[29:30], 2, v[19:20]
	v_add_co_u32 v31, s5, v27, 16
	v_add_co_ci_u32_e64 v32, null, 0, v28, s5
	v_add_co_u32 v33, s5, v27, -16
	v_cmp_le_i64_e64 s4, s[14:15], v[25:26]
	v_mov_b32_e32 v36, v13
	v_mov_b32_e32 v38, v17
	;; [unrolled: 1-line block ×3, first 2 shown]
	v_cmp_le_i32_e64 s3, s14, v23
	v_add_co_ci_u32_e64 v34, null, -1, v28, s5
	v_mov_b32_e32 v20, 0
	v_mov_b32_e32 v35, v12
	v_mov_b32_e32 v37, v16
	v_mov_b32_e32 v39, v14
	v_mov_b32_e32 v55, 0
	v_mov_b32_e32 v56, 0
	v_mov_b32_e32 v57, 0
	s_mov_b64 s[12:13], 0
	s_branch .LBB16_7
.LBB16_6:                               ;   in Loop: Header=BB16_7 Depth=2
	s_or_b32 exec_lo, exec_lo, s5
	s_waitcnt lgkmcnt(0)
	s_barrier
	buffer_gl0_inv
	ds_read_b128 v[58:61], v42
	ds_read_b128 v[62:65], v42 offset:16
	ds_read_b128 v[6:9], v42 offset:32
	ds_read_b128 v[2:5], v42 offset:48
	ds_read2_b32 v[70:71], v44 offset1:16
	ds_read_b128 v[66:69], v42 offset:2048
	v_add_co_u32 v39, s5, v39, s22
	v_add_co_ci_u32_e64 v40, null, s23, v40, s5
	v_add_co_u32 v37, s5, v37, s18
	v_add_co_ci_u32_e64 v38, null, s19, v38, s5
	v_add_co_u32 v35, s5, v35, s18
	s_add_u32 s12, s12, 32
	v_add_co_ci_u32_e64 v36, null, s19, v36, s5
	s_addc_u32 s13, s13, 0
	s_sub_i32 s6, s12, 32
	s_cmp_ge_i32 s6, s16
	s_waitcnt lgkmcnt(1)
	v_fmac_f32_e32 v57, v70, v58
	v_fmac_f32_e32 v56, v71, v58
	s_waitcnt lgkmcnt(0)
	v_fmac_f32_e32 v55, v70, v66
	v_fmac_f32_e32 v20, v71, v66
	ds_read2_b32 v[70:71], v44 offset0:32 offset1:48
	s_waitcnt lgkmcnt(0)
	v_fmac_f32_e32 v57, v70, v59
	v_fmac_f32_e32 v56, v71, v59
	ds_read2_b32 v[58:59], v44 offset0:64 offset1:80
	v_fmac_f32_e32 v55, v70, v67
	v_fmac_f32_e32 v20, v71, v67
	ds_read2_b32 v[66:67], v44 offset0:128 offset1:144
	s_waitcnt lgkmcnt(1)
	v_fmac_f32_e32 v57, v58, v60
	v_fmac_f32_e32 v56, v59, v60
	;; [unrolled: 1-line block ×4, first 2 shown]
	ds_read2_b32 v[58:59], v44 offset0:96 offset1:112
	s_waitcnt lgkmcnt(0)
	v_fmac_f32_e32 v57, v58, v61
	v_fmac_f32_e32 v56, v59, v61
	;; [unrolled: 1-line block ×4, first 2 shown]
	ds_read_b128 v[58:61], v42 offset:2064
	v_fmac_f32_e32 v57, v66, v62
	v_fmac_f32_e32 v56, v67, v62
	s_waitcnt lgkmcnt(0)
	v_fmac_f32_e32 v55, v66, v58
	v_fmac_f32_e32 v20, v67, v58
	ds_read2_b32 v[66:67], v44 offset0:160 offset1:176
	s_waitcnt lgkmcnt(0)
	v_fmac_f32_e32 v55, v66, v59
	v_fmac_f32_e32 v20, v67, v59
	ds_read2_b32 v[58:59], v44 offset0:192 offset1:208
	v_fmac_f32_e32 v57, v66, v63
	v_fmac_f32_e32 v56, v67, v63
	ds_read2_b32 v[62:63], v52 offset1:16
	s_waitcnt lgkmcnt(1)
	v_fmac_f32_e32 v57, v58, v64
	v_fmac_f32_e32 v56, v59, v64
	;; [unrolled: 1-line block ×4, first 2 shown]
	ds_read2_b32 v[58:59], v44 offset0:224 offset1:240
	s_waitcnt lgkmcnt(0)
	v_fmac_f32_e32 v57, v58, v65
	v_fmac_f32_e32 v56, v59, v65
	;; [unrolled: 1-line block ×4, first 2 shown]
	ds_read_b128 v[58:61], v42 offset:2080
	v_fmac_f32_e32 v57, v62, v6
	v_fmac_f32_e32 v56, v63, v6
	s_waitcnt lgkmcnt(0)
	v_fmac_f32_e32 v55, v62, v58
	v_fmac_f32_e32 v20, v63, v58
	ds_read2_b32 v[62:63], v52 offset0:32 offset1:48
	s_waitcnt lgkmcnt(0)
	v_fmac_f32_e32 v57, v62, v7
	v_fmac_f32_e32 v56, v63, v7
	ds_read2_b32 v[6:7], v52 offset0:64 offset1:80
	v_fmac_f32_e32 v55, v62, v59
	v_fmac_f32_e32 v20, v63, v59
	ds_read2_b32 v[58:59], v52 offset0:128 offset1:144
	s_waitcnt lgkmcnt(1)
	v_fmac_f32_e32 v57, v6, v8
	v_fmac_f32_e32 v56, v7, v8
	;; [unrolled: 1-line block ×4, first 2 shown]
	ds_read2_b32 v[6:7], v52 offset0:96 offset1:112
	s_waitcnt lgkmcnt(0)
	v_fmac_f32_e32 v57, v6, v9
	v_fmac_f32_e32 v56, v7, v9
	;; [unrolled: 1-line block ×4, first 2 shown]
	ds_read_b128 v[6:9], v42 offset:2096
	v_fmac_f32_e32 v57, v58, v2
	v_fmac_f32_e32 v56, v59, v2
	s_waitcnt lgkmcnt(0)
	v_fmac_f32_e32 v55, v58, v6
	v_fmac_f32_e32 v20, v59, v6
	ds_read2_b32 v[58:59], v52 offset0:160 offset1:176
	s_waitcnt lgkmcnt(0)
	v_fmac_f32_e32 v57, v58, v3
	v_fmac_f32_e32 v56, v59, v3
	ds_read2_b32 v[2:3], v52 offset0:192 offset1:208
	v_fmac_f32_e32 v55, v58, v7
	v_fmac_f32_e32 v20, v59, v7
	s_waitcnt lgkmcnt(0)
	v_fmac_f32_e32 v57, v2, v4
	v_fmac_f32_e32 v56, v3, v4
	;; [unrolled: 1-line block ×4, first 2 shown]
	ds_read2_b32 v[2:3], v52 offset0:224 offset1:240
	s_waitcnt lgkmcnt(0)
	v_fmac_f32_e32 v57, v2, v5
	v_fmac_f32_e32 v56, v3, v5
	;; [unrolled: 1-line block ×4, first 2 shown]
	ds_read_b128 v[2:5], v42 offset:64
	ds_read2_b32 v[58:59], v53 offset1:16
	ds_read_b128 v[6:9], v42 offset:2112
	s_waitcnt lgkmcnt(1)
	v_fmac_f32_e32 v57, v58, v2
	v_fmac_f32_e32 v56, v59, v2
	s_waitcnt lgkmcnt(0)
	v_fmac_f32_e32 v55, v58, v6
	v_fmac_f32_e32 v20, v59, v6
	ds_read2_b32 v[58:59], v53 offset0:32 offset1:48
	s_waitcnt lgkmcnt(0)
	v_fmac_f32_e32 v57, v58, v3
	v_fmac_f32_e32 v56, v59, v3
	ds_read2_b32 v[2:3], v53 offset0:64 offset1:80
	v_fmac_f32_e32 v55, v58, v7
	v_fmac_f32_e32 v20, v59, v7
	s_waitcnt lgkmcnt(0)
	v_fmac_f32_e32 v57, v2, v4
	v_fmac_f32_e32 v56, v3, v4
	;; [unrolled: 1-line block ×4, first 2 shown]
	ds_read2_b32 v[2:3], v53 offset0:96 offset1:112
	s_waitcnt lgkmcnt(0)
	v_fmac_f32_e32 v57, v2, v5
	v_fmac_f32_e32 v56, v3, v5
	;; [unrolled: 1-line block ×4, first 2 shown]
	ds_read_b128 v[2:5], v42 offset:80
	ds_read2_b32 v[58:59], v53 offset0:128 offset1:144
	ds_read_b128 v[6:9], v42 offset:2128
	s_waitcnt lgkmcnt(1)
	v_fmac_f32_e32 v57, v58, v2
	v_fmac_f32_e32 v56, v59, v2
	s_waitcnt lgkmcnt(0)
	v_fmac_f32_e32 v55, v58, v6
	v_fmac_f32_e32 v20, v59, v6
	ds_read2_b32 v[58:59], v53 offset0:160 offset1:176
	s_waitcnt lgkmcnt(0)
	v_fmac_f32_e32 v57, v58, v3
	v_fmac_f32_e32 v56, v59, v3
	ds_read2_b32 v[2:3], v53 offset0:192 offset1:208
	v_fmac_f32_e32 v55, v58, v7
	v_fmac_f32_e32 v20, v59, v7
	s_waitcnt lgkmcnt(0)
	v_fmac_f32_e32 v57, v2, v4
	v_fmac_f32_e32 v56, v3, v4
	;; [unrolled: 1-line block ×4, first 2 shown]
	ds_read2_b32 v[2:3], v53 offset0:224 offset1:240
	s_waitcnt lgkmcnt(0)
	v_fmac_f32_e32 v57, v2, v5
	v_fmac_f32_e32 v56, v3, v5
	;; [unrolled: 1-line block ×4, first 2 shown]
	ds_read_b128 v[2:5], v42 offset:96
	ds_read2_b32 v[58:59], v54 offset1:16
	ds_read_b128 v[6:9], v42 offset:2144
	s_waitcnt lgkmcnt(1)
	v_fmac_f32_e32 v57, v58, v2
	v_fmac_f32_e32 v56, v59, v2
	s_waitcnt lgkmcnt(0)
	v_fmac_f32_e32 v55, v58, v6
	v_fmac_f32_e32 v20, v59, v6
	ds_read2_b32 v[58:59], v54 offset0:32 offset1:48
	s_waitcnt lgkmcnt(0)
	v_fmac_f32_e32 v57, v58, v3
	v_fmac_f32_e32 v56, v59, v3
	ds_read2_b32 v[2:3], v54 offset0:64 offset1:80
	v_fmac_f32_e32 v55, v58, v7
	v_fmac_f32_e32 v20, v59, v7
	s_waitcnt lgkmcnt(0)
	v_fmac_f32_e32 v57, v2, v4
	v_fmac_f32_e32 v56, v3, v4
	;; [unrolled: 1-line block ×4, first 2 shown]
	ds_read2_b32 v[2:3], v54 offset0:96 offset1:112
	s_waitcnt lgkmcnt(0)
	v_fmac_f32_e32 v57, v2, v5
	v_fmac_f32_e32 v56, v3, v5
	;; [unrolled: 1-line block ×4, first 2 shown]
	ds_read_b128 v[2:5], v42 offset:112
	ds_read2_b32 v[58:59], v54 offset0:128 offset1:144
	ds_read_b128 v[6:9], v42 offset:2160
	s_waitcnt lgkmcnt(1)
	v_fmac_f32_e32 v57, v58, v2
	v_fmac_f32_e32 v56, v59, v2
	s_waitcnt lgkmcnt(0)
	v_fmac_f32_e32 v55, v58, v6
	v_fmac_f32_e32 v20, v59, v6
	ds_read2_b32 v[58:59], v54 offset0:160 offset1:176
	s_waitcnt lgkmcnt(0)
	v_fmac_f32_e32 v57, v58, v3
	v_fmac_f32_e32 v56, v59, v3
	ds_read2_b32 v[2:3], v54 offset0:192 offset1:208
	v_fmac_f32_e32 v55, v58, v7
	v_fmac_f32_e32 v20, v59, v7
	s_waitcnt lgkmcnt(0)
	v_fmac_f32_e32 v57, v2, v4
	v_fmac_f32_e32 v56, v3, v4
	;; [unrolled: 1-line block ×4, first 2 shown]
	ds_read2_b32 v[2:3], v54 offset0:224 offset1:240
	s_waitcnt lgkmcnt(0)
	s_barrier
	buffer_gl0_inv
	v_fmac_f32_e32 v57, v2, v5
	v_fmac_f32_e32 v56, v3, v5
	;; [unrolled: 1-line block ×4, first 2 shown]
	s_cbranch_scc1 .LBB16_43
.LBB16_7:                               ;   Parent Loop BB16_4 Depth=1
                                        ; =>  This Inner Loop Header: Depth=2
	v_add_co_u32 v2, s5, v0, s12
	v_add_co_ci_u32_e64 v3, null, 0, s13, s5
	v_cmp_eq_u64_e64 s8, s[12:13], v[27:28]
                                        ; implicit-def: $vgpr6
	v_cmp_gt_i64_e64 s5, v[2:3], v[23:24]
	v_cmp_le_i64_e64 s6, s[14:15], v[2:3]
	s_and_b32 s17, s30, s8
	v_add_co_u32 v4, s8, v35, v29
	s_or_b32 s9, s3, s5
	v_add_co_ci_u32_e64 v5, null, v36, v30, s8
	s_or_b32 s8, s9, s17
	s_nor_b32 s8, s6, s8
	s_and_saveexec_b32 s9, s8
	s_xor_b32 s8, exec_lo, s9
	s_cbranch_execz .LBB16_9
; %bb.8:                                ;   in Loop: Header=BB16_7 Depth=2
	global_load_dword v6, v[4:5], off
.LBB16_9:                               ;   in Loop: Header=BB16_7 Depth=2
	s_andn2_saveexec_b32 s8, s8
	s_cbranch_execz .LBB16_11
; %bb.10:                               ;   in Loop: Header=BB16_7 Depth=2
	s_waitcnt vmcnt(0)
	v_cndmask_b32_e64 v6, 0, 1.0, s17
.LBB16_11:                              ;   in Loop: Header=BB16_7 Depth=2
	s_or_b32 exec_lo, exec_lo, s8
	v_add_co_u32 v7, s8, v2, 16
	v_add_co_ci_u32_e64 v8, null, 0, v3, s8
	v_cmp_eq_u64_e64 s9, s[12:13], v[33:34]
	s_waitcnt vmcnt(0)
	ds_write_b32 v43, v6
	v_cmp_gt_i64_e64 s10, v[7:8], v[23:24]
	v_cmp_le_i64_e64 s8, s[14:15], v[7:8]
	s_and_b32 s20, s30, s9
	s_or_b32 s9, s3, s10
	s_or_b32 s9, s9, s20
	s_nor_b32 s9, s8, s9
	s_and_saveexec_b32 s10, s9
	s_xor_b32 s10, exec_lo, s10
	s_cbranch_execz .LBB16_13
; %bb.12:                               ;   in Loop: Header=BB16_7 Depth=2
	v_add_co_u32 v6, s9, v37, v29
	v_add_co_ci_u32_e64 v7, null, v38, v30, s9
	global_load_dword v6, v[6:7], off
	s_waitcnt vmcnt(0)
	ds_write_b32 v43, v6 offset:64
.LBB16_13:                              ;   in Loop: Header=BB16_7 Depth=2
	s_andn2_saveexec_b32 s9, s10
	s_cbranch_execz .LBB16_19
; %bb.14:                               ;   in Loop: Header=BB16_7 Depth=2
	s_xor_b32 s10, s20, -1
	s_and_saveexec_b32 s20, s10
	s_xor_b32 s10, exec_lo, s20
; %bb.15:                               ;   in Loop: Header=BB16_7 Depth=2
	ds_write_b32 v43, v41 offset:64
; %bb.16:                               ;   in Loop: Header=BB16_7 Depth=2
	s_andn2_saveexec_b32 s10, s10
; %bb.17:                               ;   in Loop: Header=BB16_7 Depth=2
	ds_write_b32 v43, v51 offset:64
; %bb.18:                               ;   in Loop: Header=BB16_7 Depth=2
	s_or_b32 exec_lo, exec_lo, s10
.LBB16_19:                              ;   in Loop: Header=BB16_7 Depth=2
	s_or_b32 exec_lo, exec_lo, s9
	v_cmp_eq_u64_e64 s9, s[12:13], v[31:32]
	v_cmp_gt_i64_e64 s10, v[2:3], v[25:26]
                                        ; implicit-def: $vgpr2
	s_and_b32 s9, s30, s9
	s_or_b32 s10, s4, s10
	s_or_b32 s10, s10, s9
	s_nor_b32 s6, s6, s10
	s_and_saveexec_b32 s10, s6
	s_xor_b32 s6, exec_lo, s10
	s_cbranch_execz .LBB16_21
; %bb.20:                               ;   in Loop: Header=BB16_7 Depth=2
	global_load_dword v2, v[4:5], off offset:64
.LBB16_21:                              ;   in Loop: Header=BB16_7 Depth=2
	s_andn2_saveexec_b32 s6, s6
	s_cbranch_execz .LBB16_23
; %bb.22:                               ;   in Loop: Header=BB16_7 Depth=2
	s_waitcnt vmcnt(0)
	v_cndmask_b32_e64 v2, 0, 1.0, s9
.LBB16_23:                              ;   in Loop: Header=BB16_7 Depth=2
	s_or_b32 exec_lo, exec_lo, s6
	s_or_b32 s5, s4, s5
	s_waitcnt vmcnt(0)
	ds_write_b32 v43, v2 offset:2048
	s_or_b32 s5, s5, s17
	s_nor_b32 s5, s8, s5
	s_and_saveexec_b32 s6, s5
	s_xor_b32 s6, exec_lo, s6
	s_cbranch_execz .LBB16_25
; %bb.24:                               ;   in Loop: Header=BB16_7 Depth=2
	v_add_co_u32 v2, s5, v37, v29
	v_add_co_ci_u32_e64 v3, null, v38, v30, s5
	global_load_dword v2, v[2:3], off offset:64
	s_waitcnt vmcnt(0)
	ds_write_b32 v43, v2 offset:2112
.LBB16_25:                              ;   in Loop: Header=BB16_7 Depth=2
	s_andn2_saveexec_b32 s5, s6
	s_cbranch_execz .LBB16_31
; %bb.26:                               ;   in Loop: Header=BB16_7 Depth=2
	s_xor_b32 s6, s17, -1
	s_and_saveexec_b32 s8, s6
	s_xor_b32 s6, exec_lo, s8
; %bb.27:                               ;   in Loop: Header=BB16_7 Depth=2
	ds_write_b32 v43, v41 offset:2112
; %bb.28:                               ;   in Loop: Header=BB16_7 Depth=2
	s_andn2_saveexec_b32 s6, s6
; %bb.29:                               ;   in Loop: Header=BB16_7 Depth=2
	ds_write_b32 v43, v51 offset:2112
; %bb.30:                               ;   in Loop: Header=BB16_7 Depth=2
	s_or_b32 exec_lo, exec_lo, s6
.LBB16_31:                              ;   in Loop: Header=BB16_7 Depth=2
	s_or_b32 exec_lo, exec_lo, s5
	v_add_co_u32 v2, s5, v1, s12
	v_add_co_ci_u32_e64 v3, null, 0, s13, s5
	v_add_co_u32 v4, s6, v39, v48
	v_add_co_ci_u32_e64 v5, null, v40, v49, s6
	v_cmp_le_i64_e64 s5, s[14:15], v[2:3]
	v_mov_b32_e32 v6, 0
	s_nor_b32 s8, s5, vcc_lo
	s_and_saveexec_b32 s6, s8
	s_cbranch_execz .LBB16_33
; %bb.32:                               ;   in Loop: Header=BB16_7 Depth=2
	global_load_dword v6, v[4:5], off offset:-64
.LBB16_33:                              ;   in Loop: Header=BB16_7 Depth=2
	s_or_b32 exec_lo, exec_lo, s6
	s_nor_b32 s5, s5, s0
	s_waitcnt vmcnt(0)
	ds_write_b32 v45, v6
	s_and_saveexec_b32 s6, s5
	s_xor_b32 s5, exec_lo, s6
	s_cbranch_execz .LBB16_35
; %bb.34:                               ;   in Loop: Header=BB16_7 Depth=2
	global_load_dword v4, v[4:5], off
	s_waitcnt vmcnt(0)
	ds_write_b32 v45, v4 offset:64
.LBB16_35:                              ;   in Loop: Header=BB16_7 Depth=2
	s_andn2_saveexec_b32 s5, s5
; %bb.36:                               ;   in Loop: Header=BB16_7 Depth=2
	ds_write_b32 v45, v41 offset:64
; %bb.37:                               ;   in Loop: Header=BB16_7 Depth=2
	s_or_b32 exec_lo, exec_lo, s5
	v_cmp_le_i64_e64 s5, s[24:25], v[2:3]
	v_add_co_u32 v2, s6, v39, v18
	v_add_co_ci_u32_e64 v3, null, v40, v50, s6
	v_mov_b32_e32 v4, 0
	s_nor_b32 s8, s5, vcc_lo
	s_and_saveexec_b32 s6, s8
	s_cbranch_execz .LBB16_39
; %bb.38:                               ;   in Loop: Header=BB16_7 Depth=2
	global_load_dword v4, v[2:3], off
.LBB16_39:                              ;   in Loop: Header=BB16_7 Depth=2
	s_or_b32 exec_lo, exec_lo, s6
	s_nor_b32 s5, s5, s0
	s_waitcnt vmcnt(0)
	ds_write_b32 v45, v4 offset:2048
	s_and_saveexec_b32 s6, s5
	s_xor_b32 s5, exec_lo, s6
	s_cbranch_execz .LBB16_41
; %bb.40:                               ;   in Loop: Header=BB16_7 Depth=2
	global_load_dword v2, v[2:3], off offset:64
	s_waitcnt vmcnt(0)
	ds_write_b32 v45, v2 offset:2112
.LBB16_41:                              ;   in Loop: Header=BB16_7 Depth=2
	s_andn2_saveexec_b32 s5, s5
	s_cbranch_execz .LBB16_6
; %bb.42:                               ;   in Loop: Header=BB16_7 Depth=2
	ds_write_b32 v45, v41 offset:2112
	s_branch .LBB16_6
.LBB16_43:                              ;   in Loop: Header=BB16_4 Depth=1
	v_mul_lo_u32 v4, s29, v23
	v_mul_lo_u32 v5, s28, v24
	v_mad_u64_u32 v[2:3], null, s28, v23, 0
	v_cmp_gt_i32_e64 s3, s14, v23
	v_add3_u32 v3, v3, v5, v4
	v_lshlrev_b64 v[2:3], 2, v[2:3]
	v_add_co_u32 v2, s4, s26, v2
	v_add_co_ci_u32_e64 v3, null, s27, v3, s4
	s_and_b32 s4, s1, s3
	s_and_saveexec_b32 s5, s4
	s_cbranch_execz .LBB16_45
; %bb.44:                               ;   in Loop: Header=BB16_4 Depth=1
	v_add_co_u32 v4, s4, v2, v10
	v_add_co_ci_u32_e64 v5, null, v3, v11, s4
	global_load_dword v6, v[4:5], off
	s_waitcnt vmcnt(0)
	v_fmac_f32_e32 v6, s11, v57
	global_store_dword v[4:5], v6, off
.LBB16_45:                              ;   in Loop: Header=BB16_4 Depth=1
	s_or_b32 exec_lo, exec_lo, s5
	s_and_b32 s3, s2, s3
	s_and_saveexec_b32 s4, s3
	s_cbranch_execz .LBB16_47
; %bb.46:                               ;   in Loop: Header=BB16_4 Depth=1
	v_add_co_u32 v2, s3, v2, v21
	v_add_co_ci_u32_e64 v3, null, v3, v22, s3
	global_load_dword v4, v[2:3], off
	s_waitcnt vmcnt(0)
	v_fmac_f32_e32 v4, s11, v56
	global_store_dword v[2:3], v4, off
.LBB16_47:                              ;   in Loop: Header=BB16_4 Depth=1
	s_or_b32 exec_lo, exec_lo, s4
	v_add_nc_u32_e32 v4, 16, v23
	v_ashrrev_i32_e32 v5, 31, v4
	v_mul_lo_u32 v6, s29, v4
	v_mad_u64_u32 v[2:3], null, s28, v4, 0
	v_cmp_gt_i32_e64 s3, s14, v4
	v_mul_lo_u32 v5, s28, v5
	v_add3_u32 v3, v3, v5, v6
	v_lshlrev_b64 v[2:3], 2, v[2:3]
	v_add_co_u32 v2, s4, s26, v2
	v_add_co_ci_u32_e64 v3, null, s27, v3, s4
	s_and_b32 s4, s1, s3
	s_and_saveexec_b32 s5, s4
	s_cbranch_execz .LBB16_49
; %bb.48:                               ;   in Loop: Header=BB16_4 Depth=1
	v_add_co_u32 v4, s4, v2, v10
	v_add_co_ci_u32_e64 v5, null, v3, v11, s4
	global_load_dword v6, v[4:5], off
	s_waitcnt vmcnt(0)
	v_fmac_f32_e32 v6, s11, v55
	global_store_dword v[4:5], v6, off
.LBB16_49:                              ;   in Loop: Header=BB16_4 Depth=1
	s_or_b32 exec_lo, exec_lo, s5
	s_and_b32 s3, s2, s3
	s_and_saveexec_b32 s4, s3
	s_cbranch_execz .LBB16_3
; %bb.50:                               ;   in Loop: Header=BB16_4 Depth=1
	v_add_co_u32 v2, s3, v2, v21
	v_add_co_ci_u32_e64 v3, null, v3, v22, s3
	global_load_dword v4, v[2:3], off
	s_waitcnt vmcnt(0)
	v_fmac_f32_e32 v4, s11, v20
	global_store_dword v[2:3], v4, off
	s_branch .LBB16_3
.LBB16_51:
	s_endpgm
	.section	.rodata,"a",@progbits
	.p2align	6, 0x0
	.amdhsa_kernel _ZL30rocblas_trmm_outofplace_kernelIfLi32ELi2ELb0ELb0ELb1ELb0EPKfS0_fEv17rocblas_diagonal_iiT6_lPT7_lllS5_lllPT8_llli
		.amdhsa_group_segment_fixed_size 8192
		.amdhsa_private_segment_fixed_size 0
		.amdhsa_kernarg_size 392
		.amdhsa_user_sgpr_count 6
		.amdhsa_user_sgpr_private_segment_buffer 1
		.amdhsa_user_sgpr_dispatch_ptr 0
		.amdhsa_user_sgpr_queue_ptr 0
		.amdhsa_user_sgpr_kernarg_segment_ptr 1
		.amdhsa_user_sgpr_dispatch_id 0
		.amdhsa_user_sgpr_flat_scratch_init 0
		.amdhsa_user_sgpr_private_segment_size 0
		.amdhsa_wavefront_size32 1
		.amdhsa_uses_dynamic_stack 0
		.amdhsa_system_sgpr_private_segment_wavefront_offset 0
		.amdhsa_system_sgpr_workgroup_id_x 1
		.amdhsa_system_sgpr_workgroup_id_y 1
		.amdhsa_system_sgpr_workgroup_id_z 1
		.amdhsa_system_sgpr_workgroup_info 0
		.amdhsa_system_vgpr_workitem_id 1
		.amdhsa_next_free_vgpr 72
		.amdhsa_next_free_sgpr 44
		.amdhsa_reserve_vcc 1
		.amdhsa_reserve_flat_scratch 0
		.amdhsa_float_round_mode_32 0
		.amdhsa_float_round_mode_16_64 0
		.amdhsa_float_denorm_mode_32 3
		.amdhsa_float_denorm_mode_16_64 3
		.amdhsa_dx10_clamp 1
		.amdhsa_ieee_mode 1
		.amdhsa_fp16_overflow 0
		.amdhsa_workgroup_processor_mode 1
		.amdhsa_memory_ordered 1
		.amdhsa_forward_progress 1
		.amdhsa_shared_vgpr_count 0
		.amdhsa_exception_fp_ieee_invalid_op 0
		.amdhsa_exception_fp_denorm_src 0
		.amdhsa_exception_fp_ieee_div_zero 0
		.amdhsa_exception_fp_ieee_overflow 0
		.amdhsa_exception_fp_ieee_underflow 0
		.amdhsa_exception_fp_ieee_inexact 0
		.amdhsa_exception_int_div_zero 0
	.end_amdhsa_kernel
	.section	.text._ZL30rocblas_trmm_outofplace_kernelIfLi32ELi2ELb0ELb0ELb1ELb0EPKfS0_fEv17rocblas_diagonal_iiT6_lPT7_lllS5_lllPT8_llli,"axG",@progbits,_ZL30rocblas_trmm_outofplace_kernelIfLi32ELi2ELb0ELb0ELb1ELb0EPKfS0_fEv17rocblas_diagonal_iiT6_lPT7_lllS5_lllPT8_llli,comdat
.Lfunc_end16:
	.size	_ZL30rocblas_trmm_outofplace_kernelIfLi32ELi2ELb0ELb0ELb1ELb0EPKfS0_fEv17rocblas_diagonal_iiT6_lPT7_lllS5_lllPT8_llli, .Lfunc_end16-_ZL30rocblas_trmm_outofplace_kernelIfLi32ELi2ELb0ELb0ELb1ELb0EPKfS0_fEv17rocblas_diagonal_iiT6_lPT7_lllS5_lllPT8_llli
                                        ; -- End function
	.set _ZL30rocblas_trmm_outofplace_kernelIfLi32ELi2ELb0ELb0ELb1ELb0EPKfS0_fEv17rocblas_diagonal_iiT6_lPT7_lllS5_lllPT8_llli.num_vgpr, 72
	.set _ZL30rocblas_trmm_outofplace_kernelIfLi32ELi2ELb0ELb0ELb1ELb0EPKfS0_fEv17rocblas_diagonal_iiT6_lPT7_lllS5_lllPT8_llli.num_agpr, 0
	.set _ZL30rocblas_trmm_outofplace_kernelIfLi32ELi2ELb0ELb0ELb1ELb0EPKfS0_fEv17rocblas_diagonal_iiT6_lPT7_lllS5_lllPT8_llli.numbered_sgpr, 44
	.set _ZL30rocblas_trmm_outofplace_kernelIfLi32ELi2ELb0ELb0ELb1ELb0EPKfS0_fEv17rocblas_diagonal_iiT6_lPT7_lllS5_lllPT8_llli.num_named_barrier, 0
	.set _ZL30rocblas_trmm_outofplace_kernelIfLi32ELi2ELb0ELb0ELb1ELb0EPKfS0_fEv17rocblas_diagonal_iiT6_lPT7_lllS5_lllPT8_llli.private_seg_size, 0
	.set _ZL30rocblas_trmm_outofplace_kernelIfLi32ELi2ELb0ELb0ELb1ELb0EPKfS0_fEv17rocblas_diagonal_iiT6_lPT7_lllS5_lllPT8_llli.uses_vcc, 1
	.set _ZL30rocblas_trmm_outofplace_kernelIfLi32ELi2ELb0ELb0ELb1ELb0EPKfS0_fEv17rocblas_diagonal_iiT6_lPT7_lllS5_lllPT8_llli.uses_flat_scratch, 0
	.set _ZL30rocblas_trmm_outofplace_kernelIfLi32ELi2ELb0ELb0ELb1ELb0EPKfS0_fEv17rocblas_diagonal_iiT6_lPT7_lllS5_lllPT8_llli.has_dyn_sized_stack, 0
	.set _ZL30rocblas_trmm_outofplace_kernelIfLi32ELi2ELb0ELb0ELb1ELb0EPKfS0_fEv17rocblas_diagonal_iiT6_lPT7_lllS5_lllPT8_llli.has_recursion, 0
	.set _ZL30rocblas_trmm_outofplace_kernelIfLi32ELi2ELb0ELb0ELb1ELb0EPKfS0_fEv17rocblas_diagonal_iiT6_lPT7_lllS5_lllPT8_llli.has_indirect_call, 0
	.section	.AMDGPU.csdata,"",@progbits
; Kernel info:
; codeLenInByte = 3068
; TotalNumSgprs: 46
; NumVgprs: 72
; ScratchSize: 0
; MemoryBound: 0
; FloatMode: 240
; IeeeMode: 1
; LDSByteSize: 8192 bytes/workgroup (compile time only)
; SGPRBlocks: 0
; VGPRBlocks: 8
; NumSGPRsForWavesPerEU: 46
; NumVGPRsForWavesPerEU: 72
; Occupancy: 12
; WaveLimiterHint : 0
; COMPUTE_PGM_RSRC2:SCRATCH_EN: 0
; COMPUTE_PGM_RSRC2:USER_SGPR: 6
; COMPUTE_PGM_RSRC2:TRAP_HANDLER: 0
; COMPUTE_PGM_RSRC2:TGID_X_EN: 1
; COMPUTE_PGM_RSRC2:TGID_Y_EN: 1
; COMPUTE_PGM_RSRC2:TGID_Z_EN: 1
; COMPUTE_PGM_RSRC2:TIDIG_COMP_CNT: 1
	.section	.text._ZL30rocblas_trmm_outofplace_kernelIfLi32ELi2ELb0ELb0ELb1ELb0EfKffEv17rocblas_diagonal_iiT6_lPT7_lllS4_lllPT8_llli,"axG",@progbits,_ZL30rocblas_trmm_outofplace_kernelIfLi32ELi2ELb0ELb0ELb1ELb0EfKffEv17rocblas_diagonal_iiT6_lPT7_lllS4_lllPT8_llli,comdat
	.globl	_ZL30rocblas_trmm_outofplace_kernelIfLi32ELi2ELb0ELb0ELb1ELb0EfKffEv17rocblas_diagonal_iiT6_lPT7_lllS4_lllPT8_llli ; -- Begin function _ZL30rocblas_trmm_outofplace_kernelIfLi32ELi2ELb0ELb0ELb1ELb0EfKffEv17rocblas_diagonal_iiT6_lPT7_lllS4_lllPT8_llli
	.p2align	8
	.type	_ZL30rocblas_trmm_outofplace_kernelIfLi32ELi2ELb0ELb0ELb1ELb0EfKffEv17rocblas_diagonal_iiT6_lPT7_lllS4_lllPT8_llli,@function
_ZL30rocblas_trmm_outofplace_kernelIfLi32ELi2ELb0ELb0ELb1ELb0EfKffEv17rocblas_diagonal_iiT6_lPT7_lllS4_lllPT8_llli: ; @_ZL30rocblas_trmm_outofplace_kernelIfLi32ELi2ELb0ELb0ELb1ELb0EfKffEv17rocblas_diagonal_iiT6_lPT7_lllS4_lllPT8_llli
; %bb.0:
	s_load_dwordx4 s[28:31], s[4:5], 0x0
	s_waitcnt lgkmcnt(0)
	v_cmp_eq_f32_e64 s0, s31, 0
	s_and_b32 vcc_lo, exec_lo, s0
	s_cbranch_vccnz .LBB17_51
; %bb.1:
	s_add_i32 s0, s30, -1
	s_ashr_i32 s1, s0, 31
	s_lshr_b32 s1, s1, 27
	s_add_i32 s0, s0, s1
	s_ashr_i32 s11, s0, 5
	s_cmp_gt_i32 s7, s11
	s_cbranch_scc1 .LBB17_51
; %bb.2:
	s_clause 0x1
	s_load_dwordx16 s[12:27], s[4:5], 0x18
	s_load_dwordx8 s[36:43], s[4:5], 0x58
	v_lshl_add_u32 v2, s6, 5, v0
	v_lshlrev_b32_e32 v9, 2, v0
	v_lshl_add_u32 v22, v1, 2, 64
	v_lshlrev_b32_e32 v42, 7, v1
	v_mov_b32_e32 v41, 0
	v_add_nc_u32_e32 v8, 16, v2
	v_or_b32_e32 v44, 0x1000, v9
	v_mov_b32_e32 v51, 1.0
	v_add_nc_u32_e32 v43, v42, v9
	v_add_nc_u32_e32 v45, v44, v42
	;; [unrolled: 1-line block ×5, first 2 shown]
	s_waitcnt lgkmcnt(0)
	v_mad_u64_u32 v[4:5], null, s16, v0, 0
	s_mul_i32 s1, s19, s8
	s_mul_hi_u32 s2, s18, s8
	s_mul_i32 s0, s18, s8
	s_add_i32 s1, s2, s1
	s_mul_i32 s3, s27, s8
	s_lshl_b64 s[0:1], s[0:1], 2
	v_mov_b32_e32 v3, v5
	s_add_u32 s10, s12, s0
	s_addc_u32 s18, s13, s1
	s_lshl_b64 s[44:45], s[14:15], 2
	s_mul_hi_u32 s6, s26, s8
	v_mad_u64_u32 v[5:6], null, s17, v0, v[3:4]
	s_add_u32 s10, s10, s44
	s_mul_i32 s2, s26, s8
	s_addc_u32 s14, s18, s45
	s_add_i32 s3, s6, s3
	s_mul_i32 s9, s43, s8
	s_lshl_b64 s[2:3], s[2:3], 2
	v_lshlrev_b64 v[4:5], 2, v[4:5]
	s_add_u32 s15, s20, s2
	s_addc_u32 s18, s21, s3
	s_lshl_b64 s[2:3], s[22:23], 2
	s_mul_hi_u32 s6, s42, s8
	s_load_dword s26, s[4:5], 0x84
	v_ashrrev_i32_e32 v3, 31, v2
	s_add_u32 s15, s15, s2
	s_mul_i32 s8, s42, s8
	s_addc_u32 s18, s18, s3
	s_add_i32 s9, s6, s9
	v_lshlrev_b64 v[10:11], 2, v[2:3]
	s_lshl_b64 s[2:3], s[8:9], 2
	v_add_co_u32 v12, vcc_lo, s10, v4
	s_add_u32 s4, s36, s2
	s_addc_u32 s5, s37, s3
	s_lshl_b64 s[2:3], s[38:39], 2
	v_add_co_ci_u32_e64 v13, null, s14, v5, vcc_lo
	v_mad_u64_u32 v[4:5], null, s24, v1, 0
	s_add_u32 s27, s4, s2
	s_addc_u32 s33, s5, s3
	s_cmpk_eq_i32 s28, 0x84
	v_add_co_u32 v14, vcc_lo, s15, v10
	v_add_co_ci_u32_e64 v15, null, s18, v11, vcc_lo
	s_cselect_b32 s28, -1, 0
	s_ashr_i32 s2, s29, 31
	v_sub_co_u32 v6, vcc_lo, s29, v2
	v_sub_co_ci_u32_e64 v7, null, s2, v3, vcc_lo
	v_mov_b32_e32 v3, v5
	s_ashr_i32 s15, s30, 31
	s_lshl_b64 s[18:19], s[16:17], 7
	s_lshl_b64 s[20:21], s[24:25], 7
	s_add_u32 s22, s30, -16
	s_addc_u32 s23, s15, -1
	s_waitcnt lgkmcnt(0)
	s_lshl_b32 s34, s26, 5
	v_mad_u64_u32 v[20:21], null, s25, v1, v[3:4]
	v_add_nc_u32_e32 v21, 64, v9
	s_add_u32 s2, s12, s44
	s_addc_u32 s3, s13, s45
	s_add_u32 s0, s2, s0
	s_addc_u32 s1, s3, s1
	v_mad_u64_u32 v[18:19], null, s24, v22, 0
	v_mad_u64_u32 v[16:17], null, s16, v21, s[0:1]
	v_mov_b32_e32 v5, v20
	v_cmp_gt_i32_e64 s1, s29, v2
	v_cmp_gt_i64_e32 vcc_lo, 1, v[6:7]
	v_cmp_gt_i64_e64 s0, 17, v[6:7]
	v_mov_b32_e32 v3, v19
	v_lshlrev_b64 v[4:5], 2, v[4:5]
	v_mov_b32_e32 v2, v17
	v_ashrrev_i32_e32 v9, 31, v8
	v_sub_co_u32 v46, s3, 0, v0
	v_sub_co_ci_u32_e64 v47, null, 0, 0, s3
	v_mad_u64_u32 v[6:7], null, s17, v21, v[2:3]
	v_mad_u64_u32 v[2:3], null, s25, v22, v[3:4]
	v_add_co_u32 v48, s3, v4, 64
	v_lshlrev_b64 v[21:22], 2, v[8:9]
	v_cmp_gt_i32_e64 s2, s29, v8
	v_lshl_add_u32 v19, s7, 5, v1
	v_add_co_ci_u32_e64 v49, null, 0, v5, s3
	v_mov_b32_e32 v17, v6
	v_mov_b32_e32 v50, v2
	s_mov_b32 s14, s30
	s_branch .LBB17_4
.LBB17_3:                               ;   in Loop: Header=BB17_4 Depth=1
	s_or_b32 exec_lo, exec_lo, s4
	v_add_nc_u32_e32 v19, s34, v19
	s_add_i32 s7, s26, s7
	s_cmp_le_i32 s7, s11
	s_cbranch_scc0 .LBB17_51
.LBB17_4:                               ; =>This Loop Header: Depth=1
                                        ;     Child Loop BB17_7 Depth 2
	s_lshl_b32 s16, s7, 5
	v_mov_b32_e32 v57, 0
	v_add_nc_u32_e32 v23, s16, v1
	v_mov_b32_e32 v56, 0
	v_mov_b32_e32 v55, 0
	;; [unrolled: 1-line block ×3, first 2 shown]
	s_cmp_lt_i32 s7, 0
	v_ashrrev_i32_e32 v24, 31, v23
	s_cbranch_scc1 .LBB17_43
; %bb.5:                                ;   in Loop: Header=BB17_4 Depth=1
	v_ashrrev_i32_e32 v20, 31, v19
	v_add_co_u32 v25, s3, v23, 16
	v_add_co_ci_u32_e64 v26, null, 0, v24, s3
	v_add_co_u32 v27, s3, v46, v19
	v_add_co_ci_u32_e64 v28, null, v47, v20, s3
	v_lshlrev_b64 v[29:30], 2, v[19:20]
	v_add_co_u32 v31, s5, v27, 16
	v_add_co_ci_u32_e64 v32, null, 0, v28, s5
	v_add_co_u32 v33, s5, v27, -16
	v_cmp_le_i64_e64 s4, s[14:15], v[25:26]
	v_mov_b32_e32 v36, v13
	v_mov_b32_e32 v38, v17
	v_mov_b32_e32 v40, v15
	v_cmp_le_i32_e64 s3, s30, v23
	v_add_co_ci_u32_e64 v34, null, -1, v28, s5
	v_mov_b32_e32 v20, 0
	v_mov_b32_e32 v35, v12
	;; [unrolled: 1-line block ×7, first 2 shown]
	s_mov_b64 s[12:13], 0
	s_branch .LBB17_7
.LBB17_6:                               ;   in Loop: Header=BB17_7 Depth=2
	s_or_b32 exec_lo, exec_lo, s5
	s_waitcnt lgkmcnt(0)
	s_barrier
	buffer_gl0_inv
	ds_read_b128 v[58:61], v42
	ds_read_b128 v[62:65], v42 offset:16
	ds_read_b128 v[6:9], v42 offset:32
	;; [unrolled: 1-line block ×3, first 2 shown]
	ds_read2_b32 v[70:71], v44 offset1:16
	ds_read_b128 v[66:69], v42 offset:2048
	v_add_co_u32 v39, s5, v39, s20
	v_add_co_ci_u32_e64 v40, null, s21, v40, s5
	v_add_co_u32 v37, s5, v37, s18
	v_add_co_ci_u32_e64 v38, null, s19, v38, s5
	v_add_co_u32 v35, s5, v35, s18
	s_add_u32 s12, s12, 32
	v_add_co_ci_u32_e64 v36, null, s19, v36, s5
	s_addc_u32 s13, s13, 0
	s_sub_i32 s6, s12, 32
	s_cmp_ge_i32 s6, s16
	s_waitcnt lgkmcnt(1)
	v_fmac_f32_e32 v57, v70, v58
	v_fmac_f32_e32 v56, v71, v58
	s_waitcnt lgkmcnt(0)
	v_fmac_f32_e32 v55, v70, v66
	v_fmac_f32_e32 v20, v71, v66
	ds_read2_b32 v[70:71], v44 offset0:32 offset1:48
	s_waitcnt lgkmcnt(0)
	v_fmac_f32_e32 v57, v70, v59
	v_fmac_f32_e32 v56, v71, v59
	ds_read2_b32 v[58:59], v44 offset0:64 offset1:80
	v_fmac_f32_e32 v55, v70, v67
	v_fmac_f32_e32 v20, v71, v67
	ds_read2_b32 v[66:67], v44 offset0:128 offset1:144
	s_waitcnt lgkmcnt(1)
	v_fmac_f32_e32 v57, v58, v60
	v_fmac_f32_e32 v56, v59, v60
	;; [unrolled: 1-line block ×4, first 2 shown]
	ds_read2_b32 v[58:59], v44 offset0:96 offset1:112
	s_waitcnt lgkmcnt(0)
	v_fmac_f32_e32 v57, v58, v61
	v_fmac_f32_e32 v56, v59, v61
	;; [unrolled: 1-line block ×4, first 2 shown]
	ds_read_b128 v[58:61], v42 offset:2064
	v_fmac_f32_e32 v57, v66, v62
	v_fmac_f32_e32 v56, v67, v62
	s_waitcnt lgkmcnt(0)
	v_fmac_f32_e32 v55, v66, v58
	v_fmac_f32_e32 v20, v67, v58
	ds_read2_b32 v[66:67], v44 offset0:160 offset1:176
	s_waitcnt lgkmcnt(0)
	v_fmac_f32_e32 v55, v66, v59
	v_fmac_f32_e32 v20, v67, v59
	ds_read2_b32 v[58:59], v44 offset0:192 offset1:208
	v_fmac_f32_e32 v57, v66, v63
	v_fmac_f32_e32 v56, v67, v63
	ds_read2_b32 v[62:63], v52 offset1:16
	s_waitcnt lgkmcnt(1)
	v_fmac_f32_e32 v57, v58, v64
	v_fmac_f32_e32 v56, v59, v64
	;; [unrolled: 1-line block ×4, first 2 shown]
	ds_read2_b32 v[58:59], v44 offset0:224 offset1:240
	s_waitcnt lgkmcnt(0)
	v_fmac_f32_e32 v57, v58, v65
	v_fmac_f32_e32 v56, v59, v65
	;; [unrolled: 1-line block ×4, first 2 shown]
	ds_read_b128 v[58:61], v42 offset:2080
	v_fmac_f32_e32 v57, v62, v6
	v_fmac_f32_e32 v56, v63, v6
	s_waitcnt lgkmcnt(0)
	v_fmac_f32_e32 v55, v62, v58
	v_fmac_f32_e32 v20, v63, v58
	ds_read2_b32 v[62:63], v52 offset0:32 offset1:48
	s_waitcnt lgkmcnt(0)
	v_fmac_f32_e32 v57, v62, v7
	v_fmac_f32_e32 v56, v63, v7
	ds_read2_b32 v[6:7], v52 offset0:64 offset1:80
	v_fmac_f32_e32 v55, v62, v59
	v_fmac_f32_e32 v20, v63, v59
	ds_read2_b32 v[58:59], v52 offset0:128 offset1:144
	s_waitcnt lgkmcnt(1)
	v_fmac_f32_e32 v57, v6, v8
	v_fmac_f32_e32 v56, v7, v8
	;; [unrolled: 1-line block ×4, first 2 shown]
	ds_read2_b32 v[6:7], v52 offset0:96 offset1:112
	s_waitcnt lgkmcnt(0)
	v_fmac_f32_e32 v57, v6, v9
	v_fmac_f32_e32 v56, v7, v9
	v_fmac_f32_e32 v55, v6, v61
	v_fmac_f32_e32 v20, v7, v61
	ds_read_b128 v[6:9], v42 offset:2096
	v_fmac_f32_e32 v57, v58, v2
	v_fmac_f32_e32 v56, v59, v2
	s_waitcnt lgkmcnt(0)
	v_fmac_f32_e32 v55, v58, v6
	v_fmac_f32_e32 v20, v59, v6
	ds_read2_b32 v[58:59], v52 offset0:160 offset1:176
	s_waitcnt lgkmcnt(0)
	v_fmac_f32_e32 v57, v58, v3
	v_fmac_f32_e32 v56, v59, v3
	ds_read2_b32 v[2:3], v52 offset0:192 offset1:208
	v_fmac_f32_e32 v55, v58, v7
	v_fmac_f32_e32 v20, v59, v7
	s_waitcnt lgkmcnt(0)
	v_fmac_f32_e32 v57, v2, v4
	v_fmac_f32_e32 v56, v3, v4
	;; [unrolled: 1-line block ×4, first 2 shown]
	ds_read2_b32 v[2:3], v52 offset0:224 offset1:240
	s_waitcnt lgkmcnt(0)
	v_fmac_f32_e32 v57, v2, v5
	v_fmac_f32_e32 v56, v3, v5
	;; [unrolled: 1-line block ×4, first 2 shown]
	ds_read_b128 v[2:5], v42 offset:64
	ds_read2_b32 v[58:59], v53 offset1:16
	ds_read_b128 v[6:9], v42 offset:2112
	s_waitcnt lgkmcnt(1)
	v_fmac_f32_e32 v57, v58, v2
	v_fmac_f32_e32 v56, v59, v2
	s_waitcnt lgkmcnt(0)
	v_fmac_f32_e32 v55, v58, v6
	v_fmac_f32_e32 v20, v59, v6
	ds_read2_b32 v[58:59], v53 offset0:32 offset1:48
	s_waitcnt lgkmcnt(0)
	v_fmac_f32_e32 v57, v58, v3
	v_fmac_f32_e32 v56, v59, v3
	ds_read2_b32 v[2:3], v53 offset0:64 offset1:80
	v_fmac_f32_e32 v55, v58, v7
	v_fmac_f32_e32 v20, v59, v7
	s_waitcnt lgkmcnt(0)
	v_fmac_f32_e32 v57, v2, v4
	v_fmac_f32_e32 v56, v3, v4
	;; [unrolled: 1-line block ×4, first 2 shown]
	ds_read2_b32 v[2:3], v53 offset0:96 offset1:112
	s_waitcnt lgkmcnt(0)
	v_fmac_f32_e32 v57, v2, v5
	v_fmac_f32_e32 v56, v3, v5
	;; [unrolled: 1-line block ×4, first 2 shown]
	ds_read_b128 v[2:5], v42 offset:80
	ds_read2_b32 v[58:59], v53 offset0:128 offset1:144
	ds_read_b128 v[6:9], v42 offset:2128
	s_waitcnt lgkmcnt(1)
	v_fmac_f32_e32 v57, v58, v2
	v_fmac_f32_e32 v56, v59, v2
	s_waitcnt lgkmcnt(0)
	v_fmac_f32_e32 v55, v58, v6
	v_fmac_f32_e32 v20, v59, v6
	ds_read2_b32 v[58:59], v53 offset0:160 offset1:176
	s_waitcnt lgkmcnt(0)
	v_fmac_f32_e32 v57, v58, v3
	v_fmac_f32_e32 v56, v59, v3
	ds_read2_b32 v[2:3], v53 offset0:192 offset1:208
	v_fmac_f32_e32 v55, v58, v7
	v_fmac_f32_e32 v20, v59, v7
	s_waitcnt lgkmcnt(0)
	v_fmac_f32_e32 v57, v2, v4
	v_fmac_f32_e32 v56, v3, v4
	;; [unrolled: 1-line block ×4, first 2 shown]
	ds_read2_b32 v[2:3], v53 offset0:224 offset1:240
	s_waitcnt lgkmcnt(0)
	v_fmac_f32_e32 v57, v2, v5
	v_fmac_f32_e32 v56, v3, v5
	;; [unrolled: 1-line block ×4, first 2 shown]
	ds_read_b128 v[2:5], v42 offset:96
	ds_read2_b32 v[58:59], v54 offset1:16
	ds_read_b128 v[6:9], v42 offset:2144
	s_waitcnt lgkmcnt(1)
	v_fmac_f32_e32 v57, v58, v2
	v_fmac_f32_e32 v56, v59, v2
	s_waitcnt lgkmcnt(0)
	v_fmac_f32_e32 v55, v58, v6
	v_fmac_f32_e32 v20, v59, v6
	ds_read2_b32 v[58:59], v54 offset0:32 offset1:48
	s_waitcnt lgkmcnt(0)
	v_fmac_f32_e32 v57, v58, v3
	v_fmac_f32_e32 v56, v59, v3
	ds_read2_b32 v[2:3], v54 offset0:64 offset1:80
	v_fmac_f32_e32 v55, v58, v7
	v_fmac_f32_e32 v20, v59, v7
	s_waitcnt lgkmcnt(0)
	v_fmac_f32_e32 v57, v2, v4
	v_fmac_f32_e32 v56, v3, v4
	;; [unrolled: 1-line block ×4, first 2 shown]
	ds_read2_b32 v[2:3], v54 offset0:96 offset1:112
	s_waitcnt lgkmcnt(0)
	v_fmac_f32_e32 v57, v2, v5
	v_fmac_f32_e32 v56, v3, v5
	;; [unrolled: 1-line block ×4, first 2 shown]
	ds_read_b128 v[2:5], v42 offset:112
	ds_read2_b32 v[58:59], v54 offset0:128 offset1:144
	ds_read_b128 v[6:9], v42 offset:2160
	s_waitcnt lgkmcnt(1)
	v_fmac_f32_e32 v57, v58, v2
	v_fmac_f32_e32 v56, v59, v2
	s_waitcnt lgkmcnt(0)
	v_fmac_f32_e32 v55, v58, v6
	v_fmac_f32_e32 v20, v59, v6
	ds_read2_b32 v[58:59], v54 offset0:160 offset1:176
	s_waitcnt lgkmcnt(0)
	v_fmac_f32_e32 v57, v58, v3
	v_fmac_f32_e32 v56, v59, v3
	ds_read2_b32 v[2:3], v54 offset0:192 offset1:208
	v_fmac_f32_e32 v55, v58, v7
	v_fmac_f32_e32 v20, v59, v7
	s_waitcnt lgkmcnt(0)
	v_fmac_f32_e32 v57, v2, v4
	v_fmac_f32_e32 v56, v3, v4
	;; [unrolled: 1-line block ×4, first 2 shown]
	ds_read2_b32 v[2:3], v54 offset0:224 offset1:240
	s_waitcnt lgkmcnt(0)
	s_barrier
	buffer_gl0_inv
	v_fmac_f32_e32 v57, v2, v5
	v_fmac_f32_e32 v56, v3, v5
	;; [unrolled: 1-line block ×4, first 2 shown]
	s_cbranch_scc1 .LBB17_43
.LBB17_7:                               ;   Parent Loop BB17_4 Depth=1
                                        ; =>  This Inner Loop Header: Depth=2
	v_add_co_u32 v2, s5, v0, s12
	v_add_co_ci_u32_e64 v3, null, 0, s13, s5
	v_cmp_eq_u64_e64 s8, s[12:13], v[27:28]
                                        ; implicit-def: $vgpr6
	v_cmp_gt_i64_e64 s5, v[2:3], v[23:24]
	v_cmp_le_i64_e64 s6, s[14:15], v[2:3]
	s_and_b32 s17, s28, s8
	v_add_co_u32 v4, s8, v35, v29
	s_or_b32 s9, s3, s5
	v_add_co_ci_u32_e64 v5, null, v36, v30, s8
	s_or_b32 s8, s9, s17
	s_nor_b32 s8, s6, s8
	s_and_saveexec_b32 s9, s8
	s_xor_b32 s8, exec_lo, s9
	s_cbranch_execz .LBB17_9
; %bb.8:                                ;   in Loop: Header=BB17_7 Depth=2
	global_load_dword v6, v[4:5], off
.LBB17_9:                               ;   in Loop: Header=BB17_7 Depth=2
	s_andn2_saveexec_b32 s8, s8
	s_cbranch_execz .LBB17_11
; %bb.10:                               ;   in Loop: Header=BB17_7 Depth=2
	s_waitcnt vmcnt(0)
	v_cndmask_b32_e64 v6, 0, 1.0, s17
.LBB17_11:                              ;   in Loop: Header=BB17_7 Depth=2
	s_or_b32 exec_lo, exec_lo, s8
	v_add_co_u32 v7, s8, v2, 16
	v_add_co_ci_u32_e64 v8, null, 0, v3, s8
	v_cmp_eq_u64_e64 s9, s[12:13], v[33:34]
	s_waitcnt vmcnt(0)
	ds_write_b32 v43, v6
	v_cmp_gt_i64_e64 s10, v[7:8], v[23:24]
	v_cmp_le_i64_e64 s8, s[14:15], v[7:8]
	s_and_b32 s24, s28, s9
	s_or_b32 s9, s3, s10
	s_or_b32 s9, s9, s24
	s_nor_b32 s9, s8, s9
	s_and_saveexec_b32 s10, s9
	s_xor_b32 s10, exec_lo, s10
	s_cbranch_execz .LBB17_13
; %bb.12:                               ;   in Loop: Header=BB17_7 Depth=2
	v_add_co_u32 v6, s9, v37, v29
	v_add_co_ci_u32_e64 v7, null, v38, v30, s9
	global_load_dword v6, v[6:7], off
	s_waitcnt vmcnt(0)
	ds_write_b32 v43, v6 offset:64
.LBB17_13:                              ;   in Loop: Header=BB17_7 Depth=2
	s_andn2_saveexec_b32 s9, s10
	s_cbranch_execz .LBB17_19
; %bb.14:                               ;   in Loop: Header=BB17_7 Depth=2
	s_xor_b32 s10, s24, -1
	s_and_saveexec_b32 s24, s10
	s_xor_b32 s10, exec_lo, s24
; %bb.15:                               ;   in Loop: Header=BB17_7 Depth=2
	ds_write_b32 v43, v41 offset:64
; %bb.16:                               ;   in Loop: Header=BB17_7 Depth=2
	s_andn2_saveexec_b32 s10, s10
; %bb.17:                               ;   in Loop: Header=BB17_7 Depth=2
	ds_write_b32 v43, v51 offset:64
; %bb.18:                               ;   in Loop: Header=BB17_7 Depth=2
	s_or_b32 exec_lo, exec_lo, s10
.LBB17_19:                              ;   in Loop: Header=BB17_7 Depth=2
	s_or_b32 exec_lo, exec_lo, s9
	v_cmp_eq_u64_e64 s9, s[12:13], v[31:32]
	v_cmp_gt_i64_e64 s10, v[2:3], v[25:26]
                                        ; implicit-def: $vgpr2
	s_and_b32 s9, s28, s9
	s_or_b32 s10, s4, s10
	s_or_b32 s10, s10, s9
	s_nor_b32 s6, s6, s10
	s_and_saveexec_b32 s10, s6
	s_xor_b32 s6, exec_lo, s10
	s_cbranch_execz .LBB17_21
; %bb.20:                               ;   in Loop: Header=BB17_7 Depth=2
	global_load_dword v2, v[4:5], off offset:64
.LBB17_21:                              ;   in Loop: Header=BB17_7 Depth=2
	s_andn2_saveexec_b32 s6, s6
	s_cbranch_execz .LBB17_23
; %bb.22:                               ;   in Loop: Header=BB17_7 Depth=2
	s_waitcnt vmcnt(0)
	v_cndmask_b32_e64 v2, 0, 1.0, s9
.LBB17_23:                              ;   in Loop: Header=BB17_7 Depth=2
	s_or_b32 exec_lo, exec_lo, s6
	s_or_b32 s5, s4, s5
	s_waitcnt vmcnt(0)
	ds_write_b32 v43, v2 offset:2048
	s_or_b32 s5, s5, s17
	s_nor_b32 s5, s8, s5
	s_and_saveexec_b32 s6, s5
	s_xor_b32 s6, exec_lo, s6
	s_cbranch_execz .LBB17_25
; %bb.24:                               ;   in Loop: Header=BB17_7 Depth=2
	v_add_co_u32 v2, s5, v37, v29
	v_add_co_ci_u32_e64 v3, null, v38, v30, s5
	global_load_dword v2, v[2:3], off offset:64
	s_waitcnt vmcnt(0)
	ds_write_b32 v43, v2 offset:2112
.LBB17_25:                              ;   in Loop: Header=BB17_7 Depth=2
	s_andn2_saveexec_b32 s5, s6
	s_cbranch_execz .LBB17_31
; %bb.26:                               ;   in Loop: Header=BB17_7 Depth=2
	s_xor_b32 s6, s17, -1
	s_and_saveexec_b32 s8, s6
	s_xor_b32 s6, exec_lo, s8
; %bb.27:                               ;   in Loop: Header=BB17_7 Depth=2
	ds_write_b32 v43, v41 offset:2112
; %bb.28:                               ;   in Loop: Header=BB17_7 Depth=2
	s_andn2_saveexec_b32 s6, s6
; %bb.29:                               ;   in Loop: Header=BB17_7 Depth=2
	ds_write_b32 v43, v51 offset:2112
; %bb.30:                               ;   in Loop: Header=BB17_7 Depth=2
	s_or_b32 exec_lo, exec_lo, s6
.LBB17_31:                              ;   in Loop: Header=BB17_7 Depth=2
	s_or_b32 exec_lo, exec_lo, s5
	v_add_co_u32 v2, s5, v1, s12
	v_add_co_ci_u32_e64 v3, null, 0, s13, s5
	v_add_co_u32 v4, s6, v39, v48
	v_add_co_ci_u32_e64 v5, null, v40, v49, s6
	v_cmp_le_i64_e64 s5, s[14:15], v[2:3]
	v_mov_b32_e32 v6, 0
	s_nor_b32 s8, s5, vcc_lo
	s_and_saveexec_b32 s6, s8
	s_cbranch_execz .LBB17_33
; %bb.32:                               ;   in Loop: Header=BB17_7 Depth=2
	global_load_dword v6, v[4:5], off offset:-64
.LBB17_33:                              ;   in Loop: Header=BB17_7 Depth=2
	s_or_b32 exec_lo, exec_lo, s6
	s_nor_b32 s5, s5, s0
	s_waitcnt vmcnt(0)
	ds_write_b32 v45, v6
	s_and_saveexec_b32 s6, s5
	s_xor_b32 s5, exec_lo, s6
	s_cbranch_execz .LBB17_35
; %bb.34:                               ;   in Loop: Header=BB17_7 Depth=2
	global_load_dword v4, v[4:5], off
	s_waitcnt vmcnt(0)
	ds_write_b32 v45, v4 offset:64
.LBB17_35:                              ;   in Loop: Header=BB17_7 Depth=2
	s_andn2_saveexec_b32 s5, s5
; %bb.36:                               ;   in Loop: Header=BB17_7 Depth=2
	ds_write_b32 v45, v41 offset:64
; %bb.37:                               ;   in Loop: Header=BB17_7 Depth=2
	s_or_b32 exec_lo, exec_lo, s5
	v_cmp_le_i64_e64 s5, s[22:23], v[2:3]
	v_add_co_u32 v2, s6, v39, v18
	v_add_co_ci_u32_e64 v3, null, v40, v50, s6
	v_mov_b32_e32 v4, 0
	s_nor_b32 s8, s5, vcc_lo
	s_and_saveexec_b32 s6, s8
	s_cbranch_execz .LBB17_39
; %bb.38:                               ;   in Loop: Header=BB17_7 Depth=2
	global_load_dword v4, v[2:3], off
.LBB17_39:                              ;   in Loop: Header=BB17_7 Depth=2
	s_or_b32 exec_lo, exec_lo, s6
	s_nor_b32 s5, s5, s0
	s_waitcnt vmcnt(0)
	ds_write_b32 v45, v4 offset:2048
	s_and_saveexec_b32 s6, s5
	s_xor_b32 s5, exec_lo, s6
	s_cbranch_execz .LBB17_41
; %bb.40:                               ;   in Loop: Header=BB17_7 Depth=2
	global_load_dword v2, v[2:3], off offset:64
	s_waitcnt vmcnt(0)
	ds_write_b32 v45, v2 offset:2112
.LBB17_41:                              ;   in Loop: Header=BB17_7 Depth=2
	s_andn2_saveexec_b32 s5, s5
	s_cbranch_execz .LBB17_6
; %bb.42:                               ;   in Loop: Header=BB17_7 Depth=2
	ds_write_b32 v45, v41 offset:2112
	s_branch .LBB17_6
.LBB17_43:                              ;   in Loop: Header=BB17_4 Depth=1
	v_mul_lo_u32 v4, s41, v23
	v_mul_lo_u32 v5, s40, v24
	v_mad_u64_u32 v[2:3], null, s40, v23, 0
	v_cmp_gt_i32_e64 s3, s30, v23
	v_add3_u32 v3, v3, v5, v4
	v_lshlrev_b64 v[2:3], 2, v[2:3]
	v_add_co_u32 v2, s4, s27, v2
	v_add_co_ci_u32_e64 v3, null, s33, v3, s4
	s_and_b32 s4, s1, s3
	s_and_saveexec_b32 s5, s4
	s_cbranch_execz .LBB17_45
; %bb.44:                               ;   in Loop: Header=BB17_4 Depth=1
	v_add_co_u32 v4, s4, v2, v10
	v_add_co_ci_u32_e64 v5, null, v3, v11, s4
	global_load_dword v6, v[4:5], off
	s_waitcnt vmcnt(0)
	v_fmac_f32_e32 v6, s31, v57
	global_store_dword v[4:5], v6, off
.LBB17_45:                              ;   in Loop: Header=BB17_4 Depth=1
	s_or_b32 exec_lo, exec_lo, s5
	s_and_b32 s3, s2, s3
	s_and_saveexec_b32 s4, s3
	s_cbranch_execz .LBB17_47
; %bb.46:                               ;   in Loop: Header=BB17_4 Depth=1
	v_add_co_u32 v2, s3, v2, v21
	v_add_co_ci_u32_e64 v3, null, v3, v22, s3
	global_load_dword v4, v[2:3], off
	s_waitcnt vmcnt(0)
	v_fmac_f32_e32 v4, s31, v56
	global_store_dword v[2:3], v4, off
.LBB17_47:                              ;   in Loop: Header=BB17_4 Depth=1
	s_or_b32 exec_lo, exec_lo, s4
	v_add_nc_u32_e32 v4, 16, v23
	v_ashrrev_i32_e32 v5, 31, v4
	v_mul_lo_u32 v6, s41, v4
	v_mad_u64_u32 v[2:3], null, s40, v4, 0
	v_cmp_gt_i32_e64 s3, s30, v4
	v_mul_lo_u32 v5, s40, v5
	v_add3_u32 v3, v3, v5, v6
	v_lshlrev_b64 v[2:3], 2, v[2:3]
	v_add_co_u32 v2, s4, s27, v2
	v_add_co_ci_u32_e64 v3, null, s33, v3, s4
	s_and_b32 s4, s1, s3
	s_and_saveexec_b32 s5, s4
	s_cbranch_execz .LBB17_49
; %bb.48:                               ;   in Loop: Header=BB17_4 Depth=1
	v_add_co_u32 v4, s4, v2, v10
	v_add_co_ci_u32_e64 v5, null, v3, v11, s4
	global_load_dword v6, v[4:5], off
	s_waitcnt vmcnt(0)
	v_fmac_f32_e32 v6, s31, v55
	global_store_dword v[4:5], v6, off
.LBB17_49:                              ;   in Loop: Header=BB17_4 Depth=1
	s_or_b32 exec_lo, exec_lo, s5
	s_and_b32 s3, s2, s3
	s_and_saveexec_b32 s4, s3
	s_cbranch_execz .LBB17_3
; %bb.50:                               ;   in Loop: Header=BB17_4 Depth=1
	v_add_co_u32 v2, s3, v2, v21
	v_add_co_ci_u32_e64 v3, null, v3, v22, s3
	global_load_dword v4, v[2:3], off
	s_waitcnt vmcnt(0)
	v_fmac_f32_e32 v4, s31, v20
	global_store_dword v[2:3], v4, off
	s_branch .LBB17_3
.LBB17_51:
	s_endpgm
	.section	.rodata,"a",@progbits
	.p2align	6, 0x0
	.amdhsa_kernel _ZL30rocblas_trmm_outofplace_kernelIfLi32ELi2ELb0ELb0ELb1ELb0EfKffEv17rocblas_diagonal_iiT6_lPT7_lllS4_lllPT8_llli
		.amdhsa_group_segment_fixed_size 8192
		.amdhsa_private_segment_fixed_size 0
		.amdhsa_kernarg_size 384
		.amdhsa_user_sgpr_count 6
		.amdhsa_user_sgpr_private_segment_buffer 1
		.amdhsa_user_sgpr_dispatch_ptr 0
		.amdhsa_user_sgpr_queue_ptr 0
		.amdhsa_user_sgpr_kernarg_segment_ptr 1
		.amdhsa_user_sgpr_dispatch_id 0
		.amdhsa_user_sgpr_flat_scratch_init 0
		.amdhsa_user_sgpr_private_segment_size 0
		.amdhsa_wavefront_size32 1
		.amdhsa_uses_dynamic_stack 0
		.amdhsa_system_sgpr_private_segment_wavefront_offset 0
		.amdhsa_system_sgpr_workgroup_id_x 1
		.amdhsa_system_sgpr_workgroup_id_y 1
		.amdhsa_system_sgpr_workgroup_id_z 1
		.amdhsa_system_sgpr_workgroup_info 0
		.amdhsa_system_vgpr_workitem_id 1
		.amdhsa_next_free_vgpr 72
		.amdhsa_next_free_sgpr 46
		.amdhsa_reserve_vcc 1
		.amdhsa_reserve_flat_scratch 0
		.amdhsa_float_round_mode_32 0
		.amdhsa_float_round_mode_16_64 0
		.amdhsa_float_denorm_mode_32 3
		.amdhsa_float_denorm_mode_16_64 3
		.amdhsa_dx10_clamp 1
		.amdhsa_ieee_mode 1
		.amdhsa_fp16_overflow 0
		.amdhsa_workgroup_processor_mode 1
		.amdhsa_memory_ordered 1
		.amdhsa_forward_progress 1
		.amdhsa_shared_vgpr_count 0
		.amdhsa_exception_fp_ieee_invalid_op 0
		.amdhsa_exception_fp_denorm_src 0
		.amdhsa_exception_fp_ieee_div_zero 0
		.amdhsa_exception_fp_ieee_overflow 0
		.amdhsa_exception_fp_ieee_underflow 0
		.amdhsa_exception_fp_ieee_inexact 0
		.amdhsa_exception_int_div_zero 0
	.end_amdhsa_kernel
	.section	.text._ZL30rocblas_trmm_outofplace_kernelIfLi32ELi2ELb0ELb0ELb1ELb0EfKffEv17rocblas_diagonal_iiT6_lPT7_lllS4_lllPT8_llli,"axG",@progbits,_ZL30rocblas_trmm_outofplace_kernelIfLi32ELi2ELb0ELb0ELb1ELb0EfKffEv17rocblas_diagonal_iiT6_lPT7_lllS4_lllPT8_llli,comdat
.Lfunc_end17:
	.size	_ZL30rocblas_trmm_outofplace_kernelIfLi32ELi2ELb0ELb0ELb1ELb0EfKffEv17rocblas_diagonal_iiT6_lPT7_lllS4_lllPT8_llli, .Lfunc_end17-_ZL30rocblas_trmm_outofplace_kernelIfLi32ELi2ELb0ELb0ELb1ELb0EfKffEv17rocblas_diagonal_iiT6_lPT7_lllS4_lllPT8_llli
                                        ; -- End function
	.set _ZL30rocblas_trmm_outofplace_kernelIfLi32ELi2ELb0ELb0ELb1ELb0EfKffEv17rocblas_diagonal_iiT6_lPT7_lllS4_lllPT8_llli.num_vgpr, 72
	.set _ZL30rocblas_trmm_outofplace_kernelIfLi32ELi2ELb0ELb0ELb1ELb0EfKffEv17rocblas_diagonal_iiT6_lPT7_lllS4_lllPT8_llli.num_agpr, 0
	.set _ZL30rocblas_trmm_outofplace_kernelIfLi32ELi2ELb0ELb0ELb1ELb0EfKffEv17rocblas_diagonal_iiT6_lPT7_lllS4_lllPT8_llli.numbered_sgpr, 46
	.set _ZL30rocblas_trmm_outofplace_kernelIfLi32ELi2ELb0ELb0ELb1ELb0EfKffEv17rocblas_diagonal_iiT6_lPT7_lllS4_lllPT8_llli.num_named_barrier, 0
	.set _ZL30rocblas_trmm_outofplace_kernelIfLi32ELi2ELb0ELb0ELb1ELb0EfKffEv17rocblas_diagonal_iiT6_lPT7_lllS4_lllPT8_llli.private_seg_size, 0
	.set _ZL30rocblas_trmm_outofplace_kernelIfLi32ELi2ELb0ELb0ELb1ELb0EfKffEv17rocblas_diagonal_iiT6_lPT7_lllS4_lllPT8_llli.uses_vcc, 1
	.set _ZL30rocblas_trmm_outofplace_kernelIfLi32ELi2ELb0ELb0ELb1ELb0EfKffEv17rocblas_diagonal_iiT6_lPT7_lllS4_lllPT8_llli.uses_flat_scratch, 0
	.set _ZL30rocblas_trmm_outofplace_kernelIfLi32ELi2ELb0ELb0ELb1ELb0EfKffEv17rocblas_diagonal_iiT6_lPT7_lllS4_lllPT8_llli.has_dyn_sized_stack, 0
	.set _ZL30rocblas_trmm_outofplace_kernelIfLi32ELi2ELb0ELb0ELb1ELb0EfKffEv17rocblas_diagonal_iiT6_lPT7_lllS4_lllPT8_llli.has_recursion, 0
	.set _ZL30rocblas_trmm_outofplace_kernelIfLi32ELi2ELb0ELb0ELb1ELb0EfKffEv17rocblas_diagonal_iiT6_lPT7_lllS4_lllPT8_llli.has_indirect_call, 0
	.section	.AMDGPU.csdata,"",@progbits
; Kernel info:
; codeLenInByte = 3032
; TotalNumSgprs: 48
; NumVgprs: 72
; ScratchSize: 0
; MemoryBound: 0
; FloatMode: 240
; IeeeMode: 1
; LDSByteSize: 8192 bytes/workgroup (compile time only)
; SGPRBlocks: 0
; VGPRBlocks: 8
; NumSGPRsForWavesPerEU: 48
; NumVGPRsForWavesPerEU: 72
; Occupancy: 12
; WaveLimiterHint : 0
; COMPUTE_PGM_RSRC2:SCRATCH_EN: 0
; COMPUTE_PGM_RSRC2:USER_SGPR: 6
; COMPUTE_PGM_RSRC2:TRAP_HANDLER: 0
; COMPUTE_PGM_RSRC2:TGID_X_EN: 1
; COMPUTE_PGM_RSRC2:TGID_Y_EN: 1
; COMPUTE_PGM_RSRC2:TGID_Z_EN: 1
; COMPUTE_PGM_RSRC2:TIDIG_COMP_CNT: 1
	.section	.text._ZL30rocblas_trmm_outofplace_kernelIfLi32ELi2ELb0ELb1ELb1ELb0EPKfS0_fEv17rocblas_diagonal_iiT6_lPT7_lllS5_lllPT8_llli,"axG",@progbits,_ZL30rocblas_trmm_outofplace_kernelIfLi32ELi2ELb0ELb1ELb1ELb0EPKfS0_fEv17rocblas_diagonal_iiT6_lPT7_lllS5_lllPT8_llli,comdat
	.globl	_ZL30rocblas_trmm_outofplace_kernelIfLi32ELi2ELb0ELb1ELb1ELb0EPKfS0_fEv17rocblas_diagonal_iiT6_lPT7_lllS5_lllPT8_llli ; -- Begin function _ZL30rocblas_trmm_outofplace_kernelIfLi32ELi2ELb0ELb1ELb1ELb0EPKfS0_fEv17rocblas_diagonal_iiT6_lPT7_lllS5_lllPT8_llli
	.p2align	8
	.type	_ZL30rocblas_trmm_outofplace_kernelIfLi32ELi2ELb0ELb1ELb1ELb0EPKfS0_fEv17rocblas_diagonal_iiT6_lPT7_lllS5_lllPT8_llli,@function
_ZL30rocblas_trmm_outofplace_kernelIfLi32ELi2ELb0ELb1ELb1ELb0EPKfS0_fEv17rocblas_diagonal_iiT6_lPT7_lllS5_lllPT8_llli: ; @_ZL30rocblas_trmm_outofplace_kernelIfLi32ELi2ELb0ELb1ELb1ELb0EPKfS0_fEv17rocblas_diagonal_iiT6_lPT7_lllS5_lllPT8_llli
; %bb.0:
	s_load_dwordx16 s[12:27], s[4:5], 0x10
	s_waitcnt lgkmcnt(0)
	s_mul_i32 s0, s15, s8
	s_mul_hi_u32 s1, s14, s8
	s_add_i32 s1, s1, s0
	s_mul_i32 s0, s14, s8
	s_lshl_b64 s[0:1], s[0:1], 2
	s_add_u32 s0, s12, s0
	s_addc_u32 s1, s13, s1
	s_load_dword s11, s[0:1], 0x0
	s_waitcnt lgkmcnt(0)
	v_cmp_eq_f32_e64 s0, s11, 0
	s_and_b32 vcc_lo, exec_lo, s0
	s_cbranch_vccnz .LBB18_51
; %bb.1:
	s_load_dwordx4 s[12:15], s[4:5], 0x0
	s_waitcnt lgkmcnt(0)
	s_add_i32 s0, s14, -1
	s_ashr_i32 s1, s0, 31
	s_lshr_b32 s1, s1, 27
	s_add_i32 s0, s0, s1
	s_ashr_i32 s33, s0, 5
	s_cmp_gt_i32 s7, s33
	s_cbranch_scc1 .LBB18_51
; %bb.2:
	s_clause 0x2
	s_load_dwordx4 s[28:31], s[4:5], 0x70
	s_load_dwordx8 s[36:43], s[4:5], 0x50
	s_load_dword s44, s[4:5], 0x8c
	v_lshl_add_u32 v2, s6, 5, v0
	v_lshlrev_b32_e32 v42, 7, v1
	v_lshlrev_b32_e32 v4, 2, v0
	v_mov_b32_e32 v46, 1.0
	v_add_nc_u32_e32 v10, 16, v2
	v_ashrrev_i32_e32 v3, 31, v2
	v_add_nc_u32_e32 v43, v42, v4
	v_or_b32_e32 v44, 0x1000, v4
	v_cmp_gt_i32_e32 vcc_lo, s13, v2
	v_ashrrev_i32_e32 v11, 31, v10
	v_lshlrev_b64 v[14:15], 2, v[2:3]
	v_add_nc_u32_e32 v45, v44, v42
	v_add_nc_u32_e32 v47, 0x400, v44
	;; [unrolled: 1-line block ×4, first 2 shown]
	s_waitcnt lgkmcnt(0)
	s_mul_i32 s1, s31, s8
	s_mul_hi_u32 s2, s30, s8
	s_mul_i32 s0, s30, s8
	s_add_i32 s1, s2, s1
	s_mul_hi_u32 s5, s38, s8
	s_lshl_b64 s[0:1], s[0:1], 2
	s_add_u32 s4, s40, s0
	s_addc_u32 s1, s41, s1
	s_lshl_b64 s[2:3], s[42:43], 2
	v_cmp_gt_i32_e64 s0, s13, v10
	s_add_u32 s42, s4, s2
	s_addc_u32 s43, s1, s3
	s_cmpk_eq_i32 s12, 0x84
	v_sub_co_u32 v4, s1, s13, v2
	s_cselect_b32 s45, -1, 0
	s_ashr_i32 s15, s14, 31
	s_ashr_i32 s2, s13, 31
	s_lshl_b64 s[30:31], s[20:21], 7
	s_lshl_b64 s[34:35], s[36:37], 7
	s_add_u32 s12, s14, -16
	s_addc_u32 s13, s15, -1
	s_lshl_b32 s3, s7, 5
	s_lshl_b32 s46, s44, 5
	s_mul_i32 s4, s39, s8
	s_add_u32 s40, s24, 64
	s_addc_u32 s41, s25, 0
	s_add_i32 s5, s5, s4
	s_mul_i32 s4, s38, s8
	s_lshl_b64 s[38:39], s[26:27], 2
	s_lshl_b64 s[4:5], s[4:5], 2
	s_lshl_b64 s[26:27], s[36:37], 2
	s_add_u32 s6, s4, s38
	v_sub_co_ci_u32_e64 v5, null, s2, v3, s1
	s_addc_u32 s10, s5, s39
	s_mul_i32 s4, s23, s8
	s_mul_hi_u32 s5, s22, s8
	v_add_nc_u32_e32 v12, s3, v0
	s_add_i32 s5, s5, s4
	s_mul_i32 s4, s22, s8
	v_add_nc_u32_e32 v16, s3, v1
	s_lshl_b64 s[4:5], s[4:5], 2
	s_lshl_b64 s[8:9], s[18:19], 2
	v_add_co_u32 v18, s3, s6, v14
	v_cmp_gt_i64_e64 s1, 1, v[4:5]
	v_cmp_gt_i64_e64 s2, 17, v[4:5]
	v_add_co_ci_u32_e64 v19, null, s10, v15, s3
	s_add_u32 s3, s4, s8
	v_mov_b32_e32 v0, 0
	s_addc_u32 s4, s5, s9
	s_add_u32 s16, s16, s3
	s_addc_u32 s17, s17, s4
	s_lshl_b64 s[18:19], s[20:21], 2
	s_branch .LBB18_4
.LBB18_3:                               ;   in Loop: Header=BB18_4 Depth=1
	s_or_b32 exec_lo, exec_lo, s4
	v_add_nc_u32_e32 v12, s46, v12
	v_add_nc_u32_e32 v16, s46, v16
	s_add_i32 s7, s44, s7
	s_cmp_le_i32 s7, s33
	s_cbranch_scc0 .LBB18_51
.LBB18_4:                               ; =>This Loop Header: Depth=1
                                        ;     Child Loop BB18_7 Depth 2
	s_lshl_b32 s3, s7, 5
	v_ashrrev_i32_e32 v13, 31, v12
	v_add_nc_u32_e32 v20, s3, v1
	v_ashrrev_i32_e32 v17, 31, v16
	v_mov_b32_e32 v53, 0
	v_mov_b32_e32 v52, 0
	;; [unrolled: 1-line block ×3, first 2 shown]
	v_ashrrev_i32_e32 v21, 31, v20
	v_mov_b32_e32 v50, 0
	s_sub_i32 s38, s14, s3
	s_cmp_lt_i32 s38, 1
	s_cbranch_scc1 .LBB18_43
; %bb.5:                                ;   in Loop: Header=BB18_4 Depth=1
	v_lshlrev_b64 v[2:3], 2, v[12:13]
	v_sub_co_u32 v22, s3, v16, v12
	v_lshlrev_b64 v[26:27], 2, v[16:17]
	v_sub_co_ci_u32_e64 v23, null, v17, v13, s3
	v_add_co_u32 v2, s3, v2, 64
	v_add_co_ci_u32_e64 v3, null, 0, v3, s3
	v_mad_u64_u32 v[24:25], null, s26, v16, s[40:41]
	v_mul_lo_u32 v6, s21, v2
	v_mad_u64_u32 v[28:29], null, s20, v2, s[16:17]
	v_add_co_u32 v2, s3, v26, 64
	v_add_co_ci_u32_e64 v7, null, 0, v27, s3
	v_mul_lo_u32 v4, s26, v17
	v_mul_lo_u32 v36, s37, v2
	v_mad_u64_u32 v[32:33], null, s36, v2, s[24:25]
	v_mul_lo_u32 v7, s36, v7
	v_mul_lo_u32 v5, s27, v16
	;; [unrolled: 1-line block ×3, first 2 shown]
	v_mad_u64_u32 v[30:31], null, s18, v12, s[16:17]
	v_mul_lo_u32 v8, s18, v13
	v_mul_lo_u32 v9, s19, v12
	v_add_co_u32 v34, s3, v20, 16
	v_add_co_ci_u32_e64 v35, null, 0, v21, s3
	v_add3_u32 v33, v36, v33, v7
	v_add_co_u32 v36, s5, v22, 16
	v_add_co_ci_u32_e64 v37, null, 0, v23, s5
	v_add_co_u32 v38, s5, v22, -16
	v_cmp_le_i64_e64 s4, s[14:15], v[34:35]
	v_mov_b32_e32 v41, v19
	v_add3_u32 v25, v5, v25, v4
	v_add3_u32 v29, v6, v29, v3
	;; [unrolled: 1-line block ×3, first 2 shown]
	v_cmp_le_i32_e64 s3, s14, v20
	v_add_co_ci_u32_e64 v39, null, -1, v23, s5
	v_mov_b32_e32 v50, 0
	v_mov_b32_e32 v40, v18
	v_mov_b32_e32 v51, 0
	v_mov_b32_e32 v52, 0
	v_mov_b32_e32 v53, 0
	s_mov_b64 s[22:23], 0
	s_branch .LBB18_7
.LBB18_6:                               ;   in Loop: Header=BB18_7 Depth=2
	s_or_b32 exec_lo, exec_lo, s5
	s_waitcnt lgkmcnt(0)
	s_barrier
	buffer_gl0_inv
	ds_read_b128 v[54:57], v42
	ds_read_b128 v[58:61], v42 offset:16
	ds_read_b128 v[6:9], v42 offset:32
	;; [unrolled: 1-line block ×3, first 2 shown]
	ds_read2_b32 v[66:67], v44 offset1:16
	ds_read_b128 v[62:65], v42 offset:2048
	v_add_co_u32 v40, s5, v40, s34
	v_add_co_ci_u32_e64 v41, null, s35, v41, s5
	v_add_co_u32 v28, s5, v28, s30
	v_add_co_ci_u32_e64 v29, null, s31, v29, s5
	;; [unrolled: 2-line block ×3, first 2 shown]
	s_add_u32 s22, s22, 32
	s_addc_u32 s23, s23, 0
	s_cmp_ge_i32 s22, s38
	s_waitcnt lgkmcnt(1)
	v_fmac_f32_e32 v53, v66, v54
	v_fmac_f32_e32 v52, v67, v54
	s_waitcnt lgkmcnt(0)
	v_fmac_f32_e32 v51, v66, v62
	v_fmac_f32_e32 v50, v67, v62
	ds_read2_b32 v[66:67], v44 offset0:32 offset1:48
	s_waitcnt lgkmcnt(0)
	v_fmac_f32_e32 v53, v66, v55
	v_fmac_f32_e32 v52, v67, v55
	ds_read2_b32 v[54:55], v44 offset0:64 offset1:80
	v_fmac_f32_e32 v51, v66, v63
	v_fmac_f32_e32 v50, v67, v63
	ds_read2_b32 v[62:63], v44 offset0:128 offset1:144
	s_waitcnt lgkmcnt(1)
	v_fmac_f32_e32 v53, v54, v56
	v_fmac_f32_e32 v52, v55, v56
	;; [unrolled: 1-line block ×4, first 2 shown]
	ds_read2_b32 v[54:55], v44 offset0:96 offset1:112
	s_waitcnt lgkmcnt(0)
	v_fmac_f32_e32 v53, v54, v57
	v_fmac_f32_e32 v52, v55, v57
	;; [unrolled: 1-line block ×4, first 2 shown]
	ds_read_b128 v[54:57], v42 offset:2064
	v_fmac_f32_e32 v53, v62, v58
	v_fmac_f32_e32 v52, v63, v58
	s_waitcnt lgkmcnt(0)
	v_fmac_f32_e32 v51, v62, v54
	v_fmac_f32_e32 v50, v63, v54
	ds_read2_b32 v[62:63], v44 offset0:160 offset1:176
	s_waitcnt lgkmcnt(0)
	v_fmac_f32_e32 v51, v62, v55
	v_fmac_f32_e32 v50, v63, v55
	ds_read2_b32 v[54:55], v44 offset0:192 offset1:208
	v_fmac_f32_e32 v53, v62, v59
	v_fmac_f32_e32 v52, v63, v59
	ds_read2_b32 v[58:59], v47 offset1:16
	s_waitcnt lgkmcnt(1)
	v_fmac_f32_e32 v53, v54, v60
	v_fmac_f32_e32 v52, v55, v60
	;; [unrolled: 1-line block ×4, first 2 shown]
	ds_read2_b32 v[54:55], v44 offset0:224 offset1:240
	s_waitcnt lgkmcnt(0)
	v_fmac_f32_e32 v53, v54, v61
	v_fmac_f32_e32 v52, v55, v61
	;; [unrolled: 1-line block ×4, first 2 shown]
	ds_read_b128 v[54:57], v42 offset:2080
	v_fmac_f32_e32 v53, v58, v6
	v_fmac_f32_e32 v52, v59, v6
	s_waitcnt lgkmcnt(0)
	v_fmac_f32_e32 v51, v58, v54
	v_fmac_f32_e32 v50, v59, v54
	ds_read2_b32 v[58:59], v47 offset0:32 offset1:48
	s_waitcnt lgkmcnt(0)
	v_fmac_f32_e32 v53, v58, v7
	v_fmac_f32_e32 v52, v59, v7
	ds_read2_b32 v[6:7], v47 offset0:64 offset1:80
	v_fmac_f32_e32 v51, v58, v55
	v_fmac_f32_e32 v50, v59, v55
	ds_read2_b32 v[54:55], v47 offset0:128 offset1:144
	s_waitcnt lgkmcnt(1)
	v_fmac_f32_e32 v53, v6, v8
	v_fmac_f32_e32 v52, v7, v8
	;; [unrolled: 1-line block ×4, first 2 shown]
	ds_read2_b32 v[6:7], v47 offset0:96 offset1:112
	s_waitcnt lgkmcnt(0)
	v_fmac_f32_e32 v53, v6, v9
	v_fmac_f32_e32 v52, v7, v9
	;; [unrolled: 1-line block ×4, first 2 shown]
	ds_read_b128 v[6:9], v42 offset:2096
	v_fmac_f32_e32 v53, v54, v2
	v_fmac_f32_e32 v52, v55, v2
	s_waitcnt lgkmcnt(0)
	v_fmac_f32_e32 v51, v54, v6
	v_fmac_f32_e32 v50, v55, v6
	ds_read2_b32 v[54:55], v47 offset0:160 offset1:176
	s_waitcnt lgkmcnt(0)
	v_fmac_f32_e32 v53, v54, v3
	v_fmac_f32_e32 v52, v55, v3
	ds_read2_b32 v[2:3], v47 offset0:192 offset1:208
	v_fmac_f32_e32 v51, v54, v7
	v_fmac_f32_e32 v50, v55, v7
	s_waitcnt lgkmcnt(0)
	v_fmac_f32_e32 v53, v2, v4
	v_fmac_f32_e32 v52, v3, v4
	;; [unrolled: 1-line block ×4, first 2 shown]
	ds_read2_b32 v[2:3], v47 offset0:224 offset1:240
	s_waitcnt lgkmcnt(0)
	v_fmac_f32_e32 v53, v2, v5
	v_fmac_f32_e32 v52, v3, v5
	;; [unrolled: 1-line block ×4, first 2 shown]
	ds_read_b128 v[2:5], v42 offset:64
	ds_read2_b32 v[54:55], v48 offset1:16
	ds_read_b128 v[6:9], v42 offset:2112
	s_waitcnt lgkmcnt(1)
	v_fmac_f32_e32 v53, v54, v2
	v_fmac_f32_e32 v52, v55, v2
	s_waitcnt lgkmcnt(0)
	v_fmac_f32_e32 v51, v54, v6
	v_fmac_f32_e32 v50, v55, v6
	ds_read2_b32 v[54:55], v48 offset0:32 offset1:48
	s_waitcnt lgkmcnt(0)
	v_fmac_f32_e32 v53, v54, v3
	v_fmac_f32_e32 v52, v55, v3
	ds_read2_b32 v[2:3], v48 offset0:64 offset1:80
	v_fmac_f32_e32 v51, v54, v7
	v_fmac_f32_e32 v50, v55, v7
	s_waitcnt lgkmcnt(0)
	v_fmac_f32_e32 v53, v2, v4
	v_fmac_f32_e32 v52, v3, v4
	;; [unrolled: 1-line block ×4, first 2 shown]
	ds_read2_b32 v[2:3], v48 offset0:96 offset1:112
	s_waitcnt lgkmcnt(0)
	v_fmac_f32_e32 v53, v2, v5
	v_fmac_f32_e32 v52, v3, v5
	;; [unrolled: 1-line block ×4, first 2 shown]
	ds_read_b128 v[2:5], v42 offset:80
	ds_read2_b32 v[54:55], v48 offset0:128 offset1:144
	ds_read_b128 v[6:9], v42 offset:2128
	s_waitcnt lgkmcnt(1)
	v_fmac_f32_e32 v53, v54, v2
	v_fmac_f32_e32 v52, v55, v2
	s_waitcnt lgkmcnt(0)
	v_fmac_f32_e32 v51, v54, v6
	v_fmac_f32_e32 v50, v55, v6
	ds_read2_b32 v[54:55], v48 offset0:160 offset1:176
	s_waitcnt lgkmcnt(0)
	v_fmac_f32_e32 v53, v54, v3
	v_fmac_f32_e32 v52, v55, v3
	ds_read2_b32 v[2:3], v48 offset0:192 offset1:208
	v_fmac_f32_e32 v51, v54, v7
	v_fmac_f32_e32 v50, v55, v7
	s_waitcnt lgkmcnt(0)
	v_fmac_f32_e32 v53, v2, v4
	v_fmac_f32_e32 v52, v3, v4
	;; [unrolled: 1-line block ×4, first 2 shown]
	ds_read2_b32 v[2:3], v48 offset0:224 offset1:240
	s_waitcnt lgkmcnt(0)
	v_fmac_f32_e32 v53, v2, v5
	v_fmac_f32_e32 v52, v3, v5
	;; [unrolled: 1-line block ×4, first 2 shown]
	ds_read_b128 v[2:5], v42 offset:96
	ds_read2_b32 v[54:55], v49 offset1:16
	ds_read_b128 v[6:9], v42 offset:2144
	s_waitcnt lgkmcnt(1)
	v_fmac_f32_e32 v53, v54, v2
	v_fmac_f32_e32 v52, v55, v2
	s_waitcnt lgkmcnt(0)
	v_fmac_f32_e32 v51, v54, v6
	v_fmac_f32_e32 v50, v55, v6
	ds_read2_b32 v[54:55], v49 offset0:32 offset1:48
	s_waitcnt lgkmcnt(0)
	v_fmac_f32_e32 v53, v54, v3
	v_fmac_f32_e32 v52, v55, v3
	ds_read2_b32 v[2:3], v49 offset0:64 offset1:80
	v_fmac_f32_e32 v51, v54, v7
	v_fmac_f32_e32 v50, v55, v7
	s_waitcnt lgkmcnt(0)
	v_fmac_f32_e32 v53, v2, v4
	v_fmac_f32_e32 v52, v3, v4
	v_fmac_f32_e32 v51, v2, v8
	v_fmac_f32_e32 v50, v3, v8
	ds_read2_b32 v[2:3], v49 offset0:96 offset1:112
	s_waitcnt lgkmcnt(0)
	v_fmac_f32_e32 v53, v2, v5
	v_fmac_f32_e32 v52, v3, v5
	;; [unrolled: 1-line block ×4, first 2 shown]
	ds_read_b128 v[2:5], v42 offset:112
	ds_read2_b32 v[54:55], v49 offset0:128 offset1:144
	ds_read_b128 v[6:9], v42 offset:2160
	s_waitcnt lgkmcnt(1)
	v_fmac_f32_e32 v53, v54, v2
	v_fmac_f32_e32 v52, v55, v2
	s_waitcnt lgkmcnt(0)
	v_fmac_f32_e32 v51, v54, v6
	v_fmac_f32_e32 v50, v55, v6
	ds_read2_b32 v[54:55], v49 offset0:160 offset1:176
	s_waitcnt lgkmcnt(0)
	v_fmac_f32_e32 v53, v54, v3
	v_fmac_f32_e32 v52, v55, v3
	ds_read2_b32 v[2:3], v49 offset0:192 offset1:208
	v_fmac_f32_e32 v51, v54, v7
	v_fmac_f32_e32 v50, v55, v7
	s_waitcnt lgkmcnt(0)
	v_fmac_f32_e32 v53, v2, v4
	v_fmac_f32_e32 v52, v3, v4
	;; [unrolled: 1-line block ×4, first 2 shown]
	ds_read2_b32 v[2:3], v49 offset0:224 offset1:240
	s_waitcnt lgkmcnt(0)
	s_barrier
	buffer_gl0_inv
	v_fmac_f32_e32 v53, v2, v5
	v_fmac_f32_e32 v52, v3, v5
	;; [unrolled: 1-line block ×4, first 2 shown]
	s_cbranch_scc1 .LBB18_43
.LBB18_7:                               ;   Parent Loop BB18_4 Depth=1
                                        ; =>  This Inner Loop Header: Depth=2
	v_add_co_u32 v2, s5, v12, s22
	v_add_co_ci_u32_e64 v3, null, s23, v13, s5
	v_cmp_eq_u64_e64 s8, s[22:23], v[22:23]
	v_add_co_u32 v4, s9, v30, v26
	v_cmp_lt_i64_e64 s5, v[2:3], v[20:21]
	v_cmp_le_i64_e64 s6, s[14:15], v[2:3]
	v_add_co_ci_u32_e64 v5, null, v31, v27, s9
	s_and_b32 s39, s45, s8
                                        ; implicit-def: $vgpr6
	s_or_b32 s9, s3, s5
	s_or_b32 s8, s6, s9
	s_nor_b32 s8, s8, s39
	s_and_saveexec_b32 s9, s8
	s_xor_b32 s8, exec_lo, s9
	s_cbranch_execz .LBB18_9
; %bb.8:                                ;   in Loop: Header=BB18_7 Depth=2
	global_load_dword v6, v[4:5], off
.LBB18_9:                               ;   in Loop: Header=BB18_7 Depth=2
	s_andn2_saveexec_b32 s8, s8
	s_cbranch_execz .LBB18_11
; %bb.10:                               ;   in Loop: Header=BB18_7 Depth=2
	s_waitcnt vmcnt(0)
	v_cndmask_b32_e64 v6, 0, 1.0, s39
.LBB18_11:                              ;   in Loop: Header=BB18_7 Depth=2
	s_or_b32 exec_lo, exec_lo, s8
	v_add_co_u32 v7, s8, v2, 16
	v_add_co_ci_u32_e64 v8, null, 0, v3, s8
	v_cmp_eq_u64_e64 s10, s[22:23], v[38:39]
	s_waitcnt vmcnt(0)
	ds_write_b32 v43, v6
	v_cmp_lt_i64_e64 s9, v[7:8], v[20:21]
	v_cmp_le_i64_e64 s8, s[14:15], v[7:8]
	s_and_b32 s10, s45, s10
	s_or_b32 s9, s3, s9
	s_or_b32 s9, s8, s9
	s_nor_b32 s9, s9, s10
	s_and_saveexec_b32 s47, s9
	s_xor_b32 s47, exec_lo, s47
	s_cbranch_execz .LBB18_13
; %bb.12:                               ;   in Loop: Header=BB18_7 Depth=2
	v_add_co_u32 v6, s9, v28, v26
	v_add_co_ci_u32_e64 v7, null, v29, v27, s9
	global_load_dword v6, v[6:7], off
	s_waitcnt vmcnt(0)
	ds_write_b32 v43, v6 offset:64
.LBB18_13:                              ;   in Loop: Header=BB18_7 Depth=2
	s_andn2_saveexec_b32 s9, s47
	s_cbranch_execz .LBB18_19
; %bb.14:                               ;   in Loop: Header=BB18_7 Depth=2
	s_xor_b32 s10, s10, -1
	s_and_saveexec_b32 s47, s10
	s_xor_b32 s10, exec_lo, s47
; %bb.15:                               ;   in Loop: Header=BB18_7 Depth=2
	ds_write_b32 v43, v0 offset:64
; %bb.16:                               ;   in Loop: Header=BB18_7 Depth=2
	s_andn2_saveexec_b32 s10, s10
; %bb.17:                               ;   in Loop: Header=BB18_7 Depth=2
	ds_write_b32 v43, v46 offset:64
; %bb.18:                               ;   in Loop: Header=BB18_7 Depth=2
	s_or_b32 exec_lo, exec_lo, s10
.LBB18_19:                              ;   in Loop: Header=BB18_7 Depth=2
	s_or_b32 exec_lo, exec_lo, s9
	v_cmp_eq_u64_e64 s9, s[22:23], v[36:37]
	v_cmp_lt_i64_e64 s10, v[2:3], v[34:35]
                                        ; implicit-def: $vgpr2
	s_and_b32 s9, s45, s9
	s_or_b32 s10, s4, s10
	s_or_b32 s10, s10, s9
	s_nor_b32 s6, s6, s10
	s_and_saveexec_b32 s10, s6
	s_xor_b32 s6, exec_lo, s10
	s_cbranch_execz .LBB18_21
; %bb.20:                               ;   in Loop: Header=BB18_7 Depth=2
	global_load_dword v2, v[4:5], off offset:64
.LBB18_21:                              ;   in Loop: Header=BB18_7 Depth=2
	s_andn2_saveexec_b32 s6, s6
	s_cbranch_execz .LBB18_23
; %bb.22:                               ;   in Loop: Header=BB18_7 Depth=2
	s_waitcnt vmcnt(0)
	v_cndmask_b32_e64 v2, 0, 1.0, s9
.LBB18_23:                              ;   in Loop: Header=BB18_7 Depth=2
	s_or_b32 exec_lo, exec_lo, s6
	s_or_b32 s5, s4, s5
	s_waitcnt vmcnt(0)
	ds_write_b32 v43, v2 offset:2048
	s_or_b32 s5, s8, s5
	s_nor_b32 s5, s5, s39
	s_and_saveexec_b32 s6, s5
	s_xor_b32 s6, exec_lo, s6
	s_cbranch_execz .LBB18_25
; %bb.24:                               ;   in Loop: Header=BB18_7 Depth=2
	v_add_co_u32 v2, s5, v28, v26
	v_add_co_ci_u32_e64 v3, null, v29, v27, s5
	global_load_dword v2, v[2:3], off offset:64
	s_waitcnt vmcnt(0)
	ds_write_b32 v43, v2 offset:2112
.LBB18_25:                              ;   in Loop: Header=BB18_7 Depth=2
	s_andn2_saveexec_b32 s5, s6
	s_cbranch_execz .LBB18_31
; %bb.26:                               ;   in Loop: Header=BB18_7 Depth=2
	s_xor_b32 s6, s39, -1
	s_and_saveexec_b32 s8, s6
	s_xor_b32 s6, exec_lo, s8
; %bb.27:                               ;   in Loop: Header=BB18_7 Depth=2
	ds_write_b32 v43, v0 offset:2112
; %bb.28:                               ;   in Loop: Header=BB18_7 Depth=2
	s_andn2_saveexec_b32 s6, s6
; %bb.29:                               ;   in Loop: Header=BB18_7 Depth=2
	ds_write_b32 v43, v46 offset:2112
; %bb.30:                               ;   in Loop: Header=BB18_7 Depth=2
	s_or_b32 exec_lo, exec_lo, s6
.LBB18_31:                              ;   in Loop: Header=BB18_7 Depth=2
	s_or_b32 exec_lo, exec_lo, s5
	v_add_co_u32 v2, s5, v16, s22
	v_add_co_ci_u32_e64 v3, null, s23, v17, s5
	v_add_co_u32 v4, s6, v24, v40
	v_add_co_ci_u32_e64 v5, null, v25, v41, s6
	v_cmp_le_i64_e64 s5, s[14:15], v[2:3]
	v_mov_b32_e32 v6, 0
	s_nor_b32 s8, s5, s1
	s_and_saveexec_b32 s6, s8
	s_cbranch_execz .LBB18_33
; %bb.32:                               ;   in Loop: Header=BB18_7 Depth=2
	global_load_dword v6, v[4:5], off offset:-64
.LBB18_33:                              ;   in Loop: Header=BB18_7 Depth=2
	s_or_b32 exec_lo, exec_lo, s6
	s_nor_b32 s5, s5, s2
	s_waitcnt vmcnt(0)
	ds_write_b32 v45, v6
	s_and_saveexec_b32 s6, s5
	s_xor_b32 s5, exec_lo, s6
	s_cbranch_execz .LBB18_35
; %bb.34:                               ;   in Loop: Header=BB18_7 Depth=2
	global_load_dword v4, v[4:5], off
	s_waitcnt vmcnt(0)
	ds_write_b32 v45, v4 offset:64
.LBB18_35:                              ;   in Loop: Header=BB18_7 Depth=2
	s_andn2_saveexec_b32 s5, s5
; %bb.36:                               ;   in Loop: Header=BB18_7 Depth=2
	ds_write_b32 v45, v0 offset:64
; %bb.37:                               ;   in Loop: Header=BB18_7 Depth=2
	s_or_b32 exec_lo, exec_lo, s5
	v_cmp_le_i64_e64 s5, s[12:13], v[2:3]
	v_add_co_u32 v2, s6, v32, v40
	v_add_co_ci_u32_e64 v3, null, v33, v41, s6
	v_mov_b32_e32 v4, 0
	s_nor_b32 s8, s5, s1
	s_and_saveexec_b32 s6, s8
	s_cbranch_execz .LBB18_39
; %bb.38:                               ;   in Loop: Header=BB18_7 Depth=2
	global_load_dword v4, v[2:3], off
.LBB18_39:                              ;   in Loop: Header=BB18_7 Depth=2
	s_or_b32 exec_lo, exec_lo, s6
	s_nor_b32 s5, s5, s2
	s_waitcnt vmcnt(0)
	ds_write_b32 v45, v4 offset:2048
	s_and_saveexec_b32 s6, s5
	s_xor_b32 s5, exec_lo, s6
	s_cbranch_execz .LBB18_41
; %bb.40:                               ;   in Loop: Header=BB18_7 Depth=2
	global_load_dword v2, v[2:3], off offset:64
	s_waitcnt vmcnt(0)
	ds_write_b32 v45, v2 offset:2112
.LBB18_41:                              ;   in Loop: Header=BB18_7 Depth=2
	s_andn2_saveexec_b32 s5, s5
	s_cbranch_execz .LBB18_6
; %bb.42:                               ;   in Loop: Header=BB18_7 Depth=2
	ds_write_b32 v45, v0 offset:2112
	s_branch .LBB18_6
.LBB18_43:                              ;   in Loop: Header=BB18_4 Depth=1
	v_mul_lo_u32 v4, s29, v20
	v_mul_lo_u32 v5, s28, v21
	v_mad_u64_u32 v[2:3], null, s28, v20, 0
	v_cmp_gt_i32_e64 s3, s14, v20
	v_add3_u32 v3, v3, v5, v4
	v_lshlrev_b64 v[2:3], 2, v[2:3]
	v_add_co_u32 v2, s4, s42, v2
	v_add_co_ci_u32_e64 v3, null, s43, v3, s4
	s_and_b32 s4, vcc_lo, s3
	s_and_saveexec_b32 s5, s4
	s_cbranch_execz .LBB18_45
; %bb.44:                               ;   in Loop: Header=BB18_4 Depth=1
	v_add_co_u32 v4, s4, v2, v14
	v_add_co_ci_u32_e64 v5, null, v3, v15, s4
	global_load_dword v6, v[4:5], off
	s_waitcnt vmcnt(0)
	v_fmac_f32_e32 v6, s11, v53
	global_store_dword v[4:5], v6, off
.LBB18_45:                              ;   in Loop: Header=BB18_4 Depth=1
	s_or_b32 exec_lo, exec_lo, s5
	s_and_b32 s3, s0, s3
	s_and_saveexec_b32 s4, s3
	s_cbranch_execz .LBB18_47
; %bb.46:                               ;   in Loop: Header=BB18_4 Depth=1
	v_lshlrev_b64 v[4:5], 2, v[10:11]
	v_add_co_u32 v2, s3, v2, v4
	v_add_co_ci_u32_e64 v3, null, v3, v5, s3
	global_load_dword v4, v[2:3], off
	s_waitcnt vmcnt(0)
	v_fmac_f32_e32 v4, s11, v52
	global_store_dword v[2:3], v4, off
.LBB18_47:                              ;   in Loop: Header=BB18_4 Depth=1
	s_or_b32 exec_lo, exec_lo, s4
	v_add_nc_u32_e32 v4, 16, v20
	v_ashrrev_i32_e32 v5, 31, v4
	v_mul_lo_u32 v6, s29, v4
	v_mad_u64_u32 v[2:3], null, s28, v4, 0
	v_cmp_gt_i32_e64 s3, s14, v4
	v_mul_lo_u32 v5, s28, v5
	v_add3_u32 v3, v3, v5, v6
	v_lshlrev_b64 v[2:3], 2, v[2:3]
	v_add_co_u32 v2, s4, s42, v2
	v_add_co_ci_u32_e64 v3, null, s43, v3, s4
	s_and_b32 s4, vcc_lo, s3
	s_and_saveexec_b32 s5, s4
	s_cbranch_execz .LBB18_49
; %bb.48:                               ;   in Loop: Header=BB18_4 Depth=1
	v_add_co_u32 v4, s4, v2, v14
	v_add_co_ci_u32_e64 v5, null, v3, v15, s4
	global_load_dword v6, v[4:5], off
	s_waitcnt vmcnt(0)
	v_fmac_f32_e32 v6, s11, v51
	global_store_dword v[4:5], v6, off
.LBB18_49:                              ;   in Loop: Header=BB18_4 Depth=1
	s_or_b32 exec_lo, exec_lo, s5
	s_and_b32 s3, s0, s3
	s_and_saveexec_b32 s4, s3
	s_cbranch_execz .LBB18_3
; %bb.50:                               ;   in Loop: Header=BB18_4 Depth=1
	v_lshlrev_b64 v[4:5], 2, v[10:11]
	v_add_co_u32 v2, s3, v2, v4
	v_add_co_ci_u32_e64 v3, null, v3, v5, s3
	global_load_dword v4, v[2:3], off
	s_waitcnt vmcnt(0)
	v_fmac_f32_e32 v4, s11, v50
	global_store_dword v[2:3], v4, off
	s_branch .LBB18_3
.LBB18_51:
	s_endpgm
	.section	.rodata,"a",@progbits
	.p2align	6, 0x0
	.amdhsa_kernel _ZL30rocblas_trmm_outofplace_kernelIfLi32ELi2ELb0ELb1ELb1ELb0EPKfS0_fEv17rocblas_diagonal_iiT6_lPT7_lllS5_lllPT8_llli
		.amdhsa_group_segment_fixed_size 8192
		.amdhsa_private_segment_fixed_size 0
		.amdhsa_kernarg_size 392
		.amdhsa_user_sgpr_count 6
		.amdhsa_user_sgpr_private_segment_buffer 1
		.amdhsa_user_sgpr_dispatch_ptr 0
		.amdhsa_user_sgpr_queue_ptr 0
		.amdhsa_user_sgpr_kernarg_segment_ptr 1
		.amdhsa_user_sgpr_dispatch_id 0
		.amdhsa_user_sgpr_flat_scratch_init 0
		.amdhsa_user_sgpr_private_segment_size 0
		.amdhsa_wavefront_size32 1
		.amdhsa_uses_dynamic_stack 0
		.amdhsa_system_sgpr_private_segment_wavefront_offset 0
		.amdhsa_system_sgpr_workgroup_id_x 1
		.amdhsa_system_sgpr_workgroup_id_y 1
		.amdhsa_system_sgpr_workgroup_id_z 1
		.amdhsa_system_sgpr_workgroup_info 0
		.amdhsa_system_vgpr_workitem_id 1
		.amdhsa_next_free_vgpr 68
		.amdhsa_next_free_sgpr 48
		.amdhsa_reserve_vcc 1
		.amdhsa_reserve_flat_scratch 0
		.amdhsa_float_round_mode_32 0
		.amdhsa_float_round_mode_16_64 0
		.amdhsa_float_denorm_mode_32 3
		.amdhsa_float_denorm_mode_16_64 3
		.amdhsa_dx10_clamp 1
		.amdhsa_ieee_mode 1
		.amdhsa_fp16_overflow 0
		.amdhsa_workgroup_processor_mode 1
		.amdhsa_memory_ordered 1
		.amdhsa_forward_progress 1
		.amdhsa_shared_vgpr_count 0
		.amdhsa_exception_fp_ieee_invalid_op 0
		.amdhsa_exception_fp_denorm_src 0
		.amdhsa_exception_fp_ieee_div_zero 0
		.amdhsa_exception_fp_ieee_overflow 0
		.amdhsa_exception_fp_ieee_underflow 0
		.amdhsa_exception_fp_ieee_inexact 0
		.amdhsa_exception_int_div_zero 0
	.end_amdhsa_kernel
	.section	.text._ZL30rocblas_trmm_outofplace_kernelIfLi32ELi2ELb0ELb1ELb1ELb0EPKfS0_fEv17rocblas_diagonal_iiT6_lPT7_lllS5_lllPT8_llli,"axG",@progbits,_ZL30rocblas_trmm_outofplace_kernelIfLi32ELi2ELb0ELb1ELb1ELb0EPKfS0_fEv17rocblas_diagonal_iiT6_lPT7_lllS5_lllPT8_llli,comdat
.Lfunc_end18:
	.size	_ZL30rocblas_trmm_outofplace_kernelIfLi32ELi2ELb0ELb1ELb1ELb0EPKfS0_fEv17rocblas_diagonal_iiT6_lPT7_lllS5_lllPT8_llli, .Lfunc_end18-_ZL30rocblas_trmm_outofplace_kernelIfLi32ELi2ELb0ELb1ELb1ELb0EPKfS0_fEv17rocblas_diagonal_iiT6_lPT7_lllS5_lllPT8_llli
                                        ; -- End function
	.set _ZL30rocblas_trmm_outofplace_kernelIfLi32ELi2ELb0ELb1ELb1ELb0EPKfS0_fEv17rocblas_diagonal_iiT6_lPT7_lllS5_lllPT8_llli.num_vgpr, 68
	.set _ZL30rocblas_trmm_outofplace_kernelIfLi32ELi2ELb0ELb1ELb1ELb0EPKfS0_fEv17rocblas_diagonal_iiT6_lPT7_lllS5_lllPT8_llli.num_agpr, 0
	.set _ZL30rocblas_trmm_outofplace_kernelIfLi32ELi2ELb0ELb1ELb1ELb0EPKfS0_fEv17rocblas_diagonal_iiT6_lPT7_lllS5_lllPT8_llli.numbered_sgpr, 48
	.set _ZL30rocblas_trmm_outofplace_kernelIfLi32ELi2ELb0ELb1ELb1ELb0EPKfS0_fEv17rocblas_diagonal_iiT6_lPT7_lllS5_lllPT8_llli.num_named_barrier, 0
	.set _ZL30rocblas_trmm_outofplace_kernelIfLi32ELi2ELb0ELb1ELb1ELb0EPKfS0_fEv17rocblas_diagonal_iiT6_lPT7_lllS5_lllPT8_llli.private_seg_size, 0
	.set _ZL30rocblas_trmm_outofplace_kernelIfLi32ELi2ELb0ELb1ELb1ELb0EPKfS0_fEv17rocblas_diagonal_iiT6_lPT7_lllS5_lllPT8_llli.uses_vcc, 1
	.set _ZL30rocblas_trmm_outofplace_kernelIfLi32ELi2ELb0ELb1ELb1ELb0EPKfS0_fEv17rocblas_diagonal_iiT6_lPT7_lllS5_lllPT8_llli.uses_flat_scratch, 0
	.set _ZL30rocblas_trmm_outofplace_kernelIfLi32ELi2ELb0ELb1ELb1ELb0EPKfS0_fEv17rocblas_diagonal_iiT6_lPT7_lllS5_lllPT8_llli.has_dyn_sized_stack, 0
	.set _ZL30rocblas_trmm_outofplace_kernelIfLi32ELi2ELb0ELb1ELb1ELb0EPKfS0_fEv17rocblas_diagonal_iiT6_lPT7_lllS5_lllPT8_llli.has_recursion, 0
	.set _ZL30rocblas_trmm_outofplace_kernelIfLi32ELi2ELb0ELb1ELb1ELb0EPKfS0_fEv17rocblas_diagonal_iiT6_lPT7_lllS5_lllPT8_llli.has_indirect_call, 0
	.section	.AMDGPU.csdata,"",@progbits
; Kernel info:
; codeLenInByte = 3072
; TotalNumSgprs: 50
; NumVgprs: 68
; ScratchSize: 0
; MemoryBound: 0
; FloatMode: 240
; IeeeMode: 1
; LDSByteSize: 8192 bytes/workgroup (compile time only)
; SGPRBlocks: 0
; VGPRBlocks: 8
; NumSGPRsForWavesPerEU: 50
; NumVGPRsForWavesPerEU: 68
; Occupancy: 12
; WaveLimiterHint : 0
; COMPUTE_PGM_RSRC2:SCRATCH_EN: 0
; COMPUTE_PGM_RSRC2:USER_SGPR: 6
; COMPUTE_PGM_RSRC2:TRAP_HANDLER: 0
; COMPUTE_PGM_RSRC2:TGID_X_EN: 1
; COMPUTE_PGM_RSRC2:TGID_Y_EN: 1
; COMPUTE_PGM_RSRC2:TGID_Z_EN: 1
; COMPUTE_PGM_RSRC2:TIDIG_COMP_CNT: 1
	.section	.text._ZL30rocblas_trmm_outofplace_kernelIfLi32ELi2ELb0ELb1ELb1ELb0EfKffEv17rocblas_diagonal_iiT6_lPT7_lllS4_lllPT8_llli,"axG",@progbits,_ZL30rocblas_trmm_outofplace_kernelIfLi32ELi2ELb0ELb1ELb1ELb0EfKffEv17rocblas_diagonal_iiT6_lPT7_lllS4_lllPT8_llli,comdat
	.globl	_ZL30rocblas_trmm_outofplace_kernelIfLi32ELi2ELb0ELb1ELb1ELb0EfKffEv17rocblas_diagonal_iiT6_lPT7_lllS4_lllPT8_llli ; -- Begin function _ZL30rocblas_trmm_outofplace_kernelIfLi32ELi2ELb0ELb1ELb1ELb0EfKffEv17rocblas_diagonal_iiT6_lPT7_lllS4_lllPT8_llli
	.p2align	8
	.type	_ZL30rocblas_trmm_outofplace_kernelIfLi32ELi2ELb0ELb1ELb1ELb0EfKffEv17rocblas_diagonal_iiT6_lPT7_lllS4_lllPT8_llli,@function
_ZL30rocblas_trmm_outofplace_kernelIfLi32ELi2ELb0ELb1ELb1ELb0EfKffEv17rocblas_diagonal_iiT6_lPT7_lllS4_lllPT8_llli: ; @_ZL30rocblas_trmm_outofplace_kernelIfLi32ELi2ELb0ELb1ELb1ELb0EfKffEv17rocblas_diagonal_iiT6_lPT7_lllS4_lllPT8_llli
; %bb.0:
	s_load_dwordx4 s[28:31], s[4:5], 0x0
	s_waitcnt lgkmcnt(0)
	v_cmp_eq_f32_e64 s0, s31, 0
	s_and_b32 vcc_lo, exec_lo, s0
	s_cbranch_vccnz .LBB19_51
; %bb.1:
	s_add_i32 s0, s30, -1
	s_ashr_i32 s1, s0, 31
	s_lshr_b32 s1, s1, 27
	s_add_i32 s0, s0, s1
	s_ashr_i32 s11, s0, 5
	s_cmp_gt_i32 s7, s11
	s_cbranch_scc1 .LBB19_51
; %bb.2:
	s_clause 0x2
	s_load_dwordx8 s[36:43], s[4:5], 0x58
	s_load_dwordx16 s[12:27], s[4:5], 0x18
	s_load_dword s33, s[4:5], 0x84
	v_lshl_add_u32 v2, s6, 5, v0
	v_lshlrev_b32_e32 v42, 7, v1
	v_lshlrev_b32_e32 v4, 2, v0
	v_mov_b32_e32 v46, 1.0
	s_mov_b32 s34, s30
	v_add_nc_u32_e32 v10, 16, v2
	v_ashrrev_i32_e32 v3, 31, v2
	v_add_nc_u32_e32 v43, v42, v4
	v_or_b32_e32 v44, 0x1000, v4
	v_cmp_gt_i32_e32 vcc_lo, s29, v2
	v_ashrrev_i32_e32 v11, 31, v10
	v_lshlrev_b64 v[14:15], 2, v[2:3]
	v_add_nc_u32_e32 v45, v44, v42
	v_add_nc_u32_e32 v47, 0x400, v44
	;; [unrolled: 1-line block ×4, first 2 shown]
	s_waitcnt lgkmcnt(0)
	s_mul_i32 s1, s43, s8
	s_mul_hi_u32 s2, s42, s8
	s_mul_i32 s0, s42, s8
	s_add_i32 s1, s2, s1
	s_mul_hi_u32 s5, s26, s8
	s_lshl_b64 s[0:1], s[0:1], 2
	s_add_u32 s4, s36, s0
	s_addc_u32 s1, s37, s1
	s_lshl_b64 s[2:3], s[38:39], 2
	v_cmp_gt_i32_e64 s0, s29, v10
	s_add_u32 s44, s4, s2
	s_addc_u32 s45, s1, s3
	s_cmpk_eq_i32 s28, 0x84
	v_sub_co_u32 v4, s1, s29, v2
	s_cselect_b32 s46, -1, 0
	s_ashr_i32 s35, s30, 31
	s_ashr_i32 s2, s29, 31
	s_lshl_b64 s[36:37], s[16:17], 7
	s_lshl_b64 s[38:39], s[24:25], 7
	s_add_u32 s28, s30, -16
	s_addc_u32 s29, s35, -1
	s_lshl_b32 s3, s7, 5
	s_lshl_b32 s47, s33, 5
	s_mul_i32 s4, s27, s8
	s_add_u32 s42, s20, 64
	s_addc_u32 s43, s21, 0
	s_add_i32 s5, s5, s4
	s_mul_i32 s4, s26, s8
	s_lshl_b64 s[26:27], s[22:23], 2
	s_lshl_b64 s[4:5], s[4:5], 2
	;; [unrolled: 1-line block ×3, first 2 shown]
	s_add_u32 s6, s4, s26
	v_sub_co_ci_u32_e64 v5, null, s2, v3, s1
	s_addc_u32 s10, s5, s27
	s_mul_i32 s4, s19, s8
	s_mul_hi_u32 s5, s18, s8
	v_add_nc_u32_e32 v12, s3, v0
	s_add_i32 s5, s5, s4
	s_mul_i32 s4, s18, s8
	v_add_nc_u32_e32 v16, s3, v1
	s_lshl_b64 s[4:5], s[4:5], 2
	s_lshl_b64 s[8:9], s[14:15], 2
	v_add_co_u32 v18, s3, s6, v14
	v_cmp_gt_i64_e64 s1, 1, v[4:5]
	v_cmp_gt_i64_e64 s2, 17, v[4:5]
	v_add_co_ci_u32_e64 v19, null, s10, v15, s3
	s_add_u32 s3, s4, s8
	v_mov_b32_e32 v0, 0
	s_addc_u32 s4, s5, s9
	s_add_u32 s12, s12, s3
	s_addc_u32 s13, s13, s4
	s_lshl_b64 s[14:15], s[16:17], 2
	s_branch .LBB19_4
.LBB19_3:                               ;   in Loop: Header=BB19_4 Depth=1
	s_or_b32 exec_lo, exec_lo, s4
	v_add_nc_u32_e32 v12, s47, v12
	v_add_nc_u32_e32 v16, s47, v16
	s_add_i32 s7, s33, s7
	s_cmp_le_i32 s7, s11
	s_cbranch_scc0 .LBB19_51
.LBB19_4:                               ; =>This Loop Header: Depth=1
                                        ;     Child Loop BB19_7 Depth 2
	s_lshl_b32 s3, s7, 5
	v_ashrrev_i32_e32 v13, 31, v12
	v_add_nc_u32_e32 v20, s3, v1
	v_ashrrev_i32_e32 v17, 31, v16
	v_mov_b32_e32 v53, 0
	v_mov_b32_e32 v52, 0
	;; [unrolled: 1-line block ×3, first 2 shown]
	v_ashrrev_i32_e32 v21, 31, v20
	v_mov_b32_e32 v50, 0
	s_sub_i32 s26, s30, s3
	s_cmp_lt_i32 s26, 1
	s_cbranch_scc1 .LBB19_43
; %bb.5:                                ;   in Loop: Header=BB19_4 Depth=1
	v_lshlrev_b64 v[2:3], 2, v[12:13]
	v_sub_co_u32 v22, s3, v16, v12
	v_lshlrev_b64 v[26:27], 2, v[16:17]
	v_sub_co_ci_u32_e64 v23, null, v17, v13, s3
	v_add_co_u32 v2, s3, v2, 64
	v_add_co_ci_u32_e64 v3, null, 0, v3, s3
	v_mad_u64_u32 v[24:25], null, s22, v16, s[42:43]
	v_mul_lo_u32 v6, s17, v2
	v_mad_u64_u32 v[28:29], null, s16, v2, s[12:13]
	v_add_co_u32 v2, s3, v26, 64
	v_add_co_ci_u32_e64 v7, null, 0, v27, s3
	v_mul_lo_u32 v4, s22, v17
	v_mul_lo_u32 v36, s25, v2
	v_mad_u64_u32 v[32:33], null, s24, v2, s[20:21]
	v_mul_lo_u32 v7, s24, v7
	v_mul_lo_u32 v5, s23, v16
	v_mul_lo_u32 v3, s16, v3
	v_mad_u64_u32 v[30:31], null, s14, v12, s[12:13]
	v_mul_lo_u32 v8, s14, v13
	v_mul_lo_u32 v9, s15, v12
	v_add_co_u32 v34, s3, v20, 16
	v_add_co_ci_u32_e64 v35, null, 0, v21, s3
	v_add3_u32 v33, v36, v33, v7
	v_add_co_u32 v36, s5, v22, 16
	v_add_co_ci_u32_e64 v37, null, 0, v23, s5
	v_add_co_u32 v38, s5, v22, -16
	v_cmp_le_i64_e64 s4, s[34:35], v[34:35]
	v_mov_b32_e32 v41, v19
	v_add3_u32 v25, v5, v25, v4
	v_add3_u32 v29, v6, v29, v3
	;; [unrolled: 1-line block ×3, first 2 shown]
	v_cmp_le_i32_e64 s3, s30, v20
	v_add_co_ci_u32_e64 v39, null, -1, v23, s5
	v_mov_b32_e32 v50, 0
	v_mov_b32_e32 v40, v18
	;; [unrolled: 1-line block ×5, first 2 shown]
	s_mov_b64 s[18:19], 0
	s_branch .LBB19_7
.LBB19_6:                               ;   in Loop: Header=BB19_7 Depth=2
	s_or_b32 exec_lo, exec_lo, s5
	s_waitcnt lgkmcnt(0)
	s_barrier
	buffer_gl0_inv
	ds_read_b128 v[54:57], v42
	ds_read_b128 v[58:61], v42 offset:16
	ds_read_b128 v[6:9], v42 offset:32
	;; [unrolled: 1-line block ×3, first 2 shown]
	ds_read2_b32 v[66:67], v44 offset1:16
	ds_read_b128 v[62:65], v42 offset:2048
	v_add_co_u32 v40, s5, v40, s38
	v_add_co_ci_u32_e64 v41, null, s39, v41, s5
	v_add_co_u32 v28, s5, v28, s36
	v_add_co_ci_u32_e64 v29, null, s37, v29, s5
	v_add_co_u32 v30, s5, v30, s36
	v_add_co_ci_u32_e64 v31, null, s37, v31, s5
	s_add_u32 s18, s18, 32
	s_addc_u32 s19, s19, 0
	s_cmp_ge_i32 s18, s26
	s_waitcnt lgkmcnt(1)
	v_fmac_f32_e32 v53, v66, v54
	v_fmac_f32_e32 v52, v67, v54
	s_waitcnt lgkmcnt(0)
	v_fmac_f32_e32 v51, v66, v62
	v_fmac_f32_e32 v50, v67, v62
	ds_read2_b32 v[66:67], v44 offset0:32 offset1:48
	s_waitcnt lgkmcnt(0)
	v_fmac_f32_e32 v53, v66, v55
	v_fmac_f32_e32 v52, v67, v55
	ds_read2_b32 v[54:55], v44 offset0:64 offset1:80
	v_fmac_f32_e32 v51, v66, v63
	v_fmac_f32_e32 v50, v67, v63
	ds_read2_b32 v[62:63], v44 offset0:128 offset1:144
	s_waitcnt lgkmcnt(1)
	v_fmac_f32_e32 v53, v54, v56
	v_fmac_f32_e32 v52, v55, v56
	v_fmac_f32_e32 v51, v54, v64
	v_fmac_f32_e32 v50, v55, v64
	ds_read2_b32 v[54:55], v44 offset0:96 offset1:112
	s_waitcnt lgkmcnt(0)
	v_fmac_f32_e32 v53, v54, v57
	v_fmac_f32_e32 v52, v55, v57
	;; [unrolled: 1-line block ×4, first 2 shown]
	ds_read_b128 v[54:57], v42 offset:2064
	v_fmac_f32_e32 v53, v62, v58
	v_fmac_f32_e32 v52, v63, v58
	s_waitcnt lgkmcnt(0)
	v_fmac_f32_e32 v51, v62, v54
	v_fmac_f32_e32 v50, v63, v54
	ds_read2_b32 v[62:63], v44 offset0:160 offset1:176
	s_waitcnt lgkmcnt(0)
	v_fmac_f32_e32 v51, v62, v55
	v_fmac_f32_e32 v50, v63, v55
	ds_read2_b32 v[54:55], v44 offset0:192 offset1:208
	v_fmac_f32_e32 v53, v62, v59
	v_fmac_f32_e32 v52, v63, v59
	ds_read2_b32 v[58:59], v47 offset1:16
	s_waitcnt lgkmcnt(1)
	v_fmac_f32_e32 v53, v54, v60
	v_fmac_f32_e32 v52, v55, v60
	;; [unrolled: 1-line block ×4, first 2 shown]
	ds_read2_b32 v[54:55], v44 offset0:224 offset1:240
	s_waitcnt lgkmcnt(0)
	v_fmac_f32_e32 v53, v54, v61
	v_fmac_f32_e32 v52, v55, v61
	v_fmac_f32_e32 v51, v54, v57
	v_fmac_f32_e32 v50, v55, v57
	ds_read_b128 v[54:57], v42 offset:2080
	v_fmac_f32_e32 v53, v58, v6
	v_fmac_f32_e32 v52, v59, v6
	s_waitcnt lgkmcnt(0)
	v_fmac_f32_e32 v51, v58, v54
	v_fmac_f32_e32 v50, v59, v54
	ds_read2_b32 v[58:59], v47 offset0:32 offset1:48
	s_waitcnt lgkmcnt(0)
	v_fmac_f32_e32 v53, v58, v7
	v_fmac_f32_e32 v52, v59, v7
	ds_read2_b32 v[6:7], v47 offset0:64 offset1:80
	v_fmac_f32_e32 v51, v58, v55
	v_fmac_f32_e32 v50, v59, v55
	ds_read2_b32 v[54:55], v47 offset0:128 offset1:144
	s_waitcnt lgkmcnt(1)
	v_fmac_f32_e32 v53, v6, v8
	v_fmac_f32_e32 v52, v7, v8
	;; [unrolled: 1-line block ×4, first 2 shown]
	ds_read2_b32 v[6:7], v47 offset0:96 offset1:112
	s_waitcnt lgkmcnt(0)
	v_fmac_f32_e32 v53, v6, v9
	v_fmac_f32_e32 v52, v7, v9
	;; [unrolled: 1-line block ×4, first 2 shown]
	ds_read_b128 v[6:9], v42 offset:2096
	v_fmac_f32_e32 v53, v54, v2
	v_fmac_f32_e32 v52, v55, v2
	s_waitcnt lgkmcnt(0)
	v_fmac_f32_e32 v51, v54, v6
	v_fmac_f32_e32 v50, v55, v6
	ds_read2_b32 v[54:55], v47 offset0:160 offset1:176
	s_waitcnt lgkmcnt(0)
	v_fmac_f32_e32 v53, v54, v3
	v_fmac_f32_e32 v52, v55, v3
	ds_read2_b32 v[2:3], v47 offset0:192 offset1:208
	v_fmac_f32_e32 v51, v54, v7
	v_fmac_f32_e32 v50, v55, v7
	s_waitcnt lgkmcnt(0)
	v_fmac_f32_e32 v53, v2, v4
	v_fmac_f32_e32 v52, v3, v4
	;; [unrolled: 1-line block ×4, first 2 shown]
	ds_read2_b32 v[2:3], v47 offset0:224 offset1:240
	s_waitcnt lgkmcnt(0)
	v_fmac_f32_e32 v53, v2, v5
	v_fmac_f32_e32 v52, v3, v5
	;; [unrolled: 1-line block ×4, first 2 shown]
	ds_read_b128 v[2:5], v42 offset:64
	ds_read2_b32 v[54:55], v48 offset1:16
	ds_read_b128 v[6:9], v42 offset:2112
	s_waitcnt lgkmcnt(1)
	v_fmac_f32_e32 v53, v54, v2
	v_fmac_f32_e32 v52, v55, v2
	s_waitcnt lgkmcnt(0)
	v_fmac_f32_e32 v51, v54, v6
	v_fmac_f32_e32 v50, v55, v6
	ds_read2_b32 v[54:55], v48 offset0:32 offset1:48
	s_waitcnt lgkmcnt(0)
	v_fmac_f32_e32 v53, v54, v3
	v_fmac_f32_e32 v52, v55, v3
	ds_read2_b32 v[2:3], v48 offset0:64 offset1:80
	v_fmac_f32_e32 v51, v54, v7
	v_fmac_f32_e32 v50, v55, v7
	s_waitcnt lgkmcnt(0)
	v_fmac_f32_e32 v53, v2, v4
	v_fmac_f32_e32 v52, v3, v4
	;; [unrolled: 1-line block ×4, first 2 shown]
	ds_read2_b32 v[2:3], v48 offset0:96 offset1:112
	s_waitcnt lgkmcnt(0)
	v_fmac_f32_e32 v53, v2, v5
	v_fmac_f32_e32 v52, v3, v5
	;; [unrolled: 1-line block ×4, first 2 shown]
	ds_read_b128 v[2:5], v42 offset:80
	ds_read2_b32 v[54:55], v48 offset0:128 offset1:144
	ds_read_b128 v[6:9], v42 offset:2128
	s_waitcnt lgkmcnt(1)
	v_fmac_f32_e32 v53, v54, v2
	v_fmac_f32_e32 v52, v55, v2
	s_waitcnt lgkmcnt(0)
	v_fmac_f32_e32 v51, v54, v6
	v_fmac_f32_e32 v50, v55, v6
	ds_read2_b32 v[54:55], v48 offset0:160 offset1:176
	s_waitcnt lgkmcnt(0)
	v_fmac_f32_e32 v53, v54, v3
	v_fmac_f32_e32 v52, v55, v3
	ds_read2_b32 v[2:3], v48 offset0:192 offset1:208
	v_fmac_f32_e32 v51, v54, v7
	v_fmac_f32_e32 v50, v55, v7
	s_waitcnt lgkmcnt(0)
	v_fmac_f32_e32 v53, v2, v4
	v_fmac_f32_e32 v52, v3, v4
	;; [unrolled: 1-line block ×4, first 2 shown]
	ds_read2_b32 v[2:3], v48 offset0:224 offset1:240
	s_waitcnt lgkmcnt(0)
	v_fmac_f32_e32 v53, v2, v5
	v_fmac_f32_e32 v52, v3, v5
	;; [unrolled: 1-line block ×4, first 2 shown]
	ds_read_b128 v[2:5], v42 offset:96
	ds_read2_b32 v[54:55], v49 offset1:16
	ds_read_b128 v[6:9], v42 offset:2144
	s_waitcnt lgkmcnt(1)
	v_fmac_f32_e32 v53, v54, v2
	v_fmac_f32_e32 v52, v55, v2
	s_waitcnt lgkmcnt(0)
	v_fmac_f32_e32 v51, v54, v6
	v_fmac_f32_e32 v50, v55, v6
	ds_read2_b32 v[54:55], v49 offset0:32 offset1:48
	s_waitcnt lgkmcnt(0)
	v_fmac_f32_e32 v53, v54, v3
	v_fmac_f32_e32 v52, v55, v3
	ds_read2_b32 v[2:3], v49 offset0:64 offset1:80
	v_fmac_f32_e32 v51, v54, v7
	v_fmac_f32_e32 v50, v55, v7
	s_waitcnt lgkmcnt(0)
	v_fmac_f32_e32 v53, v2, v4
	v_fmac_f32_e32 v52, v3, v4
	;; [unrolled: 1-line block ×4, first 2 shown]
	ds_read2_b32 v[2:3], v49 offset0:96 offset1:112
	s_waitcnt lgkmcnt(0)
	v_fmac_f32_e32 v53, v2, v5
	v_fmac_f32_e32 v52, v3, v5
	;; [unrolled: 1-line block ×4, first 2 shown]
	ds_read_b128 v[2:5], v42 offset:112
	ds_read2_b32 v[54:55], v49 offset0:128 offset1:144
	ds_read_b128 v[6:9], v42 offset:2160
	s_waitcnt lgkmcnt(1)
	v_fmac_f32_e32 v53, v54, v2
	v_fmac_f32_e32 v52, v55, v2
	s_waitcnt lgkmcnt(0)
	v_fmac_f32_e32 v51, v54, v6
	v_fmac_f32_e32 v50, v55, v6
	ds_read2_b32 v[54:55], v49 offset0:160 offset1:176
	s_waitcnt lgkmcnt(0)
	v_fmac_f32_e32 v53, v54, v3
	v_fmac_f32_e32 v52, v55, v3
	ds_read2_b32 v[2:3], v49 offset0:192 offset1:208
	v_fmac_f32_e32 v51, v54, v7
	v_fmac_f32_e32 v50, v55, v7
	s_waitcnt lgkmcnt(0)
	v_fmac_f32_e32 v53, v2, v4
	v_fmac_f32_e32 v52, v3, v4
	;; [unrolled: 1-line block ×4, first 2 shown]
	ds_read2_b32 v[2:3], v49 offset0:224 offset1:240
	s_waitcnt lgkmcnt(0)
	s_barrier
	buffer_gl0_inv
	v_fmac_f32_e32 v53, v2, v5
	v_fmac_f32_e32 v52, v3, v5
	v_fmac_f32_e32 v51, v2, v9
	v_fmac_f32_e32 v50, v3, v9
	s_cbranch_scc1 .LBB19_43
.LBB19_7:                               ;   Parent Loop BB19_4 Depth=1
                                        ; =>  This Inner Loop Header: Depth=2
	v_add_co_u32 v2, s5, v12, s18
	v_add_co_ci_u32_e64 v3, null, s19, v13, s5
	v_cmp_eq_u64_e64 s8, s[18:19], v[22:23]
	v_add_co_u32 v4, s9, v30, v26
	v_cmp_lt_i64_e64 s5, v[2:3], v[20:21]
	v_cmp_le_i64_e64 s6, s[34:35], v[2:3]
	v_add_co_ci_u32_e64 v5, null, v31, v27, s9
	s_and_b32 s27, s46, s8
                                        ; implicit-def: $vgpr6
	s_or_b32 s9, s3, s5
	s_or_b32 s8, s6, s9
	s_nor_b32 s8, s8, s27
	s_and_saveexec_b32 s9, s8
	s_xor_b32 s8, exec_lo, s9
	s_cbranch_execz .LBB19_9
; %bb.8:                                ;   in Loop: Header=BB19_7 Depth=2
	global_load_dword v6, v[4:5], off
.LBB19_9:                               ;   in Loop: Header=BB19_7 Depth=2
	s_andn2_saveexec_b32 s8, s8
	s_cbranch_execz .LBB19_11
; %bb.10:                               ;   in Loop: Header=BB19_7 Depth=2
	s_waitcnt vmcnt(0)
	v_cndmask_b32_e64 v6, 0, 1.0, s27
.LBB19_11:                              ;   in Loop: Header=BB19_7 Depth=2
	s_or_b32 exec_lo, exec_lo, s8
	v_add_co_u32 v7, s8, v2, 16
	v_add_co_ci_u32_e64 v8, null, 0, v3, s8
	v_cmp_eq_u64_e64 s10, s[18:19], v[38:39]
	s_waitcnt vmcnt(0)
	ds_write_b32 v43, v6
	v_cmp_lt_i64_e64 s9, v[7:8], v[20:21]
	v_cmp_le_i64_e64 s8, s[34:35], v[7:8]
	s_and_b32 s10, s46, s10
	s_or_b32 s9, s3, s9
	s_or_b32 s9, s8, s9
	s_nor_b32 s9, s9, s10
	s_and_saveexec_b32 s48, s9
	s_xor_b32 s48, exec_lo, s48
	s_cbranch_execz .LBB19_13
; %bb.12:                               ;   in Loop: Header=BB19_7 Depth=2
	v_add_co_u32 v6, s9, v28, v26
	v_add_co_ci_u32_e64 v7, null, v29, v27, s9
	global_load_dword v6, v[6:7], off
	s_waitcnt vmcnt(0)
	ds_write_b32 v43, v6 offset:64
.LBB19_13:                              ;   in Loop: Header=BB19_7 Depth=2
	s_andn2_saveexec_b32 s9, s48
	s_cbranch_execz .LBB19_19
; %bb.14:                               ;   in Loop: Header=BB19_7 Depth=2
	s_xor_b32 s10, s10, -1
	s_and_saveexec_b32 s48, s10
	s_xor_b32 s10, exec_lo, s48
; %bb.15:                               ;   in Loop: Header=BB19_7 Depth=2
	ds_write_b32 v43, v0 offset:64
; %bb.16:                               ;   in Loop: Header=BB19_7 Depth=2
	s_andn2_saveexec_b32 s10, s10
; %bb.17:                               ;   in Loop: Header=BB19_7 Depth=2
	ds_write_b32 v43, v46 offset:64
; %bb.18:                               ;   in Loop: Header=BB19_7 Depth=2
	s_or_b32 exec_lo, exec_lo, s10
.LBB19_19:                              ;   in Loop: Header=BB19_7 Depth=2
	s_or_b32 exec_lo, exec_lo, s9
	v_cmp_eq_u64_e64 s9, s[18:19], v[36:37]
	v_cmp_lt_i64_e64 s10, v[2:3], v[34:35]
                                        ; implicit-def: $vgpr2
	s_and_b32 s9, s46, s9
	s_or_b32 s10, s4, s10
	s_or_b32 s10, s10, s9
	s_nor_b32 s6, s6, s10
	s_and_saveexec_b32 s10, s6
	s_xor_b32 s6, exec_lo, s10
	s_cbranch_execz .LBB19_21
; %bb.20:                               ;   in Loop: Header=BB19_7 Depth=2
	global_load_dword v2, v[4:5], off offset:64
.LBB19_21:                              ;   in Loop: Header=BB19_7 Depth=2
	s_andn2_saveexec_b32 s6, s6
	s_cbranch_execz .LBB19_23
; %bb.22:                               ;   in Loop: Header=BB19_7 Depth=2
	s_waitcnt vmcnt(0)
	v_cndmask_b32_e64 v2, 0, 1.0, s9
.LBB19_23:                              ;   in Loop: Header=BB19_7 Depth=2
	s_or_b32 exec_lo, exec_lo, s6
	s_or_b32 s5, s4, s5
	s_waitcnt vmcnt(0)
	ds_write_b32 v43, v2 offset:2048
	s_or_b32 s5, s8, s5
	s_nor_b32 s5, s5, s27
	s_and_saveexec_b32 s6, s5
	s_xor_b32 s6, exec_lo, s6
	s_cbranch_execz .LBB19_25
; %bb.24:                               ;   in Loop: Header=BB19_7 Depth=2
	v_add_co_u32 v2, s5, v28, v26
	v_add_co_ci_u32_e64 v3, null, v29, v27, s5
	global_load_dword v2, v[2:3], off offset:64
	s_waitcnt vmcnt(0)
	ds_write_b32 v43, v2 offset:2112
.LBB19_25:                              ;   in Loop: Header=BB19_7 Depth=2
	s_andn2_saveexec_b32 s5, s6
	s_cbranch_execz .LBB19_31
; %bb.26:                               ;   in Loop: Header=BB19_7 Depth=2
	s_xor_b32 s6, s27, -1
	s_and_saveexec_b32 s8, s6
	s_xor_b32 s6, exec_lo, s8
; %bb.27:                               ;   in Loop: Header=BB19_7 Depth=2
	ds_write_b32 v43, v0 offset:2112
; %bb.28:                               ;   in Loop: Header=BB19_7 Depth=2
	s_andn2_saveexec_b32 s6, s6
; %bb.29:                               ;   in Loop: Header=BB19_7 Depth=2
	ds_write_b32 v43, v46 offset:2112
; %bb.30:                               ;   in Loop: Header=BB19_7 Depth=2
	s_or_b32 exec_lo, exec_lo, s6
.LBB19_31:                              ;   in Loop: Header=BB19_7 Depth=2
	s_or_b32 exec_lo, exec_lo, s5
	v_add_co_u32 v2, s5, v16, s18
	v_add_co_ci_u32_e64 v3, null, s19, v17, s5
	v_add_co_u32 v4, s6, v24, v40
	v_add_co_ci_u32_e64 v5, null, v25, v41, s6
	v_cmp_le_i64_e64 s5, s[34:35], v[2:3]
	v_mov_b32_e32 v6, 0
	s_nor_b32 s8, s5, s1
	s_and_saveexec_b32 s6, s8
	s_cbranch_execz .LBB19_33
; %bb.32:                               ;   in Loop: Header=BB19_7 Depth=2
	global_load_dword v6, v[4:5], off offset:-64
.LBB19_33:                              ;   in Loop: Header=BB19_7 Depth=2
	s_or_b32 exec_lo, exec_lo, s6
	s_nor_b32 s5, s5, s2
	s_waitcnt vmcnt(0)
	ds_write_b32 v45, v6
	s_and_saveexec_b32 s6, s5
	s_xor_b32 s5, exec_lo, s6
	s_cbranch_execz .LBB19_35
; %bb.34:                               ;   in Loop: Header=BB19_7 Depth=2
	global_load_dword v4, v[4:5], off
	s_waitcnt vmcnt(0)
	ds_write_b32 v45, v4 offset:64
.LBB19_35:                              ;   in Loop: Header=BB19_7 Depth=2
	s_andn2_saveexec_b32 s5, s5
; %bb.36:                               ;   in Loop: Header=BB19_7 Depth=2
	ds_write_b32 v45, v0 offset:64
; %bb.37:                               ;   in Loop: Header=BB19_7 Depth=2
	s_or_b32 exec_lo, exec_lo, s5
	v_cmp_le_i64_e64 s5, s[28:29], v[2:3]
	v_add_co_u32 v2, s6, v32, v40
	v_add_co_ci_u32_e64 v3, null, v33, v41, s6
	v_mov_b32_e32 v4, 0
	s_nor_b32 s8, s5, s1
	s_and_saveexec_b32 s6, s8
	s_cbranch_execz .LBB19_39
; %bb.38:                               ;   in Loop: Header=BB19_7 Depth=2
	global_load_dword v4, v[2:3], off
.LBB19_39:                              ;   in Loop: Header=BB19_7 Depth=2
	s_or_b32 exec_lo, exec_lo, s6
	s_nor_b32 s5, s5, s2
	s_waitcnt vmcnt(0)
	ds_write_b32 v45, v4 offset:2048
	s_and_saveexec_b32 s6, s5
	s_xor_b32 s5, exec_lo, s6
	s_cbranch_execz .LBB19_41
; %bb.40:                               ;   in Loop: Header=BB19_7 Depth=2
	global_load_dword v2, v[2:3], off offset:64
	s_waitcnt vmcnt(0)
	ds_write_b32 v45, v2 offset:2112
.LBB19_41:                              ;   in Loop: Header=BB19_7 Depth=2
	s_andn2_saveexec_b32 s5, s5
	s_cbranch_execz .LBB19_6
; %bb.42:                               ;   in Loop: Header=BB19_7 Depth=2
	ds_write_b32 v45, v0 offset:2112
	s_branch .LBB19_6
.LBB19_43:                              ;   in Loop: Header=BB19_4 Depth=1
	v_mul_lo_u32 v4, s41, v20
	v_mul_lo_u32 v5, s40, v21
	v_mad_u64_u32 v[2:3], null, s40, v20, 0
	v_cmp_gt_i32_e64 s3, s30, v20
	v_add3_u32 v3, v3, v5, v4
	v_lshlrev_b64 v[2:3], 2, v[2:3]
	v_add_co_u32 v2, s4, s44, v2
	v_add_co_ci_u32_e64 v3, null, s45, v3, s4
	s_and_b32 s4, vcc_lo, s3
	s_and_saveexec_b32 s5, s4
	s_cbranch_execz .LBB19_45
; %bb.44:                               ;   in Loop: Header=BB19_4 Depth=1
	v_add_co_u32 v4, s4, v2, v14
	v_add_co_ci_u32_e64 v5, null, v3, v15, s4
	global_load_dword v6, v[4:5], off
	s_waitcnt vmcnt(0)
	v_fmac_f32_e32 v6, s31, v53
	global_store_dword v[4:5], v6, off
.LBB19_45:                              ;   in Loop: Header=BB19_4 Depth=1
	s_or_b32 exec_lo, exec_lo, s5
	s_and_b32 s3, s0, s3
	s_and_saveexec_b32 s4, s3
	s_cbranch_execz .LBB19_47
; %bb.46:                               ;   in Loop: Header=BB19_4 Depth=1
	v_lshlrev_b64 v[4:5], 2, v[10:11]
	v_add_co_u32 v2, s3, v2, v4
	v_add_co_ci_u32_e64 v3, null, v3, v5, s3
	global_load_dword v4, v[2:3], off
	s_waitcnt vmcnt(0)
	v_fmac_f32_e32 v4, s31, v52
	global_store_dword v[2:3], v4, off
.LBB19_47:                              ;   in Loop: Header=BB19_4 Depth=1
	s_or_b32 exec_lo, exec_lo, s4
	v_add_nc_u32_e32 v4, 16, v20
	v_ashrrev_i32_e32 v5, 31, v4
	v_mul_lo_u32 v6, s41, v4
	v_mad_u64_u32 v[2:3], null, s40, v4, 0
	v_cmp_gt_i32_e64 s3, s30, v4
	v_mul_lo_u32 v5, s40, v5
	v_add3_u32 v3, v3, v5, v6
	v_lshlrev_b64 v[2:3], 2, v[2:3]
	v_add_co_u32 v2, s4, s44, v2
	v_add_co_ci_u32_e64 v3, null, s45, v3, s4
	s_and_b32 s4, vcc_lo, s3
	s_and_saveexec_b32 s5, s4
	s_cbranch_execz .LBB19_49
; %bb.48:                               ;   in Loop: Header=BB19_4 Depth=1
	v_add_co_u32 v4, s4, v2, v14
	v_add_co_ci_u32_e64 v5, null, v3, v15, s4
	global_load_dword v6, v[4:5], off
	s_waitcnt vmcnt(0)
	v_fmac_f32_e32 v6, s31, v51
	global_store_dword v[4:5], v6, off
.LBB19_49:                              ;   in Loop: Header=BB19_4 Depth=1
	s_or_b32 exec_lo, exec_lo, s5
	s_and_b32 s3, s0, s3
	s_and_saveexec_b32 s4, s3
	s_cbranch_execz .LBB19_3
; %bb.50:                               ;   in Loop: Header=BB19_4 Depth=1
	v_lshlrev_b64 v[4:5], 2, v[10:11]
	v_add_co_u32 v2, s3, v2, v4
	v_add_co_ci_u32_e64 v3, null, v3, v5, s3
	global_load_dword v4, v[2:3], off
	s_waitcnt vmcnt(0)
	v_fmac_f32_e32 v4, s31, v50
	global_store_dword v[2:3], v4, off
	s_branch .LBB19_3
.LBB19_51:
	s_endpgm
	.section	.rodata,"a",@progbits
	.p2align	6, 0x0
	.amdhsa_kernel _ZL30rocblas_trmm_outofplace_kernelIfLi32ELi2ELb0ELb1ELb1ELb0EfKffEv17rocblas_diagonal_iiT6_lPT7_lllS4_lllPT8_llli
		.amdhsa_group_segment_fixed_size 8192
		.amdhsa_private_segment_fixed_size 0
		.amdhsa_kernarg_size 384
		.amdhsa_user_sgpr_count 6
		.amdhsa_user_sgpr_private_segment_buffer 1
		.amdhsa_user_sgpr_dispatch_ptr 0
		.amdhsa_user_sgpr_queue_ptr 0
		.amdhsa_user_sgpr_kernarg_segment_ptr 1
		.amdhsa_user_sgpr_dispatch_id 0
		.amdhsa_user_sgpr_flat_scratch_init 0
		.amdhsa_user_sgpr_private_segment_size 0
		.amdhsa_wavefront_size32 1
		.amdhsa_uses_dynamic_stack 0
		.amdhsa_system_sgpr_private_segment_wavefront_offset 0
		.amdhsa_system_sgpr_workgroup_id_x 1
		.amdhsa_system_sgpr_workgroup_id_y 1
		.amdhsa_system_sgpr_workgroup_id_z 1
		.amdhsa_system_sgpr_workgroup_info 0
		.amdhsa_system_vgpr_workitem_id 1
		.amdhsa_next_free_vgpr 68
		.amdhsa_next_free_sgpr 49
		.amdhsa_reserve_vcc 1
		.amdhsa_reserve_flat_scratch 0
		.amdhsa_float_round_mode_32 0
		.amdhsa_float_round_mode_16_64 0
		.amdhsa_float_denorm_mode_32 3
		.amdhsa_float_denorm_mode_16_64 3
		.amdhsa_dx10_clamp 1
		.amdhsa_ieee_mode 1
		.amdhsa_fp16_overflow 0
		.amdhsa_workgroup_processor_mode 1
		.amdhsa_memory_ordered 1
		.amdhsa_forward_progress 1
		.amdhsa_shared_vgpr_count 0
		.amdhsa_exception_fp_ieee_invalid_op 0
		.amdhsa_exception_fp_denorm_src 0
		.amdhsa_exception_fp_ieee_div_zero 0
		.amdhsa_exception_fp_ieee_overflow 0
		.amdhsa_exception_fp_ieee_underflow 0
		.amdhsa_exception_fp_ieee_inexact 0
		.amdhsa_exception_int_div_zero 0
	.end_amdhsa_kernel
	.section	.text._ZL30rocblas_trmm_outofplace_kernelIfLi32ELi2ELb0ELb1ELb1ELb0EfKffEv17rocblas_diagonal_iiT6_lPT7_lllS4_lllPT8_llli,"axG",@progbits,_ZL30rocblas_trmm_outofplace_kernelIfLi32ELi2ELb0ELb1ELb1ELb0EfKffEv17rocblas_diagonal_iiT6_lPT7_lllS4_lllPT8_llli,comdat
.Lfunc_end19:
	.size	_ZL30rocblas_trmm_outofplace_kernelIfLi32ELi2ELb0ELb1ELb1ELb0EfKffEv17rocblas_diagonal_iiT6_lPT7_lllS4_lllPT8_llli, .Lfunc_end19-_ZL30rocblas_trmm_outofplace_kernelIfLi32ELi2ELb0ELb1ELb1ELb0EfKffEv17rocblas_diagonal_iiT6_lPT7_lllS4_lllPT8_llli
                                        ; -- End function
	.set _ZL30rocblas_trmm_outofplace_kernelIfLi32ELi2ELb0ELb1ELb1ELb0EfKffEv17rocblas_diagonal_iiT6_lPT7_lllS4_lllPT8_llli.num_vgpr, 68
	.set _ZL30rocblas_trmm_outofplace_kernelIfLi32ELi2ELb0ELb1ELb1ELb0EfKffEv17rocblas_diagonal_iiT6_lPT7_lllS4_lllPT8_llli.num_agpr, 0
	.set _ZL30rocblas_trmm_outofplace_kernelIfLi32ELi2ELb0ELb1ELb1ELb0EfKffEv17rocblas_diagonal_iiT6_lPT7_lllS4_lllPT8_llli.numbered_sgpr, 49
	.set _ZL30rocblas_trmm_outofplace_kernelIfLi32ELi2ELb0ELb1ELb1ELb0EfKffEv17rocblas_diagonal_iiT6_lPT7_lllS4_lllPT8_llli.num_named_barrier, 0
	.set _ZL30rocblas_trmm_outofplace_kernelIfLi32ELi2ELb0ELb1ELb1ELb0EfKffEv17rocblas_diagonal_iiT6_lPT7_lllS4_lllPT8_llli.private_seg_size, 0
	.set _ZL30rocblas_trmm_outofplace_kernelIfLi32ELi2ELb0ELb1ELb1ELb0EfKffEv17rocblas_diagonal_iiT6_lPT7_lllS4_lllPT8_llli.uses_vcc, 1
	.set _ZL30rocblas_trmm_outofplace_kernelIfLi32ELi2ELb0ELb1ELb1ELb0EfKffEv17rocblas_diagonal_iiT6_lPT7_lllS4_lllPT8_llli.uses_flat_scratch, 0
	.set _ZL30rocblas_trmm_outofplace_kernelIfLi32ELi2ELb0ELb1ELb1ELb0EfKffEv17rocblas_diagonal_iiT6_lPT7_lllS4_lllPT8_llli.has_dyn_sized_stack, 0
	.set _ZL30rocblas_trmm_outofplace_kernelIfLi32ELi2ELb0ELb1ELb1ELb0EfKffEv17rocblas_diagonal_iiT6_lPT7_lllS4_lllPT8_llli.has_recursion, 0
	.set _ZL30rocblas_trmm_outofplace_kernelIfLi32ELi2ELb0ELb1ELb1ELb0EfKffEv17rocblas_diagonal_iiT6_lPT7_lllS4_lllPT8_llli.has_indirect_call, 0
	.section	.AMDGPU.csdata,"",@progbits
; Kernel info:
; codeLenInByte = 3024
; TotalNumSgprs: 51
; NumVgprs: 68
; ScratchSize: 0
; MemoryBound: 0
; FloatMode: 240
; IeeeMode: 1
; LDSByteSize: 8192 bytes/workgroup (compile time only)
; SGPRBlocks: 0
; VGPRBlocks: 8
; NumSGPRsForWavesPerEU: 51
; NumVGPRsForWavesPerEU: 68
; Occupancy: 12
; WaveLimiterHint : 0
; COMPUTE_PGM_RSRC2:SCRATCH_EN: 0
; COMPUTE_PGM_RSRC2:USER_SGPR: 6
; COMPUTE_PGM_RSRC2:TRAP_HANDLER: 0
; COMPUTE_PGM_RSRC2:TGID_X_EN: 1
; COMPUTE_PGM_RSRC2:TGID_Y_EN: 1
; COMPUTE_PGM_RSRC2:TGID_Z_EN: 1
; COMPUTE_PGM_RSRC2:TIDIG_COMP_CNT: 1
	.section	.text._ZL30rocblas_trmm_outofplace_kernelIfLi32ELi2ELb0ELb0ELb1ELb1EPKfS0_fEv17rocblas_diagonal_iiT6_lPT7_lllS5_lllPT8_llli,"axG",@progbits,_ZL30rocblas_trmm_outofplace_kernelIfLi32ELi2ELb0ELb0ELb1ELb1EPKfS0_fEv17rocblas_diagonal_iiT6_lPT7_lllS5_lllPT8_llli,comdat
	.globl	_ZL30rocblas_trmm_outofplace_kernelIfLi32ELi2ELb0ELb0ELb1ELb1EPKfS0_fEv17rocblas_diagonal_iiT6_lPT7_lllS5_lllPT8_llli ; -- Begin function _ZL30rocblas_trmm_outofplace_kernelIfLi32ELi2ELb0ELb0ELb1ELb1EPKfS0_fEv17rocblas_diagonal_iiT6_lPT7_lllS5_lllPT8_llli
	.p2align	8
	.type	_ZL30rocblas_trmm_outofplace_kernelIfLi32ELi2ELb0ELb0ELb1ELb1EPKfS0_fEv17rocblas_diagonal_iiT6_lPT7_lllS5_lllPT8_llli,@function
_ZL30rocblas_trmm_outofplace_kernelIfLi32ELi2ELb0ELb0ELb1ELb1EPKfS0_fEv17rocblas_diagonal_iiT6_lPT7_lllS5_lllPT8_llli: ; @_ZL30rocblas_trmm_outofplace_kernelIfLi32ELi2ELb0ELb0ELb1ELb1EPKfS0_fEv17rocblas_diagonal_iiT6_lPT7_lllS5_lllPT8_llli
; %bb.0:
	s_load_dwordx16 s[12:27], s[4:5], 0x10
	s_waitcnt lgkmcnt(0)
	s_mul_i32 s0, s15, s8
	s_mul_hi_u32 s1, s14, s8
	s_add_i32 s1, s1, s0
	s_mul_i32 s0, s14, s8
	s_lshl_b64 s[0:1], s[0:1], 2
	s_add_u32 s0, s12, s0
	s_addc_u32 s1, s13, s1
	s_load_dword s11, s[0:1], 0x0
	s_waitcnt lgkmcnt(0)
	v_cmp_eq_f32_e64 s0, s11, 0
	s_and_b32 vcc_lo, exec_lo, s0
	s_cbranch_vccnz .LBB20_51
; %bb.1:
	s_load_dwordx4 s[12:15], s[4:5], 0x0
	s_waitcnt lgkmcnt(0)
	s_add_i32 s0, s14, -1
	s_ashr_i32 s1, s0, 31
	s_lshr_b32 s1, s1, 27
	s_add_i32 s0, s0, s1
	s_ashr_i32 s33, s0, 5
	s_cmp_gt_i32 s7, s33
	s_cbranch_scc1 .LBB20_51
; %bb.2:
	s_clause 0x1
	s_load_dwordx8 s[36:43], s[4:5], 0x50
	s_load_dwordx4 s[28:31], s[4:5], 0x70
	s_mul_i32 s1, s23, s8
	s_mul_hi_u32 s2, s22, s8
	v_mad_u64_u32 v[2:3], null, s20, v0, 0
	s_mul_i32 s0, s22, s8
	s_add_i32 s1, s2, s1
	s_load_dword s34, s[4:5], 0x8c
	s_lshl_b64 s[0:1], s[0:1], 2
	v_lshlrev_b32_e32 v16, 2, v0
	s_add_u32 s9, s16, s0
	s_addc_u32 s10, s17, s1
	s_lshl_b64 s[2:3], s[18:19], 2
	v_mad_u64_u32 v[3:4], null, s21, v0, v[3:4]
	s_add_u32 s15, s9, s2
	s_addc_u32 s10, s10, s3
	v_lshl_add_u32 v4, s6, 5, v0
	v_lshlrev_b32_e32 v42, 7, v1
	s_waitcnt lgkmcnt(0)
	s_mul_i32 s5, s39, s8
	s_mul_hi_u32 s9, s38, s8
	s_mul_i32 s4, s38, s8
	s_add_i32 s5, s9, s5
	v_lshlrev_b64 v[2:3], 2, v[2:3]
	s_lshl_b64 s[4:5], s[4:5], 2
	s_mul_i32 s9, s31, s8
	s_add_u32 s19, s24, s4
	s_addc_u32 s22, s25, s5
	s_lshl_b64 s[4:5], s[26:27], 2
	s_mul_hi_u32 s18, s30, s8
	v_ashrrev_i32_e32 v5, 31, v4
	s_add_u32 s19, s19, s4
	s_mul_i32 s8, s30, s8
	s_addc_u32 s22, s22, s5
	s_add_i32 s9, s18, s9
	v_lshlrev_b64 v[10:11], 2, v[4:5]
	s_lshl_b64 s[4:5], s[8:9], 2
	v_add_co_u32 v12, vcc_lo, s15, v2
	s_add_u32 s6, s40, s4
	s_addc_u32 s8, s41, s5
	s_lshl_b64 s[4:5], s[42:43], 2
	v_add_co_ci_u32_e64 v13, null, s10, v3, vcc_lo
	v_mad_u64_u32 v[2:3], null, s36, v1, 0
	s_add_u32 s26, s6, s4
	s_addc_u32 s27, s8, s5
	s_cmpk_eq_i32 s12, 0x84
	v_add_co_u32 v14, vcc_lo, s19, v10
	v_add_co_ci_u32_e64 v15, null, s22, v11, vcc_lo
	s_cselect_b32 s30, -1, 0
	s_ashr_i32 s15, s14, 31
	s_ashr_i32 s4, s13, 31
	s_lshl_b64 s[18:19], s[20:21], 7
	s_lshl_b64 s[22:23], s[36:37], 7
	s_add_u32 s24, s14, -16
	s_addc_u32 s25, s15, -1
	s_lshl_b32 s31, s34, 5
	v_mad_u64_u32 v[8:9], null, s37, v1, v[3:4]
	v_add_nc_u32_e32 v9, 64, v16
	s_add_u32 s2, s16, s2
	s_addc_u32 s3, s17, s3
	s_add_u32 s0, s2, s0
	s_addc_u32 s1, s3, s1
	v_add_nc_u32_e32 v43, v42, v16
	v_or_b32_e32 v44, 0x1000, v16
	v_mad_u64_u32 v[16:17], null, s20, v9, s[0:1]
	v_lshl_add_u32 v20, v1, 2, 64
	v_sub_co_u32 v6, vcc_lo, s13, v4
	v_sub_co_ci_u32_e64 v7, null, s4, v5, vcc_lo
	v_add_nc_u32_e32 v5, 16, v4
	v_mad_u64_u32 v[18:19], null, s36, v20, 0
	v_cmp_gt_i32_e64 s1, s13, v4
	v_mov_b32_e32 v4, v17
	v_mov_b32_e32 v3, v8
	v_cmp_gt_i64_e32 vcc_lo, 1, v[6:7]
	v_cmp_gt_i64_e64 s0, 17, v[6:7]
	v_ashrrev_i32_e32 v6, 31, v5
	v_mad_u64_u32 v[8:9], null, s21, v9, v[4:5]
	v_mov_b32_e32 v7, v19
	v_lshlrev_b64 v[2:3], 2, v[2:3]
	v_sub_co_u32 v46, s3, 0, v0
	v_sub_co_ci_u32_e64 v47, null, 0, 0, s3
	v_mad_u64_u32 v[20:21], null, s37, v20, v[7:8]
	v_add_co_u32 v48, s3, v2, 64
	v_lshlrev_b64 v[21:22], 2, v[5:6]
	v_mov_b32_e32 v41, 0
	v_add_nc_u32_e32 v45, v44, v42
	v_cmp_gt_i32_e64 s2, s13, v5
	v_lshl_add_u32 v19, s7, 5, v1
	v_add_co_ci_u32_e64 v49, null, 0, v3, s3
	v_mov_b32_e32 v17, v8
	v_mov_b32_e32 v50, v20
	v_mov_b32_e32 v51, 1.0
	v_add_nc_u32_e32 v52, 0x400, v44
	v_add_nc_u32_e32 v53, 0x800, v44
	;; [unrolled: 1-line block ×3, first 2 shown]
	s_branch .LBB20_4
.LBB20_3:                               ;   in Loop: Header=BB20_4 Depth=1
	s_or_b32 exec_lo, exec_lo, s4
	v_add_nc_u32_e32 v19, s31, v19
	s_add_i32 s7, s34, s7
	s_cmp_le_i32 s7, s33
	s_cbranch_scc0 .LBB20_51
.LBB20_4:                               ; =>This Loop Header: Depth=1
                                        ;     Child Loop BB20_7 Depth 2
	s_lshl_b32 s16, s7, 5
	v_mov_b32_e32 v57, 0
	v_add_nc_u32_e32 v23, s16, v1
	v_mov_b32_e32 v56, 0
	v_mov_b32_e32 v55, 0
	;; [unrolled: 1-line block ×3, first 2 shown]
	s_cmp_lt_i32 s7, 0
	v_ashrrev_i32_e32 v24, 31, v23
	s_cbranch_scc1 .LBB20_43
; %bb.5:                                ;   in Loop: Header=BB20_4 Depth=1
	v_ashrrev_i32_e32 v20, 31, v19
	v_add_co_u32 v25, s3, v23, 16
	v_add_co_ci_u32_e64 v26, null, 0, v24, s3
	v_add_co_u32 v27, s3, v46, v19
	v_add_co_ci_u32_e64 v28, null, v47, v20, s3
	v_lshlrev_b64 v[29:30], 2, v[19:20]
	v_add_co_u32 v31, s5, v27, 16
	v_add_co_ci_u32_e64 v32, null, 0, v28, s5
	v_add_co_u32 v33, s5, v27, -16
	v_cmp_le_i64_e64 s4, s[14:15], v[25:26]
	v_mov_b32_e32 v36, v13
	v_mov_b32_e32 v38, v17
	;; [unrolled: 1-line block ×3, first 2 shown]
	v_cmp_le_i32_e64 s3, s14, v23
	v_add_co_ci_u32_e64 v34, null, -1, v28, s5
	v_mov_b32_e32 v20, 0
	v_mov_b32_e32 v35, v12
	;; [unrolled: 1-line block ×7, first 2 shown]
	s_mov_b64 s[12:13], 0
	s_branch .LBB20_7
.LBB20_6:                               ;   in Loop: Header=BB20_7 Depth=2
	s_or_b32 exec_lo, exec_lo, s5
	s_waitcnt lgkmcnt(0)
	s_barrier
	buffer_gl0_inv
	ds_read_b128 v[58:61], v42
	ds_read_b128 v[62:65], v42 offset:16
	ds_read_b128 v[6:9], v42 offset:32
	;; [unrolled: 1-line block ×3, first 2 shown]
	ds_read2_b32 v[70:71], v44 offset1:16
	ds_read_b128 v[66:69], v42 offset:2048
	v_add_co_u32 v39, s5, v39, s22
	v_add_co_ci_u32_e64 v40, null, s23, v40, s5
	v_add_co_u32 v37, s5, v37, s18
	v_add_co_ci_u32_e64 v38, null, s19, v38, s5
	v_add_co_u32 v35, s5, v35, s18
	s_add_u32 s12, s12, 32
	v_add_co_ci_u32_e64 v36, null, s19, v36, s5
	s_addc_u32 s13, s13, 0
	s_sub_i32 s6, s12, 32
	s_cmp_ge_i32 s6, s16
	s_waitcnt lgkmcnt(1)
	v_fmac_f32_e32 v57, v70, v58
	v_fmac_f32_e32 v56, v71, v58
	s_waitcnt lgkmcnt(0)
	v_fmac_f32_e32 v55, v70, v66
	v_fmac_f32_e32 v20, v71, v66
	ds_read2_b32 v[70:71], v44 offset0:32 offset1:48
	s_waitcnt lgkmcnt(0)
	v_fmac_f32_e32 v57, v70, v59
	v_fmac_f32_e32 v56, v71, v59
	ds_read2_b32 v[58:59], v44 offset0:64 offset1:80
	v_fmac_f32_e32 v55, v70, v67
	v_fmac_f32_e32 v20, v71, v67
	ds_read2_b32 v[66:67], v44 offset0:128 offset1:144
	s_waitcnt lgkmcnt(1)
	v_fmac_f32_e32 v57, v58, v60
	v_fmac_f32_e32 v56, v59, v60
	;; [unrolled: 1-line block ×4, first 2 shown]
	ds_read2_b32 v[58:59], v44 offset0:96 offset1:112
	s_waitcnt lgkmcnt(0)
	v_fmac_f32_e32 v57, v58, v61
	v_fmac_f32_e32 v56, v59, v61
	;; [unrolled: 1-line block ×4, first 2 shown]
	ds_read_b128 v[58:61], v42 offset:2064
	v_fmac_f32_e32 v57, v66, v62
	v_fmac_f32_e32 v56, v67, v62
	s_waitcnt lgkmcnt(0)
	v_fmac_f32_e32 v55, v66, v58
	v_fmac_f32_e32 v20, v67, v58
	ds_read2_b32 v[66:67], v44 offset0:160 offset1:176
	s_waitcnt lgkmcnt(0)
	v_fmac_f32_e32 v55, v66, v59
	v_fmac_f32_e32 v20, v67, v59
	ds_read2_b32 v[58:59], v44 offset0:192 offset1:208
	v_fmac_f32_e32 v57, v66, v63
	v_fmac_f32_e32 v56, v67, v63
	ds_read2_b32 v[62:63], v52 offset1:16
	s_waitcnt lgkmcnt(1)
	v_fmac_f32_e32 v57, v58, v64
	v_fmac_f32_e32 v56, v59, v64
	;; [unrolled: 1-line block ×4, first 2 shown]
	ds_read2_b32 v[58:59], v44 offset0:224 offset1:240
	s_waitcnt lgkmcnt(0)
	v_fmac_f32_e32 v57, v58, v65
	v_fmac_f32_e32 v56, v59, v65
	;; [unrolled: 1-line block ×4, first 2 shown]
	ds_read_b128 v[58:61], v42 offset:2080
	v_fmac_f32_e32 v57, v62, v6
	v_fmac_f32_e32 v56, v63, v6
	s_waitcnt lgkmcnt(0)
	v_fmac_f32_e32 v55, v62, v58
	v_fmac_f32_e32 v20, v63, v58
	ds_read2_b32 v[62:63], v52 offset0:32 offset1:48
	s_waitcnt lgkmcnt(0)
	v_fmac_f32_e32 v57, v62, v7
	v_fmac_f32_e32 v56, v63, v7
	ds_read2_b32 v[6:7], v52 offset0:64 offset1:80
	v_fmac_f32_e32 v55, v62, v59
	v_fmac_f32_e32 v20, v63, v59
	ds_read2_b32 v[58:59], v52 offset0:128 offset1:144
	s_waitcnt lgkmcnt(1)
	v_fmac_f32_e32 v57, v6, v8
	v_fmac_f32_e32 v56, v7, v8
	;; [unrolled: 1-line block ×4, first 2 shown]
	ds_read2_b32 v[6:7], v52 offset0:96 offset1:112
	s_waitcnt lgkmcnt(0)
	v_fmac_f32_e32 v57, v6, v9
	v_fmac_f32_e32 v56, v7, v9
	;; [unrolled: 1-line block ×4, first 2 shown]
	ds_read_b128 v[6:9], v42 offset:2096
	v_fmac_f32_e32 v57, v58, v2
	v_fmac_f32_e32 v56, v59, v2
	s_waitcnt lgkmcnt(0)
	v_fmac_f32_e32 v55, v58, v6
	v_fmac_f32_e32 v20, v59, v6
	ds_read2_b32 v[58:59], v52 offset0:160 offset1:176
	s_waitcnt lgkmcnt(0)
	v_fmac_f32_e32 v57, v58, v3
	v_fmac_f32_e32 v56, v59, v3
	ds_read2_b32 v[2:3], v52 offset0:192 offset1:208
	v_fmac_f32_e32 v55, v58, v7
	v_fmac_f32_e32 v20, v59, v7
	s_waitcnt lgkmcnt(0)
	v_fmac_f32_e32 v57, v2, v4
	v_fmac_f32_e32 v56, v3, v4
	;; [unrolled: 1-line block ×4, first 2 shown]
	ds_read2_b32 v[2:3], v52 offset0:224 offset1:240
	s_waitcnt lgkmcnt(0)
	v_fmac_f32_e32 v57, v2, v5
	v_fmac_f32_e32 v56, v3, v5
	;; [unrolled: 1-line block ×4, first 2 shown]
	ds_read_b128 v[2:5], v42 offset:64
	ds_read2_b32 v[58:59], v53 offset1:16
	ds_read_b128 v[6:9], v42 offset:2112
	s_waitcnt lgkmcnt(1)
	v_fmac_f32_e32 v57, v58, v2
	v_fmac_f32_e32 v56, v59, v2
	s_waitcnt lgkmcnt(0)
	v_fmac_f32_e32 v55, v58, v6
	v_fmac_f32_e32 v20, v59, v6
	ds_read2_b32 v[58:59], v53 offset0:32 offset1:48
	s_waitcnt lgkmcnt(0)
	v_fmac_f32_e32 v57, v58, v3
	v_fmac_f32_e32 v56, v59, v3
	ds_read2_b32 v[2:3], v53 offset0:64 offset1:80
	v_fmac_f32_e32 v55, v58, v7
	v_fmac_f32_e32 v20, v59, v7
	s_waitcnt lgkmcnt(0)
	v_fmac_f32_e32 v57, v2, v4
	v_fmac_f32_e32 v56, v3, v4
	;; [unrolled: 1-line block ×4, first 2 shown]
	ds_read2_b32 v[2:3], v53 offset0:96 offset1:112
	s_waitcnt lgkmcnt(0)
	v_fmac_f32_e32 v57, v2, v5
	v_fmac_f32_e32 v56, v3, v5
	;; [unrolled: 1-line block ×4, first 2 shown]
	ds_read_b128 v[2:5], v42 offset:80
	ds_read2_b32 v[58:59], v53 offset0:128 offset1:144
	ds_read_b128 v[6:9], v42 offset:2128
	s_waitcnt lgkmcnt(1)
	v_fmac_f32_e32 v57, v58, v2
	v_fmac_f32_e32 v56, v59, v2
	s_waitcnt lgkmcnt(0)
	v_fmac_f32_e32 v55, v58, v6
	v_fmac_f32_e32 v20, v59, v6
	ds_read2_b32 v[58:59], v53 offset0:160 offset1:176
	s_waitcnt lgkmcnt(0)
	v_fmac_f32_e32 v57, v58, v3
	v_fmac_f32_e32 v56, v59, v3
	ds_read2_b32 v[2:3], v53 offset0:192 offset1:208
	v_fmac_f32_e32 v55, v58, v7
	v_fmac_f32_e32 v20, v59, v7
	s_waitcnt lgkmcnt(0)
	v_fmac_f32_e32 v57, v2, v4
	v_fmac_f32_e32 v56, v3, v4
	v_fmac_f32_e32 v55, v2, v8
	v_fmac_f32_e32 v20, v3, v8
	ds_read2_b32 v[2:3], v53 offset0:224 offset1:240
	s_waitcnt lgkmcnt(0)
	v_fmac_f32_e32 v57, v2, v5
	v_fmac_f32_e32 v56, v3, v5
	;; [unrolled: 1-line block ×4, first 2 shown]
	ds_read_b128 v[2:5], v42 offset:96
	ds_read2_b32 v[58:59], v54 offset1:16
	ds_read_b128 v[6:9], v42 offset:2144
	s_waitcnt lgkmcnt(1)
	v_fmac_f32_e32 v57, v58, v2
	v_fmac_f32_e32 v56, v59, v2
	s_waitcnt lgkmcnt(0)
	v_fmac_f32_e32 v55, v58, v6
	v_fmac_f32_e32 v20, v59, v6
	ds_read2_b32 v[58:59], v54 offset0:32 offset1:48
	s_waitcnt lgkmcnt(0)
	v_fmac_f32_e32 v57, v58, v3
	v_fmac_f32_e32 v56, v59, v3
	ds_read2_b32 v[2:3], v54 offset0:64 offset1:80
	v_fmac_f32_e32 v55, v58, v7
	v_fmac_f32_e32 v20, v59, v7
	s_waitcnt lgkmcnt(0)
	v_fmac_f32_e32 v57, v2, v4
	v_fmac_f32_e32 v56, v3, v4
	;; [unrolled: 1-line block ×4, first 2 shown]
	ds_read2_b32 v[2:3], v54 offset0:96 offset1:112
	s_waitcnt lgkmcnt(0)
	v_fmac_f32_e32 v57, v2, v5
	v_fmac_f32_e32 v56, v3, v5
	;; [unrolled: 1-line block ×4, first 2 shown]
	ds_read_b128 v[2:5], v42 offset:112
	ds_read2_b32 v[58:59], v54 offset0:128 offset1:144
	ds_read_b128 v[6:9], v42 offset:2160
	s_waitcnt lgkmcnt(1)
	v_fmac_f32_e32 v57, v58, v2
	v_fmac_f32_e32 v56, v59, v2
	s_waitcnt lgkmcnt(0)
	v_fmac_f32_e32 v55, v58, v6
	v_fmac_f32_e32 v20, v59, v6
	ds_read2_b32 v[58:59], v54 offset0:160 offset1:176
	s_waitcnt lgkmcnt(0)
	v_fmac_f32_e32 v57, v58, v3
	v_fmac_f32_e32 v56, v59, v3
	ds_read2_b32 v[2:3], v54 offset0:192 offset1:208
	v_fmac_f32_e32 v55, v58, v7
	v_fmac_f32_e32 v20, v59, v7
	s_waitcnt lgkmcnt(0)
	v_fmac_f32_e32 v57, v2, v4
	v_fmac_f32_e32 v56, v3, v4
	;; [unrolled: 1-line block ×4, first 2 shown]
	ds_read2_b32 v[2:3], v54 offset0:224 offset1:240
	s_waitcnt lgkmcnt(0)
	s_barrier
	buffer_gl0_inv
	v_fmac_f32_e32 v57, v2, v5
	v_fmac_f32_e32 v56, v3, v5
	;; [unrolled: 1-line block ×4, first 2 shown]
	s_cbranch_scc1 .LBB20_43
.LBB20_7:                               ;   Parent Loop BB20_4 Depth=1
                                        ; =>  This Inner Loop Header: Depth=2
	v_add_co_u32 v2, s5, v0, s12
	v_add_co_ci_u32_e64 v3, null, 0, s13, s5
	v_cmp_eq_u64_e64 s8, s[12:13], v[27:28]
                                        ; implicit-def: $vgpr6
	v_cmp_gt_i64_e64 s5, v[2:3], v[23:24]
	v_cmp_le_i64_e64 s6, s[14:15], v[2:3]
	s_and_b32 s17, s30, s8
	v_add_co_u32 v4, s8, v35, v29
	s_or_b32 s9, s3, s5
	v_add_co_ci_u32_e64 v5, null, v36, v30, s8
	s_or_b32 s8, s9, s17
	s_nor_b32 s8, s6, s8
	s_and_saveexec_b32 s9, s8
	s_xor_b32 s8, exec_lo, s9
	s_cbranch_execz .LBB20_9
; %bb.8:                                ;   in Loop: Header=BB20_7 Depth=2
	global_load_dword v6, v[4:5], off
.LBB20_9:                               ;   in Loop: Header=BB20_7 Depth=2
	s_andn2_saveexec_b32 s8, s8
	s_cbranch_execz .LBB20_11
; %bb.10:                               ;   in Loop: Header=BB20_7 Depth=2
	s_waitcnt vmcnt(0)
	v_cndmask_b32_e64 v6, 0, 1.0, s17
.LBB20_11:                              ;   in Loop: Header=BB20_7 Depth=2
	s_or_b32 exec_lo, exec_lo, s8
	v_add_co_u32 v7, s8, v2, 16
	v_add_co_ci_u32_e64 v8, null, 0, v3, s8
	v_cmp_eq_u64_e64 s9, s[12:13], v[33:34]
	s_waitcnt vmcnt(0)
	ds_write_b32 v43, v6
	v_cmp_gt_i64_e64 s10, v[7:8], v[23:24]
	v_cmp_le_i64_e64 s8, s[14:15], v[7:8]
	s_and_b32 s20, s30, s9
	s_or_b32 s9, s3, s10
	s_or_b32 s9, s9, s20
	s_nor_b32 s9, s8, s9
	s_and_saveexec_b32 s10, s9
	s_xor_b32 s10, exec_lo, s10
	s_cbranch_execz .LBB20_13
; %bb.12:                               ;   in Loop: Header=BB20_7 Depth=2
	v_add_co_u32 v6, s9, v37, v29
	v_add_co_ci_u32_e64 v7, null, v38, v30, s9
	global_load_dword v6, v[6:7], off
	s_waitcnt vmcnt(0)
	ds_write_b32 v43, v6 offset:64
.LBB20_13:                              ;   in Loop: Header=BB20_7 Depth=2
	s_andn2_saveexec_b32 s9, s10
	s_cbranch_execz .LBB20_19
; %bb.14:                               ;   in Loop: Header=BB20_7 Depth=2
	s_xor_b32 s10, s20, -1
	s_and_saveexec_b32 s20, s10
	s_xor_b32 s10, exec_lo, s20
; %bb.15:                               ;   in Loop: Header=BB20_7 Depth=2
	ds_write_b32 v43, v41 offset:64
; %bb.16:                               ;   in Loop: Header=BB20_7 Depth=2
	s_andn2_saveexec_b32 s10, s10
; %bb.17:                               ;   in Loop: Header=BB20_7 Depth=2
	ds_write_b32 v43, v51 offset:64
; %bb.18:                               ;   in Loop: Header=BB20_7 Depth=2
	s_or_b32 exec_lo, exec_lo, s10
.LBB20_19:                              ;   in Loop: Header=BB20_7 Depth=2
	s_or_b32 exec_lo, exec_lo, s9
	v_cmp_eq_u64_e64 s9, s[12:13], v[31:32]
	v_cmp_gt_i64_e64 s10, v[2:3], v[25:26]
                                        ; implicit-def: $vgpr2
	s_and_b32 s9, s30, s9
	s_or_b32 s10, s4, s10
	s_or_b32 s10, s10, s9
	s_nor_b32 s6, s6, s10
	s_and_saveexec_b32 s10, s6
	s_xor_b32 s6, exec_lo, s10
	s_cbranch_execz .LBB20_21
; %bb.20:                               ;   in Loop: Header=BB20_7 Depth=2
	global_load_dword v2, v[4:5], off offset:64
.LBB20_21:                              ;   in Loop: Header=BB20_7 Depth=2
	s_andn2_saveexec_b32 s6, s6
	s_cbranch_execz .LBB20_23
; %bb.22:                               ;   in Loop: Header=BB20_7 Depth=2
	s_waitcnt vmcnt(0)
	v_cndmask_b32_e64 v2, 0, 1.0, s9
.LBB20_23:                              ;   in Loop: Header=BB20_7 Depth=2
	s_or_b32 exec_lo, exec_lo, s6
	s_or_b32 s5, s4, s5
	s_waitcnt vmcnt(0)
	ds_write_b32 v43, v2 offset:2048
	s_or_b32 s5, s5, s17
	s_nor_b32 s5, s8, s5
	s_and_saveexec_b32 s6, s5
	s_xor_b32 s6, exec_lo, s6
	s_cbranch_execz .LBB20_25
; %bb.24:                               ;   in Loop: Header=BB20_7 Depth=2
	v_add_co_u32 v2, s5, v37, v29
	v_add_co_ci_u32_e64 v3, null, v38, v30, s5
	global_load_dword v2, v[2:3], off offset:64
	s_waitcnt vmcnt(0)
	ds_write_b32 v43, v2 offset:2112
.LBB20_25:                              ;   in Loop: Header=BB20_7 Depth=2
	s_andn2_saveexec_b32 s5, s6
	s_cbranch_execz .LBB20_31
; %bb.26:                               ;   in Loop: Header=BB20_7 Depth=2
	s_xor_b32 s6, s17, -1
	s_and_saveexec_b32 s8, s6
	s_xor_b32 s6, exec_lo, s8
; %bb.27:                               ;   in Loop: Header=BB20_7 Depth=2
	ds_write_b32 v43, v41 offset:2112
; %bb.28:                               ;   in Loop: Header=BB20_7 Depth=2
	s_andn2_saveexec_b32 s6, s6
; %bb.29:                               ;   in Loop: Header=BB20_7 Depth=2
	ds_write_b32 v43, v51 offset:2112
; %bb.30:                               ;   in Loop: Header=BB20_7 Depth=2
	s_or_b32 exec_lo, exec_lo, s6
.LBB20_31:                              ;   in Loop: Header=BB20_7 Depth=2
	s_or_b32 exec_lo, exec_lo, s5
	v_add_co_u32 v2, s5, v1, s12
	v_add_co_ci_u32_e64 v3, null, 0, s13, s5
	v_add_co_u32 v4, s6, v39, v48
	v_add_co_ci_u32_e64 v5, null, v40, v49, s6
	v_cmp_le_i64_e64 s5, s[14:15], v[2:3]
	v_mov_b32_e32 v6, 0
	s_nor_b32 s8, s5, vcc_lo
	s_and_saveexec_b32 s6, s8
	s_cbranch_execz .LBB20_33
; %bb.32:                               ;   in Loop: Header=BB20_7 Depth=2
	global_load_dword v6, v[4:5], off offset:-64
.LBB20_33:                              ;   in Loop: Header=BB20_7 Depth=2
	s_or_b32 exec_lo, exec_lo, s6
	s_nor_b32 s5, s5, s0
	s_waitcnt vmcnt(0)
	ds_write_b32 v45, v6
	s_and_saveexec_b32 s6, s5
	s_xor_b32 s5, exec_lo, s6
	s_cbranch_execz .LBB20_35
; %bb.34:                               ;   in Loop: Header=BB20_7 Depth=2
	global_load_dword v4, v[4:5], off
	s_waitcnt vmcnt(0)
	ds_write_b32 v45, v4 offset:64
.LBB20_35:                              ;   in Loop: Header=BB20_7 Depth=2
	s_andn2_saveexec_b32 s5, s5
; %bb.36:                               ;   in Loop: Header=BB20_7 Depth=2
	ds_write_b32 v45, v41 offset:64
; %bb.37:                               ;   in Loop: Header=BB20_7 Depth=2
	s_or_b32 exec_lo, exec_lo, s5
	v_cmp_le_i64_e64 s5, s[24:25], v[2:3]
	v_add_co_u32 v2, s6, v39, v18
	v_add_co_ci_u32_e64 v3, null, v40, v50, s6
	v_mov_b32_e32 v4, 0
	s_nor_b32 s8, s5, vcc_lo
	s_and_saveexec_b32 s6, s8
	s_cbranch_execz .LBB20_39
; %bb.38:                               ;   in Loop: Header=BB20_7 Depth=2
	global_load_dword v4, v[2:3], off
.LBB20_39:                              ;   in Loop: Header=BB20_7 Depth=2
	s_or_b32 exec_lo, exec_lo, s6
	s_nor_b32 s5, s5, s0
	s_waitcnt vmcnt(0)
	ds_write_b32 v45, v4 offset:2048
	s_and_saveexec_b32 s6, s5
	s_xor_b32 s5, exec_lo, s6
	s_cbranch_execz .LBB20_41
; %bb.40:                               ;   in Loop: Header=BB20_7 Depth=2
	global_load_dword v2, v[2:3], off offset:64
	s_waitcnt vmcnt(0)
	ds_write_b32 v45, v2 offset:2112
.LBB20_41:                              ;   in Loop: Header=BB20_7 Depth=2
	s_andn2_saveexec_b32 s5, s5
	s_cbranch_execz .LBB20_6
; %bb.42:                               ;   in Loop: Header=BB20_7 Depth=2
	ds_write_b32 v45, v41 offset:2112
	s_branch .LBB20_6
.LBB20_43:                              ;   in Loop: Header=BB20_4 Depth=1
	v_mul_lo_u32 v4, s29, v23
	v_mul_lo_u32 v5, s28, v24
	v_mad_u64_u32 v[2:3], null, s28, v23, 0
	v_cmp_gt_i32_e64 s3, s14, v23
	v_add3_u32 v3, v3, v5, v4
	v_lshlrev_b64 v[2:3], 2, v[2:3]
	v_add_co_u32 v2, s4, s26, v2
	v_add_co_ci_u32_e64 v3, null, s27, v3, s4
	s_and_b32 s4, s1, s3
	s_and_saveexec_b32 s5, s4
	s_cbranch_execz .LBB20_45
; %bb.44:                               ;   in Loop: Header=BB20_4 Depth=1
	v_add_co_u32 v4, s4, v2, v10
	v_add_co_ci_u32_e64 v5, null, v3, v11, s4
	global_load_dword v6, v[4:5], off
	s_waitcnt vmcnt(0)
	v_fmac_f32_e32 v6, s11, v57
	global_store_dword v[4:5], v6, off
.LBB20_45:                              ;   in Loop: Header=BB20_4 Depth=1
	s_or_b32 exec_lo, exec_lo, s5
	s_and_b32 s3, s2, s3
	s_and_saveexec_b32 s4, s3
	s_cbranch_execz .LBB20_47
; %bb.46:                               ;   in Loop: Header=BB20_4 Depth=1
	v_add_co_u32 v2, s3, v2, v21
	v_add_co_ci_u32_e64 v3, null, v3, v22, s3
	global_load_dword v4, v[2:3], off
	s_waitcnt vmcnt(0)
	v_fmac_f32_e32 v4, s11, v56
	global_store_dword v[2:3], v4, off
.LBB20_47:                              ;   in Loop: Header=BB20_4 Depth=1
	s_or_b32 exec_lo, exec_lo, s4
	v_add_nc_u32_e32 v4, 16, v23
	v_ashrrev_i32_e32 v5, 31, v4
	v_mul_lo_u32 v6, s29, v4
	v_mad_u64_u32 v[2:3], null, s28, v4, 0
	v_cmp_gt_i32_e64 s3, s14, v4
	v_mul_lo_u32 v5, s28, v5
	v_add3_u32 v3, v3, v5, v6
	v_lshlrev_b64 v[2:3], 2, v[2:3]
	v_add_co_u32 v2, s4, s26, v2
	v_add_co_ci_u32_e64 v3, null, s27, v3, s4
	s_and_b32 s4, s1, s3
	s_and_saveexec_b32 s5, s4
	s_cbranch_execz .LBB20_49
; %bb.48:                               ;   in Loop: Header=BB20_4 Depth=1
	v_add_co_u32 v4, s4, v2, v10
	v_add_co_ci_u32_e64 v5, null, v3, v11, s4
	global_load_dword v6, v[4:5], off
	s_waitcnt vmcnt(0)
	v_fmac_f32_e32 v6, s11, v55
	global_store_dword v[4:5], v6, off
.LBB20_49:                              ;   in Loop: Header=BB20_4 Depth=1
	s_or_b32 exec_lo, exec_lo, s5
	s_and_b32 s3, s2, s3
	s_and_saveexec_b32 s4, s3
	s_cbranch_execz .LBB20_3
; %bb.50:                               ;   in Loop: Header=BB20_4 Depth=1
	v_add_co_u32 v2, s3, v2, v21
	v_add_co_ci_u32_e64 v3, null, v3, v22, s3
	global_load_dword v4, v[2:3], off
	s_waitcnt vmcnt(0)
	v_fmac_f32_e32 v4, s11, v20
	global_store_dword v[2:3], v4, off
	s_branch .LBB20_3
.LBB20_51:
	s_endpgm
	.section	.rodata,"a",@progbits
	.p2align	6, 0x0
	.amdhsa_kernel _ZL30rocblas_trmm_outofplace_kernelIfLi32ELi2ELb0ELb0ELb1ELb1EPKfS0_fEv17rocblas_diagonal_iiT6_lPT7_lllS5_lllPT8_llli
		.amdhsa_group_segment_fixed_size 8192
		.amdhsa_private_segment_fixed_size 0
		.amdhsa_kernarg_size 392
		.amdhsa_user_sgpr_count 6
		.amdhsa_user_sgpr_private_segment_buffer 1
		.amdhsa_user_sgpr_dispatch_ptr 0
		.amdhsa_user_sgpr_queue_ptr 0
		.amdhsa_user_sgpr_kernarg_segment_ptr 1
		.amdhsa_user_sgpr_dispatch_id 0
		.amdhsa_user_sgpr_flat_scratch_init 0
		.amdhsa_user_sgpr_private_segment_size 0
		.amdhsa_wavefront_size32 1
		.amdhsa_uses_dynamic_stack 0
		.amdhsa_system_sgpr_private_segment_wavefront_offset 0
		.amdhsa_system_sgpr_workgroup_id_x 1
		.amdhsa_system_sgpr_workgroup_id_y 1
		.amdhsa_system_sgpr_workgroup_id_z 1
		.amdhsa_system_sgpr_workgroup_info 0
		.amdhsa_system_vgpr_workitem_id 1
		.amdhsa_next_free_vgpr 72
		.amdhsa_next_free_sgpr 44
		.amdhsa_reserve_vcc 1
		.amdhsa_reserve_flat_scratch 0
		.amdhsa_float_round_mode_32 0
		.amdhsa_float_round_mode_16_64 0
		.amdhsa_float_denorm_mode_32 3
		.amdhsa_float_denorm_mode_16_64 3
		.amdhsa_dx10_clamp 1
		.amdhsa_ieee_mode 1
		.amdhsa_fp16_overflow 0
		.amdhsa_workgroup_processor_mode 1
		.amdhsa_memory_ordered 1
		.amdhsa_forward_progress 1
		.amdhsa_shared_vgpr_count 0
		.amdhsa_exception_fp_ieee_invalid_op 0
		.amdhsa_exception_fp_denorm_src 0
		.amdhsa_exception_fp_ieee_div_zero 0
		.amdhsa_exception_fp_ieee_overflow 0
		.amdhsa_exception_fp_ieee_underflow 0
		.amdhsa_exception_fp_ieee_inexact 0
		.amdhsa_exception_int_div_zero 0
	.end_amdhsa_kernel
	.section	.text._ZL30rocblas_trmm_outofplace_kernelIfLi32ELi2ELb0ELb0ELb1ELb1EPKfS0_fEv17rocblas_diagonal_iiT6_lPT7_lllS5_lllPT8_llli,"axG",@progbits,_ZL30rocblas_trmm_outofplace_kernelIfLi32ELi2ELb0ELb0ELb1ELb1EPKfS0_fEv17rocblas_diagonal_iiT6_lPT7_lllS5_lllPT8_llli,comdat
.Lfunc_end20:
	.size	_ZL30rocblas_trmm_outofplace_kernelIfLi32ELi2ELb0ELb0ELb1ELb1EPKfS0_fEv17rocblas_diagonal_iiT6_lPT7_lllS5_lllPT8_llli, .Lfunc_end20-_ZL30rocblas_trmm_outofplace_kernelIfLi32ELi2ELb0ELb0ELb1ELb1EPKfS0_fEv17rocblas_diagonal_iiT6_lPT7_lllS5_lllPT8_llli
                                        ; -- End function
	.set _ZL30rocblas_trmm_outofplace_kernelIfLi32ELi2ELb0ELb0ELb1ELb1EPKfS0_fEv17rocblas_diagonal_iiT6_lPT7_lllS5_lllPT8_llli.num_vgpr, 72
	.set _ZL30rocblas_trmm_outofplace_kernelIfLi32ELi2ELb0ELb0ELb1ELb1EPKfS0_fEv17rocblas_diagonal_iiT6_lPT7_lllS5_lllPT8_llli.num_agpr, 0
	.set _ZL30rocblas_trmm_outofplace_kernelIfLi32ELi2ELb0ELb0ELb1ELb1EPKfS0_fEv17rocblas_diagonal_iiT6_lPT7_lllS5_lllPT8_llli.numbered_sgpr, 44
	.set _ZL30rocblas_trmm_outofplace_kernelIfLi32ELi2ELb0ELb0ELb1ELb1EPKfS0_fEv17rocblas_diagonal_iiT6_lPT7_lllS5_lllPT8_llli.num_named_barrier, 0
	.set _ZL30rocblas_trmm_outofplace_kernelIfLi32ELi2ELb0ELb0ELb1ELb1EPKfS0_fEv17rocblas_diagonal_iiT6_lPT7_lllS5_lllPT8_llli.private_seg_size, 0
	.set _ZL30rocblas_trmm_outofplace_kernelIfLi32ELi2ELb0ELb0ELb1ELb1EPKfS0_fEv17rocblas_diagonal_iiT6_lPT7_lllS5_lllPT8_llli.uses_vcc, 1
	.set _ZL30rocblas_trmm_outofplace_kernelIfLi32ELi2ELb0ELb0ELb1ELb1EPKfS0_fEv17rocblas_diagonal_iiT6_lPT7_lllS5_lllPT8_llli.uses_flat_scratch, 0
	.set _ZL30rocblas_trmm_outofplace_kernelIfLi32ELi2ELb0ELb0ELb1ELb1EPKfS0_fEv17rocblas_diagonal_iiT6_lPT7_lllS5_lllPT8_llli.has_dyn_sized_stack, 0
	.set _ZL30rocblas_trmm_outofplace_kernelIfLi32ELi2ELb0ELb0ELb1ELb1EPKfS0_fEv17rocblas_diagonal_iiT6_lPT7_lllS5_lllPT8_llli.has_recursion, 0
	.set _ZL30rocblas_trmm_outofplace_kernelIfLi32ELi2ELb0ELb0ELb1ELb1EPKfS0_fEv17rocblas_diagonal_iiT6_lPT7_lllS5_lllPT8_llli.has_indirect_call, 0
	.section	.AMDGPU.csdata,"",@progbits
; Kernel info:
; codeLenInByte = 3068
; TotalNumSgprs: 46
; NumVgprs: 72
; ScratchSize: 0
; MemoryBound: 0
; FloatMode: 240
; IeeeMode: 1
; LDSByteSize: 8192 bytes/workgroup (compile time only)
; SGPRBlocks: 0
; VGPRBlocks: 8
; NumSGPRsForWavesPerEU: 46
; NumVGPRsForWavesPerEU: 72
; Occupancy: 12
; WaveLimiterHint : 0
; COMPUTE_PGM_RSRC2:SCRATCH_EN: 0
; COMPUTE_PGM_RSRC2:USER_SGPR: 6
; COMPUTE_PGM_RSRC2:TRAP_HANDLER: 0
; COMPUTE_PGM_RSRC2:TGID_X_EN: 1
; COMPUTE_PGM_RSRC2:TGID_Y_EN: 1
; COMPUTE_PGM_RSRC2:TGID_Z_EN: 1
; COMPUTE_PGM_RSRC2:TIDIG_COMP_CNT: 1
	.section	.text._ZL30rocblas_trmm_outofplace_kernelIfLi32ELi2ELb0ELb0ELb1ELb1EfKffEv17rocblas_diagonal_iiT6_lPT7_lllS4_lllPT8_llli,"axG",@progbits,_ZL30rocblas_trmm_outofplace_kernelIfLi32ELi2ELb0ELb0ELb1ELb1EfKffEv17rocblas_diagonal_iiT6_lPT7_lllS4_lllPT8_llli,comdat
	.globl	_ZL30rocblas_trmm_outofplace_kernelIfLi32ELi2ELb0ELb0ELb1ELb1EfKffEv17rocblas_diagonal_iiT6_lPT7_lllS4_lllPT8_llli ; -- Begin function _ZL30rocblas_trmm_outofplace_kernelIfLi32ELi2ELb0ELb0ELb1ELb1EfKffEv17rocblas_diagonal_iiT6_lPT7_lllS4_lllPT8_llli
	.p2align	8
	.type	_ZL30rocblas_trmm_outofplace_kernelIfLi32ELi2ELb0ELb0ELb1ELb1EfKffEv17rocblas_diagonal_iiT6_lPT7_lllS4_lllPT8_llli,@function
_ZL30rocblas_trmm_outofplace_kernelIfLi32ELi2ELb0ELb0ELb1ELb1EfKffEv17rocblas_diagonal_iiT6_lPT7_lllS4_lllPT8_llli: ; @_ZL30rocblas_trmm_outofplace_kernelIfLi32ELi2ELb0ELb0ELb1ELb1EfKffEv17rocblas_diagonal_iiT6_lPT7_lllS4_lllPT8_llli
; %bb.0:
	s_load_dwordx4 s[28:31], s[4:5], 0x0
	s_waitcnt lgkmcnt(0)
	v_cmp_eq_f32_e64 s0, s31, 0
	s_and_b32 vcc_lo, exec_lo, s0
	s_cbranch_vccnz .LBB21_51
; %bb.1:
	s_add_i32 s0, s30, -1
	s_ashr_i32 s1, s0, 31
	s_lshr_b32 s1, s1, 27
	s_add_i32 s0, s0, s1
	s_ashr_i32 s11, s0, 5
	s_cmp_gt_i32 s7, s11
	s_cbranch_scc1 .LBB21_51
; %bb.2:
	s_clause 0x1
	s_load_dwordx16 s[12:27], s[4:5], 0x18
	s_load_dwordx8 s[36:43], s[4:5], 0x58
	v_lshl_add_u32 v2, s6, 5, v0
	v_lshlrev_b32_e32 v9, 2, v0
	v_lshl_add_u32 v22, v1, 2, 64
	v_lshlrev_b32_e32 v42, 7, v1
	v_mov_b32_e32 v41, 0
	v_add_nc_u32_e32 v8, 16, v2
	v_or_b32_e32 v44, 0x1000, v9
	v_mov_b32_e32 v51, 1.0
	v_add_nc_u32_e32 v43, v42, v9
	v_add_nc_u32_e32 v45, v44, v42
	;; [unrolled: 1-line block ×5, first 2 shown]
	s_waitcnt lgkmcnt(0)
	v_mad_u64_u32 v[4:5], null, s16, v0, 0
	s_mul_i32 s1, s19, s8
	s_mul_hi_u32 s2, s18, s8
	s_mul_i32 s0, s18, s8
	s_add_i32 s1, s2, s1
	s_mul_i32 s3, s27, s8
	s_lshl_b64 s[0:1], s[0:1], 2
	v_mov_b32_e32 v3, v5
	s_add_u32 s10, s12, s0
	s_addc_u32 s18, s13, s1
	s_lshl_b64 s[44:45], s[14:15], 2
	s_mul_hi_u32 s6, s26, s8
	v_mad_u64_u32 v[5:6], null, s17, v0, v[3:4]
	s_add_u32 s10, s10, s44
	s_mul_i32 s2, s26, s8
	s_addc_u32 s14, s18, s45
	s_add_i32 s3, s6, s3
	s_mul_i32 s9, s43, s8
	s_lshl_b64 s[2:3], s[2:3], 2
	v_lshlrev_b64 v[4:5], 2, v[4:5]
	s_add_u32 s15, s20, s2
	s_addc_u32 s18, s21, s3
	s_lshl_b64 s[2:3], s[22:23], 2
	s_mul_hi_u32 s6, s42, s8
	s_load_dword s26, s[4:5], 0x84
	v_ashrrev_i32_e32 v3, 31, v2
	s_add_u32 s15, s15, s2
	s_mul_i32 s8, s42, s8
	s_addc_u32 s18, s18, s3
	s_add_i32 s9, s6, s9
	v_lshlrev_b64 v[10:11], 2, v[2:3]
	s_lshl_b64 s[2:3], s[8:9], 2
	v_add_co_u32 v12, vcc_lo, s10, v4
	s_add_u32 s4, s36, s2
	s_addc_u32 s5, s37, s3
	s_lshl_b64 s[2:3], s[38:39], 2
	v_add_co_ci_u32_e64 v13, null, s14, v5, vcc_lo
	v_mad_u64_u32 v[4:5], null, s24, v1, 0
	s_add_u32 s27, s4, s2
	s_addc_u32 s33, s5, s3
	s_cmpk_eq_i32 s28, 0x84
	v_add_co_u32 v14, vcc_lo, s15, v10
	v_add_co_ci_u32_e64 v15, null, s18, v11, vcc_lo
	s_cselect_b32 s28, -1, 0
	s_ashr_i32 s2, s29, 31
	v_sub_co_u32 v6, vcc_lo, s29, v2
	v_sub_co_ci_u32_e64 v7, null, s2, v3, vcc_lo
	v_mov_b32_e32 v3, v5
	s_ashr_i32 s15, s30, 31
	s_lshl_b64 s[18:19], s[16:17], 7
	s_lshl_b64 s[20:21], s[24:25], 7
	s_add_u32 s22, s30, -16
	s_addc_u32 s23, s15, -1
	s_waitcnt lgkmcnt(0)
	s_lshl_b32 s34, s26, 5
	v_mad_u64_u32 v[20:21], null, s25, v1, v[3:4]
	v_add_nc_u32_e32 v21, 64, v9
	s_add_u32 s2, s12, s44
	s_addc_u32 s3, s13, s45
	s_add_u32 s0, s2, s0
	s_addc_u32 s1, s3, s1
	v_mad_u64_u32 v[18:19], null, s24, v22, 0
	v_mad_u64_u32 v[16:17], null, s16, v21, s[0:1]
	v_mov_b32_e32 v5, v20
	v_cmp_gt_i32_e64 s1, s29, v2
	v_cmp_gt_i64_e32 vcc_lo, 1, v[6:7]
	v_cmp_gt_i64_e64 s0, 17, v[6:7]
	v_mov_b32_e32 v3, v19
	v_lshlrev_b64 v[4:5], 2, v[4:5]
	v_mov_b32_e32 v2, v17
	v_ashrrev_i32_e32 v9, 31, v8
	v_sub_co_u32 v46, s3, 0, v0
	v_sub_co_ci_u32_e64 v47, null, 0, 0, s3
	v_mad_u64_u32 v[6:7], null, s17, v21, v[2:3]
	v_mad_u64_u32 v[2:3], null, s25, v22, v[3:4]
	v_add_co_u32 v48, s3, v4, 64
	v_lshlrev_b64 v[21:22], 2, v[8:9]
	v_cmp_gt_i32_e64 s2, s29, v8
	v_lshl_add_u32 v19, s7, 5, v1
	v_add_co_ci_u32_e64 v49, null, 0, v5, s3
	v_mov_b32_e32 v17, v6
	v_mov_b32_e32 v50, v2
	s_mov_b32 s14, s30
	s_branch .LBB21_4
.LBB21_3:                               ;   in Loop: Header=BB21_4 Depth=1
	s_or_b32 exec_lo, exec_lo, s4
	v_add_nc_u32_e32 v19, s34, v19
	s_add_i32 s7, s26, s7
	s_cmp_le_i32 s7, s11
	s_cbranch_scc0 .LBB21_51
.LBB21_4:                               ; =>This Loop Header: Depth=1
                                        ;     Child Loop BB21_7 Depth 2
	s_lshl_b32 s16, s7, 5
	v_mov_b32_e32 v57, 0
	v_add_nc_u32_e32 v23, s16, v1
	v_mov_b32_e32 v56, 0
	v_mov_b32_e32 v55, 0
	;; [unrolled: 1-line block ×3, first 2 shown]
	s_cmp_lt_i32 s7, 0
	v_ashrrev_i32_e32 v24, 31, v23
	s_cbranch_scc1 .LBB21_43
; %bb.5:                                ;   in Loop: Header=BB21_4 Depth=1
	v_ashrrev_i32_e32 v20, 31, v19
	v_add_co_u32 v25, s3, v23, 16
	v_add_co_ci_u32_e64 v26, null, 0, v24, s3
	v_add_co_u32 v27, s3, v46, v19
	v_add_co_ci_u32_e64 v28, null, v47, v20, s3
	v_lshlrev_b64 v[29:30], 2, v[19:20]
	v_add_co_u32 v31, s5, v27, 16
	v_add_co_ci_u32_e64 v32, null, 0, v28, s5
	v_add_co_u32 v33, s5, v27, -16
	v_cmp_le_i64_e64 s4, s[14:15], v[25:26]
	v_mov_b32_e32 v36, v13
	v_mov_b32_e32 v38, v17
	;; [unrolled: 1-line block ×3, first 2 shown]
	v_cmp_le_i32_e64 s3, s30, v23
	v_add_co_ci_u32_e64 v34, null, -1, v28, s5
	v_mov_b32_e32 v20, 0
	v_mov_b32_e32 v35, v12
	;; [unrolled: 1-line block ×7, first 2 shown]
	s_mov_b64 s[12:13], 0
	s_branch .LBB21_7
.LBB21_6:                               ;   in Loop: Header=BB21_7 Depth=2
	s_or_b32 exec_lo, exec_lo, s5
	s_waitcnt lgkmcnt(0)
	s_barrier
	buffer_gl0_inv
	ds_read_b128 v[58:61], v42
	ds_read_b128 v[62:65], v42 offset:16
	ds_read_b128 v[6:9], v42 offset:32
	;; [unrolled: 1-line block ×3, first 2 shown]
	ds_read2_b32 v[70:71], v44 offset1:16
	ds_read_b128 v[66:69], v42 offset:2048
	v_add_co_u32 v39, s5, v39, s20
	v_add_co_ci_u32_e64 v40, null, s21, v40, s5
	v_add_co_u32 v37, s5, v37, s18
	v_add_co_ci_u32_e64 v38, null, s19, v38, s5
	v_add_co_u32 v35, s5, v35, s18
	s_add_u32 s12, s12, 32
	v_add_co_ci_u32_e64 v36, null, s19, v36, s5
	s_addc_u32 s13, s13, 0
	s_sub_i32 s6, s12, 32
	s_cmp_ge_i32 s6, s16
	s_waitcnt lgkmcnt(1)
	v_fmac_f32_e32 v57, v70, v58
	v_fmac_f32_e32 v56, v71, v58
	s_waitcnt lgkmcnt(0)
	v_fmac_f32_e32 v55, v70, v66
	v_fmac_f32_e32 v20, v71, v66
	ds_read2_b32 v[70:71], v44 offset0:32 offset1:48
	s_waitcnt lgkmcnt(0)
	v_fmac_f32_e32 v57, v70, v59
	v_fmac_f32_e32 v56, v71, v59
	ds_read2_b32 v[58:59], v44 offset0:64 offset1:80
	v_fmac_f32_e32 v55, v70, v67
	v_fmac_f32_e32 v20, v71, v67
	ds_read2_b32 v[66:67], v44 offset0:128 offset1:144
	s_waitcnt lgkmcnt(1)
	v_fmac_f32_e32 v57, v58, v60
	v_fmac_f32_e32 v56, v59, v60
	;; [unrolled: 1-line block ×4, first 2 shown]
	ds_read2_b32 v[58:59], v44 offset0:96 offset1:112
	s_waitcnt lgkmcnt(0)
	v_fmac_f32_e32 v57, v58, v61
	v_fmac_f32_e32 v56, v59, v61
	;; [unrolled: 1-line block ×4, first 2 shown]
	ds_read_b128 v[58:61], v42 offset:2064
	v_fmac_f32_e32 v57, v66, v62
	v_fmac_f32_e32 v56, v67, v62
	s_waitcnt lgkmcnt(0)
	v_fmac_f32_e32 v55, v66, v58
	v_fmac_f32_e32 v20, v67, v58
	ds_read2_b32 v[66:67], v44 offset0:160 offset1:176
	s_waitcnt lgkmcnt(0)
	v_fmac_f32_e32 v55, v66, v59
	v_fmac_f32_e32 v20, v67, v59
	ds_read2_b32 v[58:59], v44 offset0:192 offset1:208
	v_fmac_f32_e32 v57, v66, v63
	v_fmac_f32_e32 v56, v67, v63
	ds_read2_b32 v[62:63], v52 offset1:16
	s_waitcnt lgkmcnt(1)
	v_fmac_f32_e32 v57, v58, v64
	v_fmac_f32_e32 v56, v59, v64
	;; [unrolled: 1-line block ×4, first 2 shown]
	ds_read2_b32 v[58:59], v44 offset0:224 offset1:240
	s_waitcnt lgkmcnt(0)
	v_fmac_f32_e32 v57, v58, v65
	v_fmac_f32_e32 v56, v59, v65
	;; [unrolled: 1-line block ×4, first 2 shown]
	ds_read_b128 v[58:61], v42 offset:2080
	v_fmac_f32_e32 v57, v62, v6
	v_fmac_f32_e32 v56, v63, v6
	s_waitcnt lgkmcnt(0)
	v_fmac_f32_e32 v55, v62, v58
	v_fmac_f32_e32 v20, v63, v58
	ds_read2_b32 v[62:63], v52 offset0:32 offset1:48
	s_waitcnt lgkmcnt(0)
	v_fmac_f32_e32 v57, v62, v7
	v_fmac_f32_e32 v56, v63, v7
	ds_read2_b32 v[6:7], v52 offset0:64 offset1:80
	v_fmac_f32_e32 v55, v62, v59
	v_fmac_f32_e32 v20, v63, v59
	ds_read2_b32 v[58:59], v52 offset0:128 offset1:144
	s_waitcnt lgkmcnt(1)
	v_fmac_f32_e32 v57, v6, v8
	v_fmac_f32_e32 v56, v7, v8
	;; [unrolled: 1-line block ×4, first 2 shown]
	ds_read2_b32 v[6:7], v52 offset0:96 offset1:112
	s_waitcnt lgkmcnt(0)
	v_fmac_f32_e32 v57, v6, v9
	v_fmac_f32_e32 v56, v7, v9
	;; [unrolled: 1-line block ×4, first 2 shown]
	ds_read_b128 v[6:9], v42 offset:2096
	v_fmac_f32_e32 v57, v58, v2
	v_fmac_f32_e32 v56, v59, v2
	s_waitcnt lgkmcnt(0)
	v_fmac_f32_e32 v55, v58, v6
	v_fmac_f32_e32 v20, v59, v6
	ds_read2_b32 v[58:59], v52 offset0:160 offset1:176
	s_waitcnt lgkmcnt(0)
	v_fmac_f32_e32 v57, v58, v3
	v_fmac_f32_e32 v56, v59, v3
	ds_read2_b32 v[2:3], v52 offset0:192 offset1:208
	v_fmac_f32_e32 v55, v58, v7
	v_fmac_f32_e32 v20, v59, v7
	s_waitcnt lgkmcnt(0)
	v_fmac_f32_e32 v57, v2, v4
	v_fmac_f32_e32 v56, v3, v4
	;; [unrolled: 1-line block ×4, first 2 shown]
	ds_read2_b32 v[2:3], v52 offset0:224 offset1:240
	s_waitcnt lgkmcnt(0)
	v_fmac_f32_e32 v57, v2, v5
	v_fmac_f32_e32 v56, v3, v5
	;; [unrolled: 1-line block ×4, first 2 shown]
	ds_read_b128 v[2:5], v42 offset:64
	ds_read2_b32 v[58:59], v53 offset1:16
	ds_read_b128 v[6:9], v42 offset:2112
	s_waitcnt lgkmcnt(1)
	v_fmac_f32_e32 v57, v58, v2
	v_fmac_f32_e32 v56, v59, v2
	s_waitcnt lgkmcnt(0)
	v_fmac_f32_e32 v55, v58, v6
	v_fmac_f32_e32 v20, v59, v6
	ds_read2_b32 v[58:59], v53 offset0:32 offset1:48
	s_waitcnt lgkmcnt(0)
	v_fmac_f32_e32 v57, v58, v3
	v_fmac_f32_e32 v56, v59, v3
	ds_read2_b32 v[2:3], v53 offset0:64 offset1:80
	v_fmac_f32_e32 v55, v58, v7
	v_fmac_f32_e32 v20, v59, v7
	s_waitcnt lgkmcnt(0)
	v_fmac_f32_e32 v57, v2, v4
	v_fmac_f32_e32 v56, v3, v4
	;; [unrolled: 1-line block ×4, first 2 shown]
	ds_read2_b32 v[2:3], v53 offset0:96 offset1:112
	s_waitcnt lgkmcnt(0)
	v_fmac_f32_e32 v57, v2, v5
	v_fmac_f32_e32 v56, v3, v5
	;; [unrolled: 1-line block ×4, first 2 shown]
	ds_read_b128 v[2:5], v42 offset:80
	ds_read2_b32 v[58:59], v53 offset0:128 offset1:144
	ds_read_b128 v[6:9], v42 offset:2128
	s_waitcnt lgkmcnt(1)
	v_fmac_f32_e32 v57, v58, v2
	v_fmac_f32_e32 v56, v59, v2
	s_waitcnt lgkmcnt(0)
	v_fmac_f32_e32 v55, v58, v6
	v_fmac_f32_e32 v20, v59, v6
	ds_read2_b32 v[58:59], v53 offset0:160 offset1:176
	s_waitcnt lgkmcnt(0)
	v_fmac_f32_e32 v57, v58, v3
	v_fmac_f32_e32 v56, v59, v3
	ds_read2_b32 v[2:3], v53 offset0:192 offset1:208
	v_fmac_f32_e32 v55, v58, v7
	v_fmac_f32_e32 v20, v59, v7
	s_waitcnt lgkmcnt(0)
	v_fmac_f32_e32 v57, v2, v4
	v_fmac_f32_e32 v56, v3, v4
	;; [unrolled: 1-line block ×4, first 2 shown]
	ds_read2_b32 v[2:3], v53 offset0:224 offset1:240
	s_waitcnt lgkmcnt(0)
	v_fmac_f32_e32 v57, v2, v5
	v_fmac_f32_e32 v56, v3, v5
	;; [unrolled: 1-line block ×4, first 2 shown]
	ds_read_b128 v[2:5], v42 offset:96
	ds_read2_b32 v[58:59], v54 offset1:16
	ds_read_b128 v[6:9], v42 offset:2144
	s_waitcnt lgkmcnt(1)
	v_fmac_f32_e32 v57, v58, v2
	v_fmac_f32_e32 v56, v59, v2
	s_waitcnt lgkmcnt(0)
	v_fmac_f32_e32 v55, v58, v6
	v_fmac_f32_e32 v20, v59, v6
	ds_read2_b32 v[58:59], v54 offset0:32 offset1:48
	s_waitcnt lgkmcnt(0)
	v_fmac_f32_e32 v57, v58, v3
	v_fmac_f32_e32 v56, v59, v3
	ds_read2_b32 v[2:3], v54 offset0:64 offset1:80
	v_fmac_f32_e32 v55, v58, v7
	v_fmac_f32_e32 v20, v59, v7
	s_waitcnt lgkmcnt(0)
	v_fmac_f32_e32 v57, v2, v4
	v_fmac_f32_e32 v56, v3, v4
	;; [unrolled: 1-line block ×4, first 2 shown]
	ds_read2_b32 v[2:3], v54 offset0:96 offset1:112
	s_waitcnt lgkmcnt(0)
	v_fmac_f32_e32 v57, v2, v5
	v_fmac_f32_e32 v56, v3, v5
	;; [unrolled: 1-line block ×4, first 2 shown]
	ds_read_b128 v[2:5], v42 offset:112
	ds_read2_b32 v[58:59], v54 offset0:128 offset1:144
	ds_read_b128 v[6:9], v42 offset:2160
	s_waitcnt lgkmcnt(1)
	v_fmac_f32_e32 v57, v58, v2
	v_fmac_f32_e32 v56, v59, v2
	s_waitcnt lgkmcnt(0)
	v_fmac_f32_e32 v55, v58, v6
	v_fmac_f32_e32 v20, v59, v6
	ds_read2_b32 v[58:59], v54 offset0:160 offset1:176
	s_waitcnt lgkmcnt(0)
	v_fmac_f32_e32 v57, v58, v3
	v_fmac_f32_e32 v56, v59, v3
	ds_read2_b32 v[2:3], v54 offset0:192 offset1:208
	v_fmac_f32_e32 v55, v58, v7
	v_fmac_f32_e32 v20, v59, v7
	s_waitcnt lgkmcnt(0)
	v_fmac_f32_e32 v57, v2, v4
	v_fmac_f32_e32 v56, v3, v4
	;; [unrolled: 1-line block ×4, first 2 shown]
	ds_read2_b32 v[2:3], v54 offset0:224 offset1:240
	s_waitcnt lgkmcnt(0)
	s_barrier
	buffer_gl0_inv
	v_fmac_f32_e32 v57, v2, v5
	v_fmac_f32_e32 v56, v3, v5
	;; [unrolled: 1-line block ×4, first 2 shown]
	s_cbranch_scc1 .LBB21_43
.LBB21_7:                               ;   Parent Loop BB21_4 Depth=1
                                        ; =>  This Inner Loop Header: Depth=2
	v_add_co_u32 v2, s5, v0, s12
	v_add_co_ci_u32_e64 v3, null, 0, s13, s5
	v_cmp_eq_u64_e64 s8, s[12:13], v[27:28]
                                        ; implicit-def: $vgpr6
	v_cmp_gt_i64_e64 s5, v[2:3], v[23:24]
	v_cmp_le_i64_e64 s6, s[14:15], v[2:3]
	s_and_b32 s17, s28, s8
	v_add_co_u32 v4, s8, v35, v29
	s_or_b32 s9, s3, s5
	v_add_co_ci_u32_e64 v5, null, v36, v30, s8
	s_or_b32 s8, s9, s17
	s_nor_b32 s8, s6, s8
	s_and_saveexec_b32 s9, s8
	s_xor_b32 s8, exec_lo, s9
	s_cbranch_execz .LBB21_9
; %bb.8:                                ;   in Loop: Header=BB21_7 Depth=2
	global_load_dword v6, v[4:5], off
.LBB21_9:                               ;   in Loop: Header=BB21_7 Depth=2
	s_andn2_saveexec_b32 s8, s8
	s_cbranch_execz .LBB21_11
; %bb.10:                               ;   in Loop: Header=BB21_7 Depth=2
	s_waitcnt vmcnt(0)
	v_cndmask_b32_e64 v6, 0, 1.0, s17
.LBB21_11:                              ;   in Loop: Header=BB21_7 Depth=2
	s_or_b32 exec_lo, exec_lo, s8
	v_add_co_u32 v7, s8, v2, 16
	v_add_co_ci_u32_e64 v8, null, 0, v3, s8
	v_cmp_eq_u64_e64 s9, s[12:13], v[33:34]
	s_waitcnt vmcnt(0)
	ds_write_b32 v43, v6
	v_cmp_gt_i64_e64 s10, v[7:8], v[23:24]
	v_cmp_le_i64_e64 s8, s[14:15], v[7:8]
	s_and_b32 s24, s28, s9
	s_or_b32 s9, s3, s10
	s_or_b32 s9, s9, s24
	s_nor_b32 s9, s8, s9
	s_and_saveexec_b32 s10, s9
	s_xor_b32 s10, exec_lo, s10
	s_cbranch_execz .LBB21_13
; %bb.12:                               ;   in Loop: Header=BB21_7 Depth=2
	v_add_co_u32 v6, s9, v37, v29
	v_add_co_ci_u32_e64 v7, null, v38, v30, s9
	global_load_dword v6, v[6:7], off
	s_waitcnt vmcnt(0)
	ds_write_b32 v43, v6 offset:64
.LBB21_13:                              ;   in Loop: Header=BB21_7 Depth=2
	s_andn2_saveexec_b32 s9, s10
	s_cbranch_execz .LBB21_19
; %bb.14:                               ;   in Loop: Header=BB21_7 Depth=2
	s_xor_b32 s10, s24, -1
	s_and_saveexec_b32 s24, s10
	s_xor_b32 s10, exec_lo, s24
; %bb.15:                               ;   in Loop: Header=BB21_7 Depth=2
	ds_write_b32 v43, v41 offset:64
; %bb.16:                               ;   in Loop: Header=BB21_7 Depth=2
	s_andn2_saveexec_b32 s10, s10
; %bb.17:                               ;   in Loop: Header=BB21_7 Depth=2
	ds_write_b32 v43, v51 offset:64
; %bb.18:                               ;   in Loop: Header=BB21_7 Depth=2
	s_or_b32 exec_lo, exec_lo, s10
.LBB21_19:                              ;   in Loop: Header=BB21_7 Depth=2
	s_or_b32 exec_lo, exec_lo, s9
	v_cmp_eq_u64_e64 s9, s[12:13], v[31:32]
	v_cmp_gt_i64_e64 s10, v[2:3], v[25:26]
                                        ; implicit-def: $vgpr2
	s_and_b32 s9, s28, s9
	s_or_b32 s10, s4, s10
	s_or_b32 s10, s10, s9
	s_nor_b32 s6, s6, s10
	s_and_saveexec_b32 s10, s6
	s_xor_b32 s6, exec_lo, s10
	s_cbranch_execz .LBB21_21
; %bb.20:                               ;   in Loop: Header=BB21_7 Depth=2
	global_load_dword v2, v[4:5], off offset:64
.LBB21_21:                              ;   in Loop: Header=BB21_7 Depth=2
	s_andn2_saveexec_b32 s6, s6
	s_cbranch_execz .LBB21_23
; %bb.22:                               ;   in Loop: Header=BB21_7 Depth=2
	s_waitcnt vmcnt(0)
	v_cndmask_b32_e64 v2, 0, 1.0, s9
.LBB21_23:                              ;   in Loop: Header=BB21_7 Depth=2
	s_or_b32 exec_lo, exec_lo, s6
	s_or_b32 s5, s4, s5
	s_waitcnt vmcnt(0)
	ds_write_b32 v43, v2 offset:2048
	s_or_b32 s5, s5, s17
	s_nor_b32 s5, s8, s5
	s_and_saveexec_b32 s6, s5
	s_xor_b32 s6, exec_lo, s6
	s_cbranch_execz .LBB21_25
; %bb.24:                               ;   in Loop: Header=BB21_7 Depth=2
	v_add_co_u32 v2, s5, v37, v29
	v_add_co_ci_u32_e64 v3, null, v38, v30, s5
	global_load_dword v2, v[2:3], off offset:64
	s_waitcnt vmcnt(0)
	ds_write_b32 v43, v2 offset:2112
.LBB21_25:                              ;   in Loop: Header=BB21_7 Depth=2
	s_andn2_saveexec_b32 s5, s6
	s_cbranch_execz .LBB21_31
; %bb.26:                               ;   in Loop: Header=BB21_7 Depth=2
	s_xor_b32 s6, s17, -1
	s_and_saveexec_b32 s8, s6
	s_xor_b32 s6, exec_lo, s8
; %bb.27:                               ;   in Loop: Header=BB21_7 Depth=2
	ds_write_b32 v43, v41 offset:2112
; %bb.28:                               ;   in Loop: Header=BB21_7 Depth=2
	s_andn2_saveexec_b32 s6, s6
; %bb.29:                               ;   in Loop: Header=BB21_7 Depth=2
	ds_write_b32 v43, v51 offset:2112
; %bb.30:                               ;   in Loop: Header=BB21_7 Depth=2
	s_or_b32 exec_lo, exec_lo, s6
.LBB21_31:                              ;   in Loop: Header=BB21_7 Depth=2
	s_or_b32 exec_lo, exec_lo, s5
	v_add_co_u32 v2, s5, v1, s12
	v_add_co_ci_u32_e64 v3, null, 0, s13, s5
	v_add_co_u32 v4, s6, v39, v48
	v_add_co_ci_u32_e64 v5, null, v40, v49, s6
	v_cmp_le_i64_e64 s5, s[14:15], v[2:3]
	v_mov_b32_e32 v6, 0
	s_nor_b32 s8, s5, vcc_lo
	s_and_saveexec_b32 s6, s8
	s_cbranch_execz .LBB21_33
; %bb.32:                               ;   in Loop: Header=BB21_7 Depth=2
	global_load_dword v6, v[4:5], off offset:-64
.LBB21_33:                              ;   in Loop: Header=BB21_7 Depth=2
	s_or_b32 exec_lo, exec_lo, s6
	s_nor_b32 s5, s5, s0
	s_waitcnt vmcnt(0)
	ds_write_b32 v45, v6
	s_and_saveexec_b32 s6, s5
	s_xor_b32 s5, exec_lo, s6
	s_cbranch_execz .LBB21_35
; %bb.34:                               ;   in Loop: Header=BB21_7 Depth=2
	global_load_dword v4, v[4:5], off
	s_waitcnt vmcnt(0)
	ds_write_b32 v45, v4 offset:64
.LBB21_35:                              ;   in Loop: Header=BB21_7 Depth=2
	s_andn2_saveexec_b32 s5, s5
; %bb.36:                               ;   in Loop: Header=BB21_7 Depth=2
	ds_write_b32 v45, v41 offset:64
; %bb.37:                               ;   in Loop: Header=BB21_7 Depth=2
	s_or_b32 exec_lo, exec_lo, s5
	v_cmp_le_i64_e64 s5, s[22:23], v[2:3]
	v_add_co_u32 v2, s6, v39, v18
	v_add_co_ci_u32_e64 v3, null, v40, v50, s6
	v_mov_b32_e32 v4, 0
	s_nor_b32 s8, s5, vcc_lo
	s_and_saveexec_b32 s6, s8
	s_cbranch_execz .LBB21_39
; %bb.38:                               ;   in Loop: Header=BB21_7 Depth=2
	global_load_dword v4, v[2:3], off
.LBB21_39:                              ;   in Loop: Header=BB21_7 Depth=2
	s_or_b32 exec_lo, exec_lo, s6
	s_nor_b32 s5, s5, s0
	s_waitcnt vmcnt(0)
	ds_write_b32 v45, v4 offset:2048
	s_and_saveexec_b32 s6, s5
	s_xor_b32 s5, exec_lo, s6
	s_cbranch_execz .LBB21_41
; %bb.40:                               ;   in Loop: Header=BB21_7 Depth=2
	global_load_dword v2, v[2:3], off offset:64
	s_waitcnt vmcnt(0)
	ds_write_b32 v45, v2 offset:2112
.LBB21_41:                              ;   in Loop: Header=BB21_7 Depth=2
	s_andn2_saveexec_b32 s5, s5
	s_cbranch_execz .LBB21_6
; %bb.42:                               ;   in Loop: Header=BB21_7 Depth=2
	ds_write_b32 v45, v41 offset:2112
	s_branch .LBB21_6
.LBB21_43:                              ;   in Loop: Header=BB21_4 Depth=1
	v_mul_lo_u32 v4, s41, v23
	v_mul_lo_u32 v5, s40, v24
	v_mad_u64_u32 v[2:3], null, s40, v23, 0
	v_cmp_gt_i32_e64 s3, s30, v23
	v_add3_u32 v3, v3, v5, v4
	v_lshlrev_b64 v[2:3], 2, v[2:3]
	v_add_co_u32 v2, s4, s27, v2
	v_add_co_ci_u32_e64 v3, null, s33, v3, s4
	s_and_b32 s4, s1, s3
	s_and_saveexec_b32 s5, s4
	s_cbranch_execz .LBB21_45
; %bb.44:                               ;   in Loop: Header=BB21_4 Depth=1
	v_add_co_u32 v4, s4, v2, v10
	v_add_co_ci_u32_e64 v5, null, v3, v11, s4
	global_load_dword v6, v[4:5], off
	s_waitcnt vmcnt(0)
	v_fmac_f32_e32 v6, s31, v57
	global_store_dword v[4:5], v6, off
.LBB21_45:                              ;   in Loop: Header=BB21_4 Depth=1
	s_or_b32 exec_lo, exec_lo, s5
	s_and_b32 s3, s2, s3
	s_and_saveexec_b32 s4, s3
	s_cbranch_execz .LBB21_47
; %bb.46:                               ;   in Loop: Header=BB21_4 Depth=1
	v_add_co_u32 v2, s3, v2, v21
	v_add_co_ci_u32_e64 v3, null, v3, v22, s3
	global_load_dword v4, v[2:3], off
	s_waitcnt vmcnt(0)
	v_fmac_f32_e32 v4, s31, v56
	global_store_dword v[2:3], v4, off
.LBB21_47:                              ;   in Loop: Header=BB21_4 Depth=1
	s_or_b32 exec_lo, exec_lo, s4
	v_add_nc_u32_e32 v4, 16, v23
	v_ashrrev_i32_e32 v5, 31, v4
	v_mul_lo_u32 v6, s41, v4
	v_mad_u64_u32 v[2:3], null, s40, v4, 0
	v_cmp_gt_i32_e64 s3, s30, v4
	v_mul_lo_u32 v5, s40, v5
	v_add3_u32 v3, v3, v5, v6
	v_lshlrev_b64 v[2:3], 2, v[2:3]
	v_add_co_u32 v2, s4, s27, v2
	v_add_co_ci_u32_e64 v3, null, s33, v3, s4
	s_and_b32 s4, s1, s3
	s_and_saveexec_b32 s5, s4
	s_cbranch_execz .LBB21_49
; %bb.48:                               ;   in Loop: Header=BB21_4 Depth=1
	v_add_co_u32 v4, s4, v2, v10
	v_add_co_ci_u32_e64 v5, null, v3, v11, s4
	global_load_dword v6, v[4:5], off
	s_waitcnt vmcnt(0)
	v_fmac_f32_e32 v6, s31, v55
	global_store_dword v[4:5], v6, off
.LBB21_49:                              ;   in Loop: Header=BB21_4 Depth=1
	s_or_b32 exec_lo, exec_lo, s5
	s_and_b32 s3, s2, s3
	s_and_saveexec_b32 s4, s3
	s_cbranch_execz .LBB21_3
; %bb.50:                               ;   in Loop: Header=BB21_4 Depth=1
	v_add_co_u32 v2, s3, v2, v21
	v_add_co_ci_u32_e64 v3, null, v3, v22, s3
	global_load_dword v4, v[2:3], off
	s_waitcnt vmcnt(0)
	v_fmac_f32_e32 v4, s31, v20
	global_store_dword v[2:3], v4, off
	s_branch .LBB21_3
.LBB21_51:
	s_endpgm
	.section	.rodata,"a",@progbits
	.p2align	6, 0x0
	.amdhsa_kernel _ZL30rocblas_trmm_outofplace_kernelIfLi32ELi2ELb0ELb0ELb1ELb1EfKffEv17rocblas_diagonal_iiT6_lPT7_lllS4_lllPT8_llli
		.amdhsa_group_segment_fixed_size 8192
		.amdhsa_private_segment_fixed_size 0
		.amdhsa_kernarg_size 384
		.amdhsa_user_sgpr_count 6
		.amdhsa_user_sgpr_private_segment_buffer 1
		.amdhsa_user_sgpr_dispatch_ptr 0
		.amdhsa_user_sgpr_queue_ptr 0
		.amdhsa_user_sgpr_kernarg_segment_ptr 1
		.amdhsa_user_sgpr_dispatch_id 0
		.amdhsa_user_sgpr_flat_scratch_init 0
		.amdhsa_user_sgpr_private_segment_size 0
		.amdhsa_wavefront_size32 1
		.amdhsa_uses_dynamic_stack 0
		.amdhsa_system_sgpr_private_segment_wavefront_offset 0
		.amdhsa_system_sgpr_workgroup_id_x 1
		.amdhsa_system_sgpr_workgroup_id_y 1
		.amdhsa_system_sgpr_workgroup_id_z 1
		.amdhsa_system_sgpr_workgroup_info 0
		.amdhsa_system_vgpr_workitem_id 1
		.amdhsa_next_free_vgpr 72
		.amdhsa_next_free_sgpr 46
		.amdhsa_reserve_vcc 1
		.amdhsa_reserve_flat_scratch 0
		.amdhsa_float_round_mode_32 0
		.amdhsa_float_round_mode_16_64 0
		.amdhsa_float_denorm_mode_32 3
		.amdhsa_float_denorm_mode_16_64 3
		.amdhsa_dx10_clamp 1
		.amdhsa_ieee_mode 1
		.amdhsa_fp16_overflow 0
		.amdhsa_workgroup_processor_mode 1
		.amdhsa_memory_ordered 1
		.amdhsa_forward_progress 1
		.amdhsa_shared_vgpr_count 0
		.amdhsa_exception_fp_ieee_invalid_op 0
		.amdhsa_exception_fp_denorm_src 0
		.amdhsa_exception_fp_ieee_div_zero 0
		.amdhsa_exception_fp_ieee_overflow 0
		.amdhsa_exception_fp_ieee_underflow 0
		.amdhsa_exception_fp_ieee_inexact 0
		.amdhsa_exception_int_div_zero 0
	.end_amdhsa_kernel
	.section	.text._ZL30rocblas_trmm_outofplace_kernelIfLi32ELi2ELb0ELb0ELb1ELb1EfKffEv17rocblas_diagonal_iiT6_lPT7_lllS4_lllPT8_llli,"axG",@progbits,_ZL30rocblas_trmm_outofplace_kernelIfLi32ELi2ELb0ELb0ELb1ELb1EfKffEv17rocblas_diagonal_iiT6_lPT7_lllS4_lllPT8_llli,comdat
.Lfunc_end21:
	.size	_ZL30rocblas_trmm_outofplace_kernelIfLi32ELi2ELb0ELb0ELb1ELb1EfKffEv17rocblas_diagonal_iiT6_lPT7_lllS4_lllPT8_llli, .Lfunc_end21-_ZL30rocblas_trmm_outofplace_kernelIfLi32ELi2ELb0ELb0ELb1ELb1EfKffEv17rocblas_diagonal_iiT6_lPT7_lllS4_lllPT8_llli
                                        ; -- End function
	.set _ZL30rocblas_trmm_outofplace_kernelIfLi32ELi2ELb0ELb0ELb1ELb1EfKffEv17rocblas_diagonal_iiT6_lPT7_lllS4_lllPT8_llli.num_vgpr, 72
	.set _ZL30rocblas_trmm_outofplace_kernelIfLi32ELi2ELb0ELb0ELb1ELb1EfKffEv17rocblas_diagonal_iiT6_lPT7_lllS4_lllPT8_llli.num_agpr, 0
	.set _ZL30rocblas_trmm_outofplace_kernelIfLi32ELi2ELb0ELb0ELb1ELb1EfKffEv17rocblas_diagonal_iiT6_lPT7_lllS4_lllPT8_llli.numbered_sgpr, 46
	.set _ZL30rocblas_trmm_outofplace_kernelIfLi32ELi2ELb0ELb0ELb1ELb1EfKffEv17rocblas_diagonal_iiT6_lPT7_lllS4_lllPT8_llli.num_named_barrier, 0
	.set _ZL30rocblas_trmm_outofplace_kernelIfLi32ELi2ELb0ELb0ELb1ELb1EfKffEv17rocblas_diagonal_iiT6_lPT7_lllS4_lllPT8_llli.private_seg_size, 0
	.set _ZL30rocblas_trmm_outofplace_kernelIfLi32ELi2ELb0ELb0ELb1ELb1EfKffEv17rocblas_diagonal_iiT6_lPT7_lllS4_lllPT8_llli.uses_vcc, 1
	.set _ZL30rocblas_trmm_outofplace_kernelIfLi32ELi2ELb0ELb0ELb1ELb1EfKffEv17rocblas_diagonal_iiT6_lPT7_lllS4_lllPT8_llli.uses_flat_scratch, 0
	.set _ZL30rocblas_trmm_outofplace_kernelIfLi32ELi2ELb0ELb0ELb1ELb1EfKffEv17rocblas_diagonal_iiT6_lPT7_lllS4_lllPT8_llli.has_dyn_sized_stack, 0
	.set _ZL30rocblas_trmm_outofplace_kernelIfLi32ELi2ELb0ELb0ELb1ELb1EfKffEv17rocblas_diagonal_iiT6_lPT7_lllS4_lllPT8_llli.has_recursion, 0
	.set _ZL30rocblas_trmm_outofplace_kernelIfLi32ELi2ELb0ELb0ELb1ELb1EfKffEv17rocblas_diagonal_iiT6_lPT7_lllS4_lllPT8_llli.has_indirect_call, 0
	.section	.AMDGPU.csdata,"",@progbits
; Kernel info:
; codeLenInByte = 3032
; TotalNumSgprs: 48
; NumVgprs: 72
; ScratchSize: 0
; MemoryBound: 0
; FloatMode: 240
; IeeeMode: 1
; LDSByteSize: 8192 bytes/workgroup (compile time only)
; SGPRBlocks: 0
; VGPRBlocks: 8
; NumSGPRsForWavesPerEU: 48
; NumVGPRsForWavesPerEU: 72
; Occupancy: 12
; WaveLimiterHint : 0
; COMPUTE_PGM_RSRC2:SCRATCH_EN: 0
; COMPUTE_PGM_RSRC2:USER_SGPR: 6
; COMPUTE_PGM_RSRC2:TRAP_HANDLER: 0
; COMPUTE_PGM_RSRC2:TGID_X_EN: 1
; COMPUTE_PGM_RSRC2:TGID_Y_EN: 1
; COMPUTE_PGM_RSRC2:TGID_Z_EN: 1
; COMPUTE_PGM_RSRC2:TIDIG_COMP_CNT: 1
	.section	.text._ZL30rocblas_trmm_outofplace_kernelIfLi32ELi2ELb0ELb1ELb1ELb1EPKfS0_fEv17rocblas_diagonal_iiT6_lPT7_lllS5_lllPT8_llli,"axG",@progbits,_ZL30rocblas_trmm_outofplace_kernelIfLi32ELi2ELb0ELb1ELb1ELb1EPKfS0_fEv17rocblas_diagonal_iiT6_lPT7_lllS5_lllPT8_llli,comdat
	.globl	_ZL30rocblas_trmm_outofplace_kernelIfLi32ELi2ELb0ELb1ELb1ELb1EPKfS0_fEv17rocblas_diagonal_iiT6_lPT7_lllS5_lllPT8_llli ; -- Begin function _ZL30rocblas_trmm_outofplace_kernelIfLi32ELi2ELb0ELb1ELb1ELb1EPKfS0_fEv17rocblas_diagonal_iiT6_lPT7_lllS5_lllPT8_llli
	.p2align	8
	.type	_ZL30rocblas_trmm_outofplace_kernelIfLi32ELi2ELb0ELb1ELb1ELb1EPKfS0_fEv17rocblas_diagonal_iiT6_lPT7_lllS5_lllPT8_llli,@function
_ZL30rocblas_trmm_outofplace_kernelIfLi32ELi2ELb0ELb1ELb1ELb1EPKfS0_fEv17rocblas_diagonal_iiT6_lPT7_lllS5_lllPT8_llli: ; @_ZL30rocblas_trmm_outofplace_kernelIfLi32ELi2ELb0ELb1ELb1ELb1EPKfS0_fEv17rocblas_diagonal_iiT6_lPT7_lllS5_lllPT8_llli
; %bb.0:
	s_load_dwordx16 s[12:27], s[4:5], 0x10
	s_waitcnt lgkmcnt(0)
	s_mul_i32 s0, s15, s8
	s_mul_hi_u32 s1, s14, s8
	s_add_i32 s1, s1, s0
	s_mul_i32 s0, s14, s8
	s_lshl_b64 s[0:1], s[0:1], 2
	s_add_u32 s0, s12, s0
	s_addc_u32 s1, s13, s1
	s_load_dword s11, s[0:1], 0x0
	s_waitcnt lgkmcnt(0)
	v_cmp_eq_f32_e64 s0, s11, 0
	s_and_b32 vcc_lo, exec_lo, s0
	s_cbranch_vccnz .LBB22_51
; %bb.1:
	s_load_dwordx4 s[12:15], s[4:5], 0x0
	s_waitcnt lgkmcnt(0)
	s_add_i32 s0, s14, -1
	s_ashr_i32 s1, s0, 31
	s_lshr_b32 s1, s1, 27
	s_add_i32 s0, s0, s1
	s_ashr_i32 s33, s0, 5
	s_cmp_gt_i32 s7, s33
	s_cbranch_scc1 .LBB22_51
; %bb.2:
	s_clause 0x2
	s_load_dwordx4 s[28:31], s[4:5], 0x70
	s_load_dwordx8 s[36:43], s[4:5], 0x50
	s_load_dword s44, s[4:5], 0x8c
	v_lshl_add_u32 v2, s6, 5, v0
	v_lshlrev_b32_e32 v42, 7, v1
	v_lshlrev_b32_e32 v4, 2, v0
	v_mov_b32_e32 v46, 1.0
	v_add_nc_u32_e32 v10, 16, v2
	v_ashrrev_i32_e32 v3, 31, v2
	v_add_nc_u32_e32 v43, v42, v4
	v_or_b32_e32 v44, 0x1000, v4
	v_cmp_gt_i32_e32 vcc_lo, s13, v2
	v_ashrrev_i32_e32 v11, 31, v10
	v_lshlrev_b64 v[14:15], 2, v[2:3]
	v_add_nc_u32_e32 v45, v44, v42
	v_add_nc_u32_e32 v47, 0x400, v44
	;; [unrolled: 1-line block ×4, first 2 shown]
	s_waitcnt lgkmcnt(0)
	s_mul_i32 s1, s31, s8
	s_mul_hi_u32 s2, s30, s8
	s_mul_i32 s0, s30, s8
	s_add_i32 s1, s2, s1
	s_mul_hi_u32 s5, s38, s8
	s_lshl_b64 s[0:1], s[0:1], 2
	s_add_u32 s4, s40, s0
	s_addc_u32 s1, s41, s1
	s_lshl_b64 s[2:3], s[42:43], 2
	v_cmp_gt_i32_e64 s0, s13, v10
	s_add_u32 s42, s4, s2
	s_addc_u32 s43, s1, s3
	s_cmpk_eq_i32 s12, 0x84
	v_sub_co_u32 v4, s1, s13, v2
	s_cselect_b32 s45, -1, 0
	s_ashr_i32 s15, s14, 31
	s_ashr_i32 s2, s13, 31
	s_lshl_b64 s[30:31], s[20:21], 7
	s_lshl_b64 s[34:35], s[36:37], 7
	s_add_u32 s12, s14, -16
	s_addc_u32 s13, s15, -1
	s_lshl_b32 s3, s7, 5
	s_lshl_b32 s46, s44, 5
	s_mul_i32 s4, s39, s8
	s_add_u32 s40, s24, 64
	s_addc_u32 s41, s25, 0
	s_add_i32 s5, s5, s4
	s_mul_i32 s4, s38, s8
	s_lshl_b64 s[38:39], s[26:27], 2
	s_lshl_b64 s[4:5], s[4:5], 2
	;; [unrolled: 1-line block ×3, first 2 shown]
	s_add_u32 s6, s4, s38
	v_sub_co_ci_u32_e64 v5, null, s2, v3, s1
	s_addc_u32 s10, s5, s39
	s_mul_i32 s4, s23, s8
	s_mul_hi_u32 s5, s22, s8
	v_add_nc_u32_e32 v12, s3, v0
	s_add_i32 s5, s5, s4
	s_mul_i32 s4, s22, s8
	v_add_nc_u32_e32 v16, s3, v1
	s_lshl_b64 s[4:5], s[4:5], 2
	s_lshl_b64 s[8:9], s[18:19], 2
	v_add_co_u32 v18, s3, s6, v14
	v_cmp_gt_i64_e64 s1, 1, v[4:5]
	v_cmp_gt_i64_e64 s2, 17, v[4:5]
	v_add_co_ci_u32_e64 v19, null, s10, v15, s3
	s_add_u32 s3, s4, s8
	v_mov_b32_e32 v0, 0
	s_addc_u32 s4, s5, s9
	s_add_u32 s16, s16, s3
	s_addc_u32 s17, s17, s4
	s_lshl_b64 s[18:19], s[20:21], 2
	s_branch .LBB22_4
.LBB22_3:                               ;   in Loop: Header=BB22_4 Depth=1
	s_or_b32 exec_lo, exec_lo, s4
	v_add_nc_u32_e32 v12, s46, v12
	v_add_nc_u32_e32 v16, s46, v16
	s_add_i32 s7, s44, s7
	s_cmp_le_i32 s7, s33
	s_cbranch_scc0 .LBB22_51
.LBB22_4:                               ; =>This Loop Header: Depth=1
                                        ;     Child Loop BB22_7 Depth 2
	s_lshl_b32 s3, s7, 5
	v_ashrrev_i32_e32 v13, 31, v12
	v_add_nc_u32_e32 v20, s3, v1
	v_ashrrev_i32_e32 v17, 31, v16
	v_mov_b32_e32 v53, 0
	v_mov_b32_e32 v52, 0
	;; [unrolled: 1-line block ×3, first 2 shown]
	v_ashrrev_i32_e32 v21, 31, v20
	v_mov_b32_e32 v50, 0
	s_sub_i32 s38, s14, s3
	s_cmp_lt_i32 s38, 1
	s_cbranch_scc1 .LBB22_43
; %bb.5:                                ;   in Loop: Header=BB22_4 Depth=1
	v_lshlrev_b64 v[2:3], 2, v[12:13]
	v_sub_co_u32 v22, s3, v16, v12
	v_lshlrev_b64 v[26:27], 2, v[16:17]
	v_sub_co_ci_u32_e64 v23, null, v17, v13, s3
	v_add_co_u32 v2, s3, v2, 64
	v_add_co_ci_u32_e64 v3, null, 0, v3, s3
	v_mad_u64_u32 v[24:25], null, s26, v16, s[40:41]
	v_mul_lo_u32 v6, s21, v2
	v_mad_u64_u32 v[28:29], null, s20, v2, s[16:17]
	v_add_co_u32 v2, s3, v26, 64
	v_add_co_ci_u32_e64 v7, null, 0, v27, s3
	v_mul_lo_u32 v4, s26, v17
	v_mul_lo_u32 v36, s37, v2
	v_mad_u64_u32 v[32:33], null, s36, v2, s[24:25]
	v_mul_lo_u32 v7, s36, v7
	v_mul_lo_u32 v5, s27, v16
	;; [unrolled: 1-line block ×3, first 2 shown]
	v_mad_u64_u32 v[30:31], null, s18, v12, s[16:17]
	v_mul_lo_u32 v8, s18, v13
	v_mul_lo_u32 v9, s19, v12
	v_add_co_u32 v34, s3, v20, 16
	v_add_co_ci_u32_e64 v35, null, 0, v21, s3
	v_add3_u32 v33, v36, v33, v7
	v_add_co_u32 v36, s5, v22, 16
	v_add_co_ci_u32_e64 v37, null, 0, v23, s5
	v_add_co_u32 v38, s5, v22, -16
	v_cmp_le_i64_e64 s4, s[14:15], v[34:35]
	v_mov_b32_e32 v41, v19
	v_add3_u32 v25, v5, v25, v4
	v_add3_u32 v29, v6, v29, v3
	;; [unrolled: 1-line block ×3, first 2 shown]
	v_cmp_le_i32_e64 s3, s14, v20
	v_add_co_ci_u32_e64 v39, null, -1, v23, s5
	v_mov_b32_e32 v50, 0
	v_mov_b32_e32 v40, v18
	;; [unrolled: 1-line block ×5, first 2 shown]
	s_mov_b64 s[22:23], 0
	s_branch .LBB22_7
.LBB22_6:                               ;   in Loop: Header=BB22_7 Depth=2
	s_or_b32 exec_lo, exec_lo, s5
	s_waitcnt lgkmcnt(0)
	s_barrier
	buffer_gl0_inv
	ds_read_b128 v[54:57], v42
	ds_read_b128 v[58:61], v42 offset:16
	ds_read_b128 v[6:9], v42 offset:32
	;; [unrolled: 1-line block ×3, first 2 shown]
	ds_read2_b32 v[66:67], v44 offset1:16
	ds_read_b128 v[62:65], v42 offset:2048
	v_add_co_u32 v40, s5, v40, s34
	v_add_co_ci_u32_e64 v41, null, s35, v41, s5
	v_add_co_u32 v28, s5, v28, s30
	v_add_co_ci_u32_e64 v29, null, s31, v29, s5
	;; [unrolled: 2-line block ×3, first 2 shown]
	s_add_u32 s22, s22, 32
	s_addc_u32 s23, s23, 0
	s_cmp_ge_i32 s22, s38
	s_waitcnt lgkmcnt(1)
	v_fmac_f32_e32 v53, v66, v54
	v_fmac_f32_e32 v52, v67, v54
	s_waitcnt lgkmcnt(0)
	v_fmac_f32_e32 v51, v66, v62
	v_fmac_f32_e32 v50, v67, v62
	ds_read2_b32 v[66:67], v44 offset0:32 offset1:48
	s_waitcnt lgkmcnt(0)
	v_fmac_f32_e32 v53, v66, v55
	v_fmac_f32_e32 v52, v67, v55
	ds_read2_b32 v[54:55], v44 offset0:64 offset1:80
	v_fmac_f32_e32 v51, v66, v63
	v_fmac_f32_e32 v50, v67, v63
	ds_read2_b32 v[62:63], v44 offset0:128 offset1:144
	s_waitcnt lgkmcnt(1)
	v_fmac_f32_e32 v53, v54, v56
	v_fmac_f32_e32 v52, v55, v56
	;; [unrolled: 1-line block ×4, first 2 shown]
	ds_read2_b32 v[54:55], v44 offset0:96 offset1:112
	s_waitcnt lgkmcnt(0)
	v_fmac_f32_e32 v53, v54, v57
	v_fmac_f32_e32 v52, v55, v57
	v_fmac_f32_e32 v51, v54, v65
	v_fmac_f32_e32 v50, v55, v65
	ds_read_b128 v[54:57], v42 offset:2064
	v_fmac_f32_e32 v53, v62, v58
	v_fmac_f32_e32 v52, v63, v58
	s_waitcnt lgkmcnt(0)
	v_fmac_f32_e32 v51, v62, v54
	v_fmac_f32_e32 v50, v63, v54
	ds_read2_b32 v[62:63], v44 offset0:160 offset1:176
	s_waitcnt lgkmcnt(0)
	v_fmac_f32_e32 v51, v62, v55
	v_fmac_f32_e32 v50, v63, v55
	ds_read2_b32 v[54:55], v44 offset0:192 offset1:208
	v_fmac_f32_e32 v53, v62, v59
	v_fmac_f32_e32 v52, v63, v59
	ds_read2_b32 v[58:59], v47 offset1:16
	s_waitcnt lgkmcnt(1)
	v_fmac_f32_e32 v53, v54, v60
	v_fmac_f32_e32 v52, v55, v60
	v_fmac_f32_e32 v51, v54, v56
	v_fmac_f32_e32 v50, v55, v56
	ds_read2_b32 v[54:55], v44 offset0:224 offset1:240
	s_waitcnt lgkmcnt(0)
	v_fmac_f32_e32 v53, v54, v61
	v_fmac_f32_e32 v52, v55, v61
	;; [unrolled: 1-line block ×4, first 2 shown]
	ds_read_b128 v[54:57], v42 offset:2080
	v_fmac_f32_e32 v53, v58, v6
	v_fmac_f32_e32 v52, v59, v6
	s_waitcnt lgkmcnt(0)
	v_fmac_f32_e32 v51, v58, v54
	v_fmac_f32_e32 v50, v59, v54
	ds_read2_b32 v[58:59], v47 offset0:32 offset1:48
	s_waitcnt lgkmcnt(0)
	v_fmac_f32_e32 v53, v58, v7
	v_fmac_f32_e32 v52, v59, v7
	ds_read2_b32 v[6:7], v47 offset0:64 offset1:80
	v_fmac_f32_e32 v51, v58, v55
	v_fmac_f32_e32 v50, v59, v55
	ds_read2_b32 v[54:55], v47 offset0:128 offset1:144
	s_waitcnt lgkmcnt(1)
	v_fmac_f32_e32 v53, v6, v8
	v_fmac_f32_e32 v52, v7, v8
	;; [unrolled: 1-line block ×4, first 2 shown]
	ds_read2_b32 v[6:7], v47 offset0:96 offset1:112
	s_waitcnt lgkmcnt(0)
	v_fmac_f32_e32 v53, v6, v9
	v_fmac_f32_e32 v52, v7, v9
	;; [unrolled: 1-line block ×4, first 2 shown]
	ds_read_b128 v[6:9], v42 offset:2096
	v_fmac_f32_e32 v53, v54, v2
	v_fmac_f32_e32 v52, v55, v2
	s_waitcnt lgkmcnt(0)
	v_fmac_f32_e32 v51, v54, v6
	v_fmac_f32_e32 v50, v55, v6
	ds_read2_b32 v[54:55], v47 offset0:160 offset1:176
	s_waitcnt lgkmcnt(0)
	v_fmac_f32_e32 v53, v54, v3
	v_fmac_f32_e32 v52, v55, v3
	ds_read2_b32 v[2:3], v47 offset0:192 offset1:208
	v_fmac_f32_e32 v51, v54, v7
	v_fmac_f32_e32 v50, v55, v7
	s_waitcnt lgkmcnt(0)
	v_fmac_f32_e32 v53, v2, v4
	v_fmac_f32_e32 v52, v3, v4
	;; [unrolled: 1-line block ×4, first 2 shown]
	ds_read2_b32 v[2:3], v47 offset0:224 offset1:240
	s_waitcnt lgkmcnt(0)
	v_fmac_f32_e32 v53, v2, v5
	v_fmac_f32_e32 v52, v3, v5
	;; [unrolled: 1-line block ×4, first 2 shown]
	ds_read_b128 v[2:5], v42 offset:64
	ds_read2_b32 v[54:55], v48 offset1:16
	ds_read_b128 v[6:9], v42 offset:2112
	s_waitcnt lgkmcnt(1)
	v_fmac_f32_e32 v53, v54, v2
	v_fmac_f32_e32 v52, v55, v2
	s_waitcnt lgkmcnt(0)
	v_fmac_f32_e32 v51, v54, v6
	v_fmac_f32_e32 v50, v55, v6
	ds_read2_b32 v[54:55], v48 offset0:32 offset1:48
	s_waitcnt lgkmcnt(0)
	v_fmac_f32_e32 v53, v54, v3
	v_fmac_f32_e32 v52, v55, v3
	ds_read2_b32 v[2:3], v48 offset0:64 offset1:80
	v_fmac_f32_e32 v51, v54, v7
	v_fmac_f32_e32 v50, v55, v7
	s_waitcnt lgkmcnt(0)
	v_fmac_f32_e32 v53, v2, v4
	v_fmac_f32_e32 v52, v3, v4
	;; [unrolled: 1-line block ×4, first 2 shown]
	ds_read2_b32 v[2:3], v48 offset0:96 offset1:112
	s_waitcnt lgkmcnt(0)
	v_fmac_f32_e32 v53, v2, v5
	v_fmac_f32_e32 v52, v3, v5
	;; [unrolled: 1-line block ×4, first 2 shown]
	ds_read_b128 v[2:5], v42 offset:80
	ds_read2_b32 v[54:55], v48 offset0:128 offset1:144
	ds_read_b128 v[6:9], v42 offset:2128
	s_waitcnt lgkmcnt(1)
	v_fmac_f32_e32 v53, v54, v2
	v_fmac_f32_e32 v52, v55, v2
	s_waitcnt lgkmcnt(0)
	v_fmac_f32_e32 v51, v54, v6
	v_fmac_f32_e32 v50, v55, v6
	ds_read2_b32 v[54:55], v48 offset0:160 offset1:176
	s_waitcnt lgkmcnt(0)
	v_fmac_f32_e32 v53, v54, v3
	v_fmac_f32_e32 v52, v55, v3
	ds_read2_b32 v[2:3], v48 offset0:192 offset1:208
	v_fmac_f32_e32 v51, v54, v7
	v_fmac_f32_e32 v50, v55, v7
	s_waitcnt lgkmcnt(0)
	v_fmac_f32_e32 v53, v2, v4
	v_fmac_f32_e32 v52, v3, v4
	v_fmac_f32_e32 v51, v2, v8
	v_fmac_f32_e32 v50, v3, v8
	ds_read2_b32 v[2:3], v48 offset0:224 offset1:240
	s_waitcnt lgkmcnt(0)
	v_fmac_f32_e32 v53, v2, v5
	v_fmac_f32_e32 v52, v3, v5
	;; [unrolled: 1-line block ×4, first 2 shown]
	ds_read_b128 v[2:5], v42 offset:96
	ds_read2_b32 v[54:55], v49 offset1:16
	ds_read_b128 v[6:9], v42 offset:2144
	s_waitcnt lgkmcnt(1)
	v_fmac_f32_e32 v53, v54, v2
	v_fmac_f32_e32 v52, v55, v2
	s_waitcnt lgkmcnt(0)
	v_fmac_f32_e32 v51, v54, v6
	v_fmac_f32_e32 v50, v55, v6
	ds_read2_b32 v[54:55], v49 offset0:32 offset1:48
	s_waitcnt lgkmcnt(0)
	v_fmac_f32_e32 v53, v54, v3
	v_fmac_f32_e32 v52, v55, v3
	ds_read2_b32 v[2:3], v49 offset0:64 offset1:80
	v_fmac_f32_e32 v51, v54, v7
	v_fmac_f32_e32 v50, v55, v7
	s_waitcnt lgkmcnt(0)
	v_fmac_f32_e32 v53, v2, v4
	v_fmac_f32_e32 v52, v3, v4
	;; [unrolled: 1-line block ×4, first 2 shown]
	ds_read2_b32 v[2:3], v49 offset0:96 offset1:112
	s_waitcnt lgkmcnt(0)
	v_fmac_f32_e32 v53, v2, v5
	v_fmac_f32_e32 v52, v3, v5
	;; [unrolled: 1-line block ×4, first 2 shown]
	ds_read_b128 v[2:5], v42 offset:112
	ds_read2_b32 v[54:55], v49 offset0:128 offset1:144
	ds_read_b128 v[6:9], v42 offset:2160
	s_waitcnt lgkmcnt(1)
	v_fmac_f32_e32 v53, v54, v2
	v_fmac_f32_e32 v52, v55, v2
	s_waitcnt lgkmcnt(0)
	v_fmac_f32_e32 v51, v54, v6
	v_fmac_f32_e32 v50, v55, v6
	ds_read2_b32 v[54:55], v49 offset0:160 offset1:176
	s_waitcnt lgkmcnt(0)
	v_fmac_f32_e32 v53, v54, v3
	v_fmac_f32_e32 v52, v55, v3
	ds_read2_b32 v[2:3], v49 offset0:192 offset1:208
	v_fmac_f32_e32 v51, v54, v7
	v_fmac_f32_e32 v50, v55, v7
	s_waitcnt lgkmcnt(0)
	v_fmac_f32_e32 v53, v2, v4
	v_fmac_f32_e32 v52, v3, v4
	;; [unrolled: 1-line block ×4, first 2 shown]
	ds_read2_b32 v[2:3], v49 offset0:224 offset1:240
	s_waitcnt lgkmcnt(0)
	s_barrier
	buffer_gl0_inv
	v_fmac_f32_e32 v53, v2, v5
	v_fmac_f32_e32 v52, v3, v5
	;; [unrolled: 1-line block ×4, first 2 shown]
	s_cbranch_scc1 .LBB22_43
.LBB22_7:                               ;   Parent Loop BB22_4 Depth=1
                                        ; =>  This Inner Loop Header: Depth=2
	v_add_co_u32 v2, s5, v12, s22
	v_add_co_ci_u32_e64 v3, null, s23, v13, s5
	v_cmp_eq_u64_e64 s8, s[22:23], v[22:23]
	v_add_co_u32 v4, s9, v30, v26
	v_cmp_lt_i64_e64 s5, v[2:3], v[20:21]
	v_cmp_le_i64_e64 s6, s[14:15], v[2:3]
	v_add_co_ci_u32_e64 v5, null, v31, v27, s9
	s_and_b32 s39, s45, s8
                                        ; implicit-def: $vgpr6
	s_or_b32 s9, s3, s5
	s_or_b32 s8, s6, s9
	s_nor_b32 s8, s8, s39
	s_and_saveexec_b32 s9, s8
	s_xor_b32 s8, exec_lo, s9
	s_cbranch_execz .LBB22_9
; %bb.8:                                ;   in Loop: Header=BB22_7 Depth=2
	global_load_dword v6, v[4:5], off
.LBB22_9:                               ;   in Loop: Header=BB22_7 Depth=2
	s_andn2_saveexec_b32 s8, s8
	s_cbranch_execz .LBB22_11
; %bb.10:                               ;   in Loop: Header=BB22_7 Depth=2
	s_waitcnt vmcnt(0)
	v_cndmask_b32_e64 v6, 0, 1.0, s39
.LBB22_11:                              ;   in Loop: Header=BB22_7 Depth=2
	s_or_b32 exec_lo, exec_lo, s8
	v_add_co_u32 v7, s8, v2, 16
	v_add_co_ci_u32_e64 v8, null, 0, v3, s8
	v_cmp_eq_u64_e64 s10, s[22:23], v[38:39]
	s_waitcnt vmcnt(0)
	ds_write_b32 v43, v6
	v_cmp_lt_i64_e64 s9, v[7:8], v[20:21]
	v_cmp_le_i64_e64 s8, s[14:15], v[7:8]
	s_and_b32 s10, s45, s10
	s_or_b32 s9, s3, s9
	s_or_b32 s9, s8, s9
	s_nor_b32 s9, s9, s10
	s_and_saveexec_b32 s47, s9
	s_xor_b32 s47, exec_lo, s47
	s_cbranch_execz .LBB22_13
; %bb.12:                               ;   in Loop: Header=BB22_7 Depth=2
	v_add_co_u32 v6, s9, v28, v26
	v_add_co_ci_u32_e64 v7, null, v29, v27, s9
	global_load_dword v6, v[6:7], off
	s_waitcnt vmcnt(0)
	ds_write_b32 v43, v6 offset:64
.LBB22_13:                              ;   in Loop: Header=BB22_7 Depth=2
	s_andn2_saveexec_b32 s9, s47
	s_cbranch_execz .LBB22_19
; %bb.14:                               ;   in Loop: Header=BB22_7 Depth=2
	s_xor_b32 s10, s10, -1
	s_and_saveexec_b32 s47, s10
	s_xor_b32 s10, exec_lo, s47
; %bb.15:                               ;   in Loop: Header=BB22_7 Depth=2
	ds_write_b32 v43, v0 offset:64
; %bb.16:                               ;   in Loop: Header=BB22_7 Depth=2
	s_andn2_saveexec_b32 s10, s10
; %bb.17:                               ;   in Loop: Header=BB22_7 Depth=2
	ds_write_b32 v43, v46 offset:64
; %bb.18:                               ;   in Loop: Header=BB22_7 Depth=2
	s_or_b32 exec_lo, exec_lo, s10
.LBB22_19:                              ;   in Loop: Header=BB22_7 Depth=2
	s_or_b32 exec_lo, exec_lo, s9
	v_cmp_eq_u64_e64 s9, s[22:23], v[36:37]
	v_cmp_lt_i64_e64 s10, v[2:3], v[34:35]
                                        ; implicit-def: $vgpr2
	s_and_b32 s9, s45, s9
	s_or_b32 s10, s4, s10
	s_or_b32 s10, s10, s9
	s_nor_b32 s6, s6, s10
	s_and_saveexec_b32 s10, s6
	s_xor_b32 s6, exec_lo, s10
	s_cbranch_execz .LBB22_21
; %bb.20:                               ;   in Loop: Header=BB22_7 Depth=2
	global_load_dword v2, v[4:5], off offset:64
.LBB22_21:                              ;   in Loop: Header=BB22_7 Depth=2
	s_andn2_saveexec_b32 s6, s6
	s_cbranch_execz .LBB22_23
; %bb.22:                               ;   in Loop: Header=BB22_7 Depth=2
	s_waitcnt vmcnt(0)
	v_cndmask_b32_e64 v2, 0, 1.0, s9
.LBB22_23:                              ;   in Loop: Header=BB22_7 Depth=2
	s_or_b32 exec_lo, exec_lo, s6
	s_or_b32 s5, s4, s5
	s_waitcnt vmcnt(0)
	ds_write_b32 v43, v2 offset:2048
	s_or_b32 s5, s8, s5
	s_nor_b32 s5, s5, s39
	s_and_saveexec_b32 s6, s5
	s_xor_b32 s6, exec_lo, s6
	s_cbranch_execz .LBB22_25
; %bb.24:                               ;   in Loop: Header=BB22_7 Depth=2
	v_add_co_u32 v2, s5, v28, v26
	v_add_co_ci_u32_e64 v3, null, v29, v27, s5
	global_load_dword v2, v[2:3], off offset:64
	s_waitcnt vmcnt(0)
	ds_write_b32 v43, v2 offset:2112
.LBB22_25:                              ;   in Loop: Header=BB22_7 Depth=2
	s_andn2_saveexec_b32 s5, s6
	s_cbranch_execz .LBB22_31
; %bb.26:                               ;   in Loop: Header=BB22_7 Depth=2
	s_xor_b32 s6, s39, -1
	s_and_saveexec_b32 s8, s6
	s_xor_b32 s6, exec_lo, s8
; %bb.27:                               ;   in Loop: Header=BB22_7 Depth=2
	ds_write_b32 v43, v0 offset:2112
; %bb.28:                               ;   in Loop: Header=BB22_7 Depth=2
	s_andn2_saveexec_b32 s6, s6
; %bb.29:                               ;   in Loop: Header=BB22_7 Depth=2
	ds_write_b32 v43, v46 offset:2112
; %bb.30:                               ;   in Loop: Header=BB22_7 Depth=2
	s_or_b32 exec_lo, exec_lo, s6
.LBB22_31:                              ;   in Loop: Header=BB22_7 Depth=2
	s_or_b32 exec_lo, exec_lo, s5
	v_add_co_u32 v2, s5, v16, s22
	v_add_co_ci_u32_e64 v3, null, s23, v17, s5
	v_add_co_u32 v4, s6, v24, v40
	v_add_co_ci_u32_e64 v5, null, v25, v41, s6
	v_cmp_le_i64_e64 s5, s[14:15], v[2:3]
	v_mov_b32_e32 v6, 0
	s_nor_b32 s8, s5, s1
	s_and_saveexec_b32 s6, s8
	s_cbranch_execz .LBB22_33
; %bb.32:                               ;   in Loop: Header=BB22_7 Depth=2
	global_load_dword v6, v[4:5], off offset:-64
.LBB22_33:                              ;   in Loop: Header=BB22_7 Depth=2
	s_or_b32 exec_lo, exec_lo, s6
	s_nor_b32 s5, s5, s2
	s_waitcnt vmcnt(0)
	ds_write_b32 v45, v6
	s_and_saveexec_b32 s6, s5
	s_xor_b32 s5, exec_lo, s6
	s_cbranch_execz .LBB22_35
; %bb.34:                               ;   in Loop: Header=BB22_7 Depth=2
	global_load_dword v4, v[4:5], off
	s_waitcnt vmcnt(0)
	ds_write_b32 v45, v4 offset:64
.LBB22_35:                              ;   in Loop: Header=BB22_7 Depth=2
	s_andn2_saveexec_b32 s5, s5
; %bb.36:                               ;   in Loop: Header=BB22_7 Depth=2
	ds_write_b32 v45, v0 offset:64
; %bb.37:                               ;   in Loop: Header=BB22_7 Depth=2
	s_or_b32 exec_lo, exec_lo, s5
	v_cmp_le_i64_e64 s5, s[12:13], v[2:3]
	v_add_co_u32 v2, s6, v32, v40
	v_add_co_ci_u32_e64 v3, null, v33, v41, s6
	v_mov_b32_e32 v4, 0
	s_nor_b32 s8, s5, s1
	s_and_saveexec_b32 s6, s8
	s_cbranch_execz .LBB22_39
; %bb.38:                               ;   in Loop: Header=BB22_7 Depth=2
	global_load_dword v4, v[2:3], off
.LBB22_39:                              ;   in Loop: Header=BB22_7 Depth=2
	s_or_b32 exec_lo, exec_lo, s6
	s_nor_b32 s5, s5, s2
	s_waitcnt vmcnt(0)
	ds_write_b32 v45, v4 offset:2048
	s_and_saveexec_b32 s6, s5
	s_xor_b32 s5, exec_lo, s6
	s_cbranch_execz .LBB22_41
; %bb.40:                               ;   in Loop: Header=BB22_7 Depth=2
	global_load_dword v2, v[2:3], off offset:64
	s_waitcnt vmcnt(0)
	ds_write_b32 v45, v2 offset:2112
.LBB22_41:                              ;   in Loop: Header=BB22_7 Depth=2
	s_andn2_saveexec_b32 s5, s5
	s_cbranch_execz .LBB22_6
; %bb.42:                               ;   in Loop: Header=BB22_7 Depth=2
	ds_write_b32 v45, v0 offset:2112
	s_branch .LBB22_6
.LBB22_43:                              ;   in Loop: Header=BB22_4 Depth=1
	v_mul_lo_u32 v4, s29, v20
	v_mul_lo_u32 v5, s28, v21
	v_mad_u64_u32 v[2:3], null, s28, v20, 0
	v_cmp_gt_i32_e64 s3, s14, v20
	v_add3_u32 v3, v3, v5, v4
	v_lshlrev_b64 v[2:3], 2, v[2:3]
	v_add_co_u32 v2, s4, s42, v2
	v_add_co_ci_u32_e64 v3, null, s43, v3, s4
	s_and_b32 s4, vcc_lo, s3
	s_and_saveexec_b32 s5, s4
	s_cbranch_execz .LBB22_45
; %bb.44:                               ;   in Loop: Header=BB22_4 Depth=1
	v_add_co_u32 v4, s4, v2, v14
	v_add_co_ci_u32_e64 v5, null, v3, v15, s4
	global_load_dword v6, v[4:5], off
	s_waitcnt vmcnt(0)
	v_fmac_f32_e32 v6, s11, v53
	global_store_dword v[4:5], v6, off
.LBB22_45:                              ;   in Loop: Header=BB22_4 Depth=1
	s_or_b32 exec_lo, exec_lo, s5
	s_and_b32 s3, s0, s3
	s_and_saveexec_b32 s4, s3
	s_cbranch_execz .LBB22_47
; %bb.46:                               ;   in Loop: Header=BB22_4 Depth=1
	v_lshlrev_b64 v[4:5], 2, v[10:11]
	v_add_co_u32 v2, s3, v2, v4
	v_add_co_ci_u32_e64 v3, null, v3, v5, s3
	global_load_dword v4, v[2:3], off
	s_waitcnt vmcnt(0)
	v_fmac_f32_e32 v4, s11, v52
	global_store_dword v[2:3], v4, off
.LBB22_47:                              ;   in Loop: Header=BB22_4 Depth=1
	s_or_b32 exec_lo, exec_lo, s4
	v_add_nc_u32_e32 v4, 16, v20
	v_ashrrev_i32_e32 v5, 31, v4
	v_mul_lo_u32 v6, s29, v4
	v_mad_u64_u32 v[2:3], null, s28, v4, 0
	v_cmp_gt_i32_e64 s3, s14, v4
	v_mul_lo_u32 v5, s28, v5
	v_add3_u32 v3, v3, v5, v6
	v_lshlrev_b64 v[2:3], 2, v[2:3]
	v_add_co_u32 v2, s4, s42, v2
	v_add_co_ci_u32_e64 v3, null, s43, v3, s4
	s_and_b32 s4, vcc_lo, s3
	s_and_saveexec_b32 s5, s4
	s_cbranch_execz .LBB22_49
; %bb.48:                               ;   in Loop: Header=BB22_4 Depth=1
	v_add_co_u32 v4, s4, v2, v14
	v_add_co_ci_u32_e64 v5, null, v3, v15, s4
	global_load_dword v6, v[4:5], off
	s_waitcnt vmcnt(0)
	v_fmac_f32_e32 v6, s11, v51
	global_store_dword v[4:5], v6, off
.LBB22_49:                              ;   in Loop: Header=BB22_4 Depth=1
	s_or_b32 exec_lo, exec_lo, s5
	s_and_b32 s3, s0, s3
	s_and_saveexec_b32 s4, s3
	s_cbranch_execz .LBB22_3
; %bb.50:                               ;   in Loop: Header=BB22_4 Depth=1
	v_lshlrev_b64 v[4:5], 2, v[10:11]
	v_add_co_u32 v2, s3, v2, v4
	v_add_co_ci_u32_e64 v3, null, v3, v5, s3
	global_load_dword v4, v[2:3], off
	s_waitcnt vmcnt(0)
	v_fmac_f32_e32 v4, s11, v50
	global_store_dword v[2:3], v4, off
	s_branch .LBB22_3
.LBB22_51:
	s_endpgm
	.section	.rodata,"a",@progbits
	.p2align	6, 0x0
	.amdhsa_kernel _ZL30rocblas_trmm_outofplace_kernelIfLi32ELi2ELb0ELb1ELb1ELb1EPKfS0_fEv17rocblas_diagonal_iiT6_lPT7_lllS5_lllPT8_llli
		.amdhsa_group_segment_fixed_size 8192
		.amdhsa_private_segment_fixed_size 0
		.amdhsa_kernarg_size 392
		.amdhsa_user_sgpr_count 6
		.amdhsa_user_sgpr_private_segment_buffer 1
		.amdhsa_user_sgpr_dispatch_ptr 0
		.amdhsa_user_sgpr_queue_ptr 0
		.amdhsa_user_sgpr_kernarg_segment_ptr 1
		.amdhsa_user_sgpr_dispatch_id 0
		.amdhsa_user_sgpr_flat_scratch_init 0
		.amdhsa_user_sgpr_private_segment_size 0
		.amdhsa_wavefront_size32 1
		.amdhsa_uses_dynamic_stack 0
		.amdhsa_system_sgpr_private_segment_wavefront_offset 0
		.amdhsa_system_sgpr_workgroup_id_x 1
		.amdhsa_system_sgpr_workgroup_id_y 1
		.amdhsa_system_sgpr_workgroup_id_z 1
		.amdhsa_system_sgpr_workgroup_info 0
		.amdhsa_system_vgpr_workitem_id 1
		.amdhsa_next_free_vgpr 68
		.amdhsa_next_free_sgpr 48
		.amdhsa_reserve_vcc 1
		.amdhsa_reserve_flat_scratch 0
		.amdhsa_float_round_mode_32 0
		.amdhsa_float_round_mode_16_64 0
		.amdhsa_float_denorm_mode_32 3
		.amdhsa_float_denorm_mode_16_64 3
		.amdhsa_dx10_clamp 1
		.amdhsa_ieee_mode 1
		.amdhsa_fp16_overflow 0
		.amdhsa_workgroup_processor_mode 1
		.amdhsa_memory_ordered 1
		.amdhsa_forward_progress 1
		.amdhsa_shared_vgpr_count 0
		.amdhsa_exception_fp_ieee_invalid_op 0
		.amdhsa_exception_fp_denorm_src 0
		.amdhsa_exception_fp_ieee_div_zero 0
		.amdhsa_exception_fp_ieee_overflow 0
		.amdhsa_exception_fp_ieee_underflow 0
		.amdhsa_exception_fp_ieee_inexact 0
		.amdhsa_exception_int_div_zero 0
	.end_amdhsa_kernel
	.section	.text._ZL30rocblas_trmm_outofplace_kernelIfLi32ELi2ELb0ELb1ELb1ELb1EPKfS0_fEv17rocblas_diagonal_iiT6_lPT7_lllS5_lllPT8_llli,"axG",@progbits,_ZL30rocblas_trmm_outofplace_kernelIfLi32ELi2ELb0ELb1ELb1ELb1EPKfS0_fEv17rocblas_diagonal_iiT6_lPT7_lllS5_lllPT8_llli,comdat
.Lfunc_end22:
	.size	_ZL30rocblas_trmm_outofplace_kernelIfLi32ELi2ELb0ELb1ELb1ELb1EPKfS0_fEv17rocblas_diagonal_iiT6_lPT7_lllS5_lllPT8_llli, .Lfunc_end22-_ZL30rocblas_trmm_outofplace_kernelIfLi32ELi2ELb0ELb1ELb1ELb1EPKfS0_fEv17rocblas_diagonal_iiT6_lPT7_lllS5_lllPT8_llli
                                        ; -- End function
	.set _ZL30rocblas_trmm_outofplace_kernelIfLi32ELi2ELb0ELb1ELb1ELb1EPKfS0_fEv17rocblas_diagonal_iiT6_lPT7_lllS5_lllPT8_llli.num_vgpr, 68
	.set _ZL30rocblas_trmm_outofplace_kernelIfLi32ELi2ELb0ELb1ELb1ELb1EPKfS0_fEv17rocblas_diagonal_iiT6_lPT7_lllS5_lllPT8_llli.num_agpr, 0
	.set _ZL30rocblas_trmm_outofplace_kernelIfLi32ELi2ELb0ELb1ELb1ELb1EPKfS0_fEv17rocblas_diagonal_iiT6_lPT7_lllS5_lllPT8_llli.numbered_sgpr, 48
	.set _ZL30rocblas_trmm_outofplace_kernelIfLi32ELi2ELb0ELb1ELb1ELb1EPKfS0_fEv17rocblas_diagonal_iiT6_lPT7_lllS5_lllPT8_llli.num_named_barrier, 0
	.set _ZL30rocblas_trmm_outofplace_kernelIfLi32ELi2ELb0ELb1ELb1ELb1EPKfS0_fEv17rocblas_diagonal_iiT6_lPT7_lllS5_lllPT8_llli.private_seg_size, 0
	.set _ZL30rocblas_trmm_outofplace_kernelIfLi32ELi2ELb0ELb1ELb1ELb1EPKfS0_fEv17rocblas_diagonal_iiT6_lPT7_lllS5_lllPT8_llli.uses_vcc, 1
	.set _ZL30rocblas_trmm_outofplace_kernelIfLi32ELi2ELb0ELb1ELb1ELb1EPKfS0_fEv17rocblas_diagonal_iiT6_lPT7_lllS5_lllPT8_llli.uses_flat_scratch, 0
	.set _ZL30rocblas_trmm_outofplace_kernelIfLi32ELi2ELb0ELb1ELb1ELb1EPKfS0_fEv17rocblas_diagonal_iiT6_lPT7_lllS5_lllPT8_llli.has_dyn_sized_stack, 0
	.set _ZL30rocblas_trmm_outofplace_kernelIfLi32ELi2ELb0ELb1ELb1ELb1EPKfS0_fEv17rocblas_diagonal_iiT6_lPT7_lllS5_lllPT8_llli.has_recursion, 0
	.set _ZL30rocblas_trmm_outofplace_kernelIfLi32ELi2ELb0ELb1ELb1ELb1EPKfS0_fEv17rocblas_diagonal_iiT6_lPT7_lllS5_lllPT8_llli.has_indirect_call, 0
	.section	.AMDGPU.csdata,"",@progbits
; Kernel info:
; codeLenInByte = 3072
; TotalNumSgprs: 50
; NumVgprs: 68
; ScratchSize: 0
; MemoryBound: 0
; FloatMode: 240
; IeeeMode: 1
; LDSByteSize: 8192 bytes/workgroup (compile time only)
; SGPRBlocks: 0
; VGPRBlocks: 8
; NumSGPRsForWavesPerEU: 50
; NumVGPRsForWavesPerEU: 68
; Occupancy: 12
; WaveLimiterHint : 0
; COMPUTE_PGM_RSRC2:SCRATCH_EN: 0
; COMPUTE_PGM_RSRC2:USER_SGPR: 6
; COMPUTE_PGM_RSRC2:TRAP_HANDLER: 0
; COMPUTE_PGM_RSRC2:TGID_X_EN: 1
; COMPUTE_PGM_RSRC2:TGID_Y_EN: 1
; COMPUTE_PGM_RSRC2:TGID_Z_EN: 1
; COMPUTE_PGM_RSRC2:TIDIG_COMP_CNT: 1
	.section	.text._ZL30rocblas_trmm_outofplace_kernelIfLi32ELi2ELb0ELb1ELb1ELb1EfKffEv17rocblas_diagonal_iiT6_lPT7_lllS4_lllPT8_llli,"axG",@progbits,_ZL30rocblas_trmm_outofplace_kernelIfLi32ELi2ELb0ELb1ELb1ELb1EfKffEv17rocblas_diagonal_iiT6_lPT7_lllS4_lllPT8_llli,comdat
	.globl	_ZL30rocblas_trmm_outofplace_kernelIfLi32ELi2ELb0ELb1ELb1ELb1EfKffEv17rocblas_diagonal_iiT6_lPT7_lllS4_lllPT8_llli ; -- Begin function _ZL30rocblas_trmm_outofplace_kernelIfLi32ELi2ELb0ELb1ELb1ELb1EfKffEv17rocblas_diagonal_iiT6_lPT7_lllS4_lllPT8_llli
	.p2align	8
	.type	_ZL30rocblas_trmm_outofplace_kernelIfLi32ELi2ELb0ELb1ELb1ELb1EfKffEv17rocblas_diagonal_iiT6_lPT7_lllS4_lllPT8_llli,@function
_ZL30rocblas_trmm_outofplace_kernelIfLi32ELi2ELb0ELb1ELb1ELb1EfKffEv17rocblas_diagonal_iiT6_lPT7_lllS4_lllPT8_llli: ; @_ZL30rocblas_trmm_outofplace_kernelIfLi32ELi2ELb0ELb1ELb1ELb1EfKffEv17rocblas_diagonal_iiT6_lPT7_lllS4_lllPT8_llli
; %bb.0:
	s_load_dwordx4 s[28:31], s[4:5], 0x0
	s_waitcnt lgkmcnt(0)
	v_cmp_eq_f32_e64 s0, s31, 0
	s_and_b32 vcc_lo, exec_lo, s0
	s_cbranch_vccnz .LBB23_51
; %bb.1:
	s_add_i32 s0, s30, -1
	s_ashr_i32 s1, s0, 31
	s_lshr_b32 s1, s1, 27
	s_add_i32 s0, s0, s1
	s_ashr_i32 s11, s0, 5
	s_cmp_gt_i32 s7, s11
	s_cbranch_scc1 .LBB23_51
; %bb.2:
	s_clause 0x2
	s_load_dwordx8 s[36:43], s[4:5], 0x58
	s_load_dwordx16 s[12:27], s[4:5], 0x18
	s_load_dword s33, s[4:5], 0x84
	v_lshl_add_u32 v2, s6, 5, v0
	v_lshlrev_b32_e32 v42, 7, v1
	v_lshlrev_b32_e32 v4, 2, v0
	v_mov_b32_e32 v46, 1.0
	s_mov_b32 s34, s30
	v_add_nc_u32_e32 v10, 16, v2
	v_ashrrev_i32_e32 v3, 31, v2
	v_add_nc_u32_e32 v43, v42, v4
	v_or_b32_e32 v44, 0x1000, v4
	v_cmp_gt_i32_e32 vcc_lo, s29, v2
	v_ashrrev_i32_e32 v11, 31, v10
	v_lshlrev_b64 v[14:15], 2, v[2:3]
	v_add_nc_u32_e32 v45, v44, v42
	v_add_nc_u32_e32 v47, 0x400, v44
	;; [unrolled: 1-line block ×4, first 2 shown]
	s_waitcnt lgkmcnt(0)
	s_mul_i32 s1, s43, s8
	s_mul_hi_u32 s2, s42, s8
	s_mul_i32 s0, s42, s8
	s_add_i32 s1, s2, s1
	s_mul_hi_u32 s5, s26, s8
	s_lshl_b64 s[0:1], s[0:1], 2
	s_add_u32 s4, s36, s0
	s_addc_u32 s1, s37, s1
	s_lshl_b64 s[2:3], s[38:39], 2
	v_cmp_gt_i32_e64 s0, s29, v10
	s_add_u32 s44, s4, s2
	s_addc_u32 s45, s1, s3
	s_cmpk_eq_i32 s28, 0x84
	v_sub_co_u32 v4, s1, s29, v2
	s_cselect_b32 s46, -1, 0
	s_ashr_i32 s35, s30, 31
	s_ashr_i32 s2, s29, 31
	s_lshl_b64 s[36:37], s[16:17], 7
	s_lshl_b64 s[38:39], s[24:25], 7
	s_add_u32 s28, s30, -16
	s_addc_u32 s29, s35, -1
	s_lshl_b32 s3, s7, 5
	s_lshl_b32 s47, s33, 5
	s_mul_i32 s4, s27, s8
	s_add_u32 s42, s20, 64
	s_addc_u32 s43, s21, 0
	s_add_i32 s5, s5, s4
	s_mul_i32 s4, s26, s8
	s_lshl_b64 s[26:27], s[22:23], 2
	s_lshl_b64 s[4:5], s[4:5], 2
	;; [unrolled: 1-line block ×3, first 2 shown]
	s_add_u32 s6, s4, s26
	v_sub_co_ci_u32_e64 v5, null, s2, v3, s1
	s_addc_u32 s10, s5, s27
	s_mul_i32 s4, s19, s8
	s_mul_hi_u32 s5, s18, s8
	v_add_nc_u32_e32 v12, s3, v0
	s_add_i32 s5, s5, s4
	s_mul_i32 s4, s18, s8
	v_add_nc_u32_e32 v16, s3, v1
	s_lshl_b64 s[4:5], s[4:5], 2
	s_lshl_b64 s[8:9], s[14:15], 2
	v_add_co_u32 v18, s3, s6, v14
	v_cmp_gt_i64_e64 s1, 1, v[4:5]
	v_cmp_gt_i64_e64 s2, 17, v[4:5]
	v_add_co_ci_u32_e64 v19, null, s10, v15, s3
	s_add_u32 s3, s4, s8
	v_mov_b32_e32 v0, 0
	s_addc_u32 s4, s5, s9
	s_add_u32 s12, s12, s3
	s_addc_u32 s13, s13, s4
	s_lshl_b64 s[14:15], s[16:17], 2
	s_branch .LBB23_4
.LBB23_3:                               ;   in Loop: Header=BB23_4 Depth=1
	s_or_b32 exec_lo, exec_lo, s4
	v_add_nc_u32_e32 v12, s47, v12
	v_add_nc_u32_e32 v16, s47, v16
	s_add_i32 s7, s33, s7
	s_cmp_le_i32 s7, s11
	s_cbranch_scc0 .LBB23_51
.LBB23_4:                               ; =>This Loop Header: Depth=1
                                        ;     Child Loop BB23_7 Depth 2
	s_lshl_b32 s3, s7, 5
	v_ashrrev_i32_e32 v13, 31, v12
	v_add_nc_u32_e32 v20, s3, v1
	v_ashrrev_i32_e32 v17, 31, v16
	v_mov_b32_e32 v53, 0
	v_mov_b32_e32 v52, 0
	;; [unrolled: 1-line block ×3, first 2 shown]
	v_ashrrev_i32_e32 v21, 31, v20
	v_mov_b32_e32 v50, 0
	s_sub_i32 s26, s30, s3
	s_cmp_lt_i32 s26, 1
	s_cbranch_scc1 .LBB23_43
; %bb.5:                                ;   in Loop: Header=BB23_4 Depth=1
	v_lshlrev_b64 v[2:3], 2, v[12:13]
	v_sub_co_u32 v22, s3, v16, v12
	v_lshlrev_b64 v[26:27], 2, v[16:17]
	v_sub_co_ci_u32_e64 v23, null, v17, v13, s3
	v_add_co_u32 v2, s3, v2, 64
	v_add_co_ci_u32_e64 v3, null, 0, v3, s3
	v_mad_u64_u32 v[24:25], null, s22, v16, s[42:43]
	v_mul_lo_u32 v6, s17, v2
	v_mad_u64_u32 v[28:29], null, s16, v2, s[12:13]
	v_add_co_u32 v2, s3, v26, 64
	v_add_co_ci_u32_e64 v7, null, 0, v27, s3
	v_mul_lo_u32 v4, s22, v17
	v_mul_lo_u32 v36, s25, v2
	v_mad_u64_u32 v[32:33], null, s24, v2, s[20:21]
	v_mul_lo_u32 v7, s24, v7
	v_mul_lo_u32 v5, s23, v16
	v_mul_lo_u32 v3, s16, v3
	v_mad_u64_u32 v[30:31], null, s14, v12, s[12:13]
	v_mul_lo_u32 v8, s14, v13
	v_mul_lo_u32 v9, s15, v12
	v_add_co_u32 v34, s3, v20, 16
	v_add_co_ci_u32_e64 v35, null, 0, v21, s3
	v_add3_u32 v33, v36, v33, v7
	v_add_co_u32 v36, s5, v22, 16
	v_add_co_ci_u32_e64 v37, null, 0, v23, s5
	v_add_co_u32 v38, s5, v22, -16
	v_cmp_le_i64_e64 s4, s[34:35], v[34:35]
	v_mov_b32_e32 v41, v19
	v_add3_u32 v25, v5, v25, v4
	v_add3_u32 v29, v6, v29, v3
	;; [unrolled: 1-line block ×3, first 2 shown]
	v_cmp_le_i32_e64 s3, s30, v20
	v_add_co_ci_u32_e64 v39, null, -1, v23, s5
	v_mov_b32_e32 v50, 0
	v_mov_b32_e32 v40, v18
	;; [unrolled: 1-line block ×5, first 2 shown]
	s_mov_b64 s[18:19], 0
	s_branch .LBB23_7
.LBB23_6:                               ;   in Loop: Header=BB23_7 Depth=2
	s_or_b32 exec_lo, exec_lo, s5
	s_waitcnt lgkmcnt(0)
	s_barrier
	buffer_gl0_inv
	ds_read_b128 v[54:57], v42
	ds_read_b128 v[58:61], v42 offset:16
	ds_read_b128 v[6:9], v42 offset:32
	;; [unrolled: 1-line block ×3, first 2 shown]
	ds_read2_b32 v[66:67], v44 offset1:16
	ds_read_b128 v[62:65], v42 offset:2048
	v_add_co_u32 v40, s5, v40, s38
	v_add_co_ci_u32_e64 v41, null, s39, v41, s5
	v_add_co_u32 v28, s5, v28, s36
	v_add_co_ci_u32_e64 v29, null, s37, v29, s5
	;; [unrolled: 2-line block ×3, first 2 shown]
	s_add_u32 s18, s18, 32
	s_addc_u32 s19, s19, 0
	s_cmp_ge_i32 s18, s26
	s_waitcnt lgkmcnt(1)
	v_fmac_f32_e32 v53, v66, v54
	v_fmac_f32_e32 v52, v67, v54
	s_waitcnt lgkmcnt(0)
	v_fmac_f32_e32 v51, v66, v62
	v_fmac_f32_e32 v50, v67, v62
	ds_read2_b32 v[66:67], v44 offset0:32 offset1:48
	s_waitcnt lgkmcnt(0)
	v_fmac_f32_e32 v53, v66, v55
	v_fmac_f32_e32 v52, v67, v55
	ds_read2_b32 v[54:55], v44 offset0:64 offset1:80
	v_fmac_f32_e32 v51, v66, v63
	v_fmac_f32_e32 v50, v67, v63
	ds_read2_b32 v[62:63], v44 offset0:128 offset1:144
	s_waitcnt lgkmcnt(1)
	v_fmac_f32_e32 v53, v54, v56
	v_fmac_f32_e32 v52, v55, v56
	;; [unrolled: 1-line block ×4, first 2 shown]
	ds_read2_b32 v[54:55], v44 offset0:96 offset1:112
	s_waitcnt lgkmcnt(0)
	v_fmac_f32_e32 v53, v54, v57
	v_fmac_f32_e32 v52, v55, v57
	;; [unrolled: 1-line block ×4, first 2 shown]
	ds_read_b128 v[54:57], v42 offset:2064
	v_fmac_f32_e32 v53, v62, v58
	v_fmac_f32_e32 v52, v63, v58
	s_waitcnt lgkmcnt(0)
	v_fmac_f32_e32 v51, v62, v54
	v_fmac_f32_e32 v50, v63, v54
	ds_read2_b32 v[62:63], v44 offset0:160 offset1:176
	s_waitcnt lgkmcnt(0)
	v_fmac_f32_e32 v51, v62, v55
	v_fmac_f32_e32 v50, v63, v55
	ds_read2_b32 v[54:55], v44 offset0:192 offset1:208
	v_fmac_f32_e32 v53, v62, v59
	v_fmac_f32_e32 v52, v63, v59
	ds_read2_b32 v[58:59], v47 offset1:16
	s_waitcnt lgkmcnt(1)
	v_fmac_f32_e32 v53, v54, v60
	v_fmac_f32_e32 v52, v55, v60
	;; [unrolled: 1-line block ×4, first 2 shown]
	ds_read2_b32 v[54:55], v44 offset0:224 offset1:240
	s_waitcnt lgkmcnt(0)
	v_fmac_f32_e32 v53, v54, v61
	v_fmac_f32_e32 v52, v55, v61
	;; [unrolled: 1-line block ×4, first 2 shown]
	ds_read_b128 v[54:57], v42 offset:2080
	v_fmac_f32_e32 v53, v58, v6
	v_fmac_f32_e32 v52, v59, v6
	s_waitcnt lgkmcnt(0)
	v_fmac_f32_e32 v51, v58, v54
	v_fmac_f32_e32 v50, v59, v54
	ds_read2_b32 v[58:59], v47 offset0:32 offset1:48
	s_waitcnt lgkmcnt(0)
	v_fmac_f32_e32 v53, v58, v7
	v_fmac_f32_e32 v52, v59, v7
	ds_read2_b32 v[6:7], v47 offset0:64 offset1:80
	v_fmac_f32_e32 v51, v58, v55
	v_fmac_f32_e32 v50, v59, v55
	ds_read2_b32 v[54:55], v47 offset0:128 offset1:144
	s_waitcnt lgkmcnt(1)
	v_fmac_f32_e32 v53, v6, v8
	v_fmac_f32_e32 v52, v7, v8
	v_fmac_f32_e32 v51, v6, v56
	v_fmac_f32_e32 v50, v7, v56
	ds_read2_b32 v[6:7], v47 offset0:96 offset1:112
	s_waitcnt lgkmcnt(0)
	v_fmac_f32_e32 v53, v6, v9
	v_fmac_f32_e32 v52, v7, v9
	v_fmac_f32_e32 v51, v6, v57
	v_fmac_f32_e32 v50, v7, v57
	ds_read_b128 v[6:9], v42 offset:2096
	v_fmac_f32_e32 v53, v54, v2
	v_fmac_f32_e32 v52, v55, v2
	s_waitcnt lgkmcnt(0)
	v_fmac_f32_e32 v51, v54, v6
	v_fmac_f32_e32 v50, v55, v6
	ds_read2_b32 v[54:55], v47 offset0:160 offset1:176
	s_waitcnt lgkmcnt(0)
	v_fmac_f32_e32 v53, v54, v3
	v_fmac_f32_e32 v52, v55, v3
	ds_read2_b32 v[2:3], v47 offset0:192 offset1:208
	v_fmac_f32_e32 v51, v54, v7
	v_fmac_f32_e32 v50, v55, v7
	s_waitcnt lgkmcnt(0)
	v_fmac_f32_e32 v53, v2, v4
	v_fmac_f32_e32 v52, v3, v4
	;; [unrolled: 1-line block ×4, first 2 shown]
	ds_read2_b32 v[2:3], v47 offset0:224 offset1:240
	s_waitcnt lgkmcnt(0)
	v_fmac_f32_e32 v53, v2, v5
	v_fmac_f32_e32 v52, v3, v5
	;; [unrolled: 1-line block ×4, first 2 shown]
	ds_read_b128 v[2:5], v42 offset:64
	ds_read2_b32 v[54:55], v48 offset1:16
	ds_read_b128 v[6:9], v42 offset:2112
	s_waitcnt lgkmcnt(1)
	v_fmac_f32_e32 v53, v54, v2
	v_fmac_f32_e32 v52, v55, v2
	s_waitcnt lgkmcnt(0)
	v_fmac_f32_e32 v51, v54, v6
	v_fmac_f32_e32 v50, v55, v6
	ds_read2_b32 v[54:55], v48 offset0:32 offset1:48
	s_waitcnt lgkmcnt(0)
	v_fmac_f32_e32 v53, v54, v3
	v_fmac_f32_e32 v52, v55, v3
	ds_read2_b32 v[2:3], v48 offset0:64 offset1:80
	v_fmac_f32_e32 v51, v54, v7
	v_fmac_f32_e32 v50, v55, v7
	s_waitcnt lgkmcnt(0)
	v_fmac_f32_e32 v53, v2, v4
	v_fmac_f32_e32 v52, v3, v4
	;; [unrolled: 1-line block ×4, first 2 shown]
	ds_read2_b32 v[2:3], v48 offset0:96 offset1:112
	s_waitcnt lgkmcnt(0)
	v_fmac_f32_e32 v53, v2, v5
	v_fmac_f32_e32 v52, v3, v5
	;; [unrolled: 1-line block ×4, first 2 shown]
	ds_read_b128 v[2:5], v42 offset:80
	ds_read2_b32 v[54:55], v48 offset0:128 offset1:144
	ds_read_b128 v[6:9], v42 offset:2128
	s_waitcnt lgkmcnt(1)
	v_fmac_f32_e32 v53, v54, v2
	v_fmac_f32_e32 v52, v55, v2
	s_waitcnt lgkmcnt(0)
	v_fmac_f32_e32 v51, v54, v6
	v_fmac_f32_e32 v50, v55, v6
	ds_read2_b32 v[54:55], v48 offset0:160 offset1:176
	s_waitcnt lgkmcnt(0)
	v_fmac_f32_e32 v53, v54, v3
	v_fmac_f32_e32 v52, v55, v3
	ds_read2_b32 v[2:3], v48 offset0:192 offset1:208
	v_fmac_f32_e32 v51, v54, v7
	v_fmac_f32_e32 v50, v55, v7
	s_waitcnt lgkmcnt(0)
	v_fmac_f32_e32 v53, v2, v4
	v_fmac_f32_e32 v52, v3, v4
	;; [unrolled: 1-line block ×4, first 2 shown]
	ds_read2_b32 v[2:3], v48 offset0:224 offset1:240
	s_waitcnt lgkmcnt(0)
	v_fmac_f32_e32 v53, v2, v5
	v_fmac_f32_e32 v52, v3, v5
	;; [unrolled: 1-line block ×4, first 2 shown]
	ds_read_b128 v[2:5], v42 offset:96
	ds_read2_b32 v[54:55], v49 offset1:16
	ds_read_b128 v[6:9], v42 offset:2144
	s_waitcnt lgkmcnt(1)
	v_fmac_f32_e32 v53, v54, v2
	v_fmac_f32_e32 v52, v55, v2
	s_waitcnt lgkmcnt(0)
	v_fmac_f32_e32 v51, v54, v6
	v_fmac_f32_e32 v50, v55, v6
	ds_read2_b32 v[54:55], v49 offset0:32 offset1:48
	s_waitcnt lgkmcnt(0)
	v_fmac_f32_e32 v53, v54, v3
	v_fmac_f32_e32 v52, v55, v3
	ds_read2_b32 v[2:3], v49 offset0:64 offset1:80
	v_fmac_f32_e32 v51, v54, v7
	v_fmac_f32_e32 v50, v55, v7
	s_waitcnt lgkmcnt(0)
	v_fmac_f32_e32 v53, v2, v4
	v_fmac_f32_e32 v52, v3, v4
	v_fmac_f32_e32 v51, v2, v8
	v_fmac_f32_e32 v50, v3, v8
	ds_read2_b32 v[2:3], v49 offset0:96 offset1:112
	s_waitcnt lgkmcnt(0)
	v_fmac_f32_e32 v53, v2, v5
	v_fmac_f32_e32 v52, v3, v5
	;; [unrolled: 1-line block ×4, first 2 shown]
	ds_read_b128 v[2:5], v42 offset:112
	ds_read2_b32 v[54:55], v49 offset0:128 offset1:144
	ds_read_b128 v[6:9], v42 offset:2160
	s_waitcnt lgkmcnt(1)
	v_fmac_f32_e32 v53, v54, v2
	v_fmac_f32_e32 v52, v55, v2
	s_waitcnt lgkmcnt(0)
	v_fmac_f32_e32 v51, v54, v6
	v_fmac_f32_e32 v50, v55, v6
	ds_read2_b32 v[54:55], v49 offset0:160 offset1:176
	s_waitcnt lgkmcnt(0)
	v_fmac_f32_e32 v53, v54, v3
	v_fmac_f32_e32 v52, v55, v3
	ds_read2_b32 v[2:3], v49 offset0:192 offset1:208
	v_fmac_f32_e32 v51, v54, v7
	v_fmac_f32_e32 v50, v55, v7
	s_waitcnt lgkmcnt(0)
	v_fmac_f32_e32 v53, v2, v4
	v_fmac_f32_e32 v52, v3, v4
	;; [unrolled: 1-line block ×4, first 2 shown]
	ds_read2_b32 v[2:3], v49 offset0:224 offset1:240
	s_waitcnt lgkmcnt(0)
	s_barrier
	buffer_gl0_inv
	v_fmac_f32_e32 v53, v2, v5
	v_fmac_f32_e32 v52, v3, v5
	;; [unrolled: 1-line block ×4, first 2 shown]
	s_cbranch_scc1 .LBB23_43
.LBB23_7:                               ;   Parent Loop BB23_4 Depth=1
                                        ; =>  This Inner Loop Header: Depth=2
	v_add_co_u32 v2, s5, v12, s18
	v_add_co_ci_u32_e64 v3, null, s19, v13, s5
	v_cmp_eq_u64_e64 s8, s[18:19], v[22:23]
	v_add_co_u32 v4, s9, v30, v26
	v_cmp_lt_i64_e64 s5, v[2:3], v[20:21]
	v_cmp_le_i64_e64 s6, s[34:35], v[2:3]
	v_add_co_ci_u32_e64 v5, null, v31, v27, s9
	s_and_b32 s27, s46, s8
                                        ; implicit-def: $vgpr6
	s_or_b32 s9, s3, s5
	s_or_b32 s8, s6, s9
	s_nor_b32 s8, s8, s27
	s_and_saveexec_b32 s9, s8
	s_xor_b32 s8, exec_lo, s9
	s_cbranch_execz .LBB23_9
; %bb.8:                                ;   in Loop: Header=BB23_7 Depth=2
	global_load_dword v6, v[4:5], off
.LBB23_9:                               ;   in Loop: Header=BB23_7 Depth=2
	s_andn2_saveexec_b32 s8, s8
	s_cbranch_execz .LBB23_11
; %bb.10:                               ;   in Loop: Header=BB23_7 Depth=2
	s_waitcnt vmcnt(0)
	v_cndmask_b32_e64 v6, 0, 1.0, s27
.LBB23_11:                              ;   in Loop: Header=BB23_7 Depth=2
	s_or_b32 exec_lo, exec_lo, s8
	v_add_co_u32 v7, s8, v2, 16
	v_add_co_ci_u32_e64 v8, null, 0, v3, s8
	v_cmp_eq_u64_e64 s10, s[18:19], v[38:39]
	s_waitcnt vmcnt(0)
	ds_write_b32 v43, v6
	v_cmp_lt_i64_e64 s9, v[7:8], v[20:21]
	v_cmp_le_i64_e64 s8, s[34:35], v[7:8]
	s_and_b32 s10, s46, s10
	s_or_b32 s9, s3, s9
	s_or_b32 s9, s8, s9
	s_nor_b32 s9, s9, s10
	s_and_saveexec_b32 s48, s9
	s_xor_b32 s48, exec_lo, s48
	s_cbranch_execz .LBB23_13
; %bb.12:                               ;   in Loop: Header=BB23_7 Depth=2
	v_add_co_u32 v6, s9, v28, v26
	v_add_co_ci_u32_e64 v7, null, v29, v27, s9
	global_load_dword v6, v[6:7], off
	s_waitcnt vmcnt(0)
	ds_write_b32 v43, v6 offset:64
.LBB23_13:                              ;   in Loop: Header=BB23_7 Depth=2
	s_andn2_saveexec_b32 s9, s48
	s_cbranch_execz .LBB23_19
; %bb.14:                               ;   in Loop: Header=BB23_7 Depth=2
	s_xor_b32 s10, s10, -1
	s_and_saveexec_b32 s48, s10
	s_xor_b32 s10, exec_lo, s48
; %bb.15:                               ;   in Loop: Header=BB23_7 Depth=2
	ds_write_b32 v43, v0 offset:64
; %bb.16:                               ;   in Loop: Header=BB23_7 Depth=2
	s_andn2_saveexec_b32 s10, s10
; %bb.17:                               ;   in Loop: Header=BB23_7 Depth=2
	ds_write_b32 v43, v46 offset:64
; %bb.18:                               ;   in Loop: Header=BB23_7 Depth=2
	s_or_b32 exec_lo, exec_lo, s10
.LBB23_19:                              ;   in Loop: Header=BB23_7 Depth=2
	s_or_b32 exec_lo, exec_lo, s9
	v_cmp_eq_u64_e64 s9, s[18:19], v[36:37]
	v_cmp_lt_i64_e64 s10, v[2:3], v[34:35]
                                        ; implicit-def: $vgpr2
	s_and_b32 s9, s46, s9
	s_or_b32 s10, s4, s10
	s_or_b32 s10, s10, s9
	s_nor_b32 s6, s6, s10
	s_and_saveexec_b32 s10, s6
	s_xor_b32 s6, exec_lo, s10
	s_cbranch_execz .LBB23_21
; %bb.20:                               ;   in Loop: Header=BB23_7 Depth=2
	global_load_dword v2, v[4:5], off offset:64
.LBB23_21:                              ;   in Loop: Header=BB23_7 Depth=2
	s_andn2_saveexec_b32 s6, s6
	s_cbranch_execz .LBB23_23
; %bb.22:                               ;   in Loop: Header=BB23_7 Depth=2
	s_waitcnt vmcnt(0)
	v_cndmask_b32_e64 v2, 0, 1.0, s9
.LBB23_23:                              ;   in Loop: Header=BB23_7 Depth=2
	s_or_b32 exec_lo, exec_lo, s6
	s_or_b32 s5, s4, s5
	s_waitcnt vmcnt(0)
	ds_write_b32 v43, v2 offset:2048
	s_or_b32 s5, s8, s5
	s_nor_b32 s5, s5, s27
	s_and_saveexec_b32 s6, s5
	s_xor_b32 s6, exec_lo, s6
	s_cbranch_execz .LBB23_25
; %bb.24:                               ;   in Loop: Header=BB23_7 Depth=2
	v_add_co_u32 v2, s5, v28, v26
	v_add_co_ci_u32_e64 v3, null, v29, v27, s5
	global_load_dword v2, v[2:3], off offset:64
	s_waitcnt vmcnt(0)
	ds_write_b32 v43, v2 offset:2112
.LBB23_25:                              ;   in Loop: Header=BB23_7 Depth=2
	s_andn2_saveexec_b32 s5, s6
	s_cbranch_execz .LBB23_31
; %bb.26:                               ;   in Loop: Header=BB23_7 Depth=2
	s_xor_b32 s6, s27, -1
	s_and_saveexec_b32 s8, s6
	s_xor_b32 s6, exec_lo, s8
; %bb.27:                               ;   in Loop: Header=BB23_7 Depth=2
	ds_write_b32 v43, v0 offset:2112
; %bb.28:                               ;   in Loop: Header=BB23_7 Depth=2
	s_andn2_saveexec_b32 s6, s6
; %bb.29:                               ;   in Loop: Header=BB23_7 Depth=2
	ds_write_b32 v43, v46 offset:2112
; %bb.30:                               ;   in Loop: Header=BB23_7 Depth=2
	s_or_b32 exec_lo, exec_lo, s6
.LBB23_31:                              ;   in Loop: Header=BB23_7 Depth=2
	s_or_b32 exec_lo, exec_lo, s5
	v_add_co_u32 v2, s5, v16, s18
	v_add_co_ci_u32_e64 v3, null, s19, v17, s5
	v_add_co_u32 v4, s6, v24, v40
	v_add_co_ci_u32_e64 v5, null, v25, v41, s6
	v_cmp_le_i64_e64 s5, s[34:35], v[2:3]
	v_mov_b32_e32 v6, 0
	s_nor_b32 s8, s5, s1
	s_and_saveexec_b32 s6, s8
	s_cbranch_execz .LBB23_33
; %bb.32:                               ;   in Loop: Header=BB23_7 Depth=2
	global_load_dword v6, v[4:5], off offset:-64
.LBB23_33:                              ;   in Loop: Header=BB23_7 Depth=2
	s_or_b32 exec_lo, exec_lo, s6
	s_nor_b32 s5, s5, s2
	s_waitcnt vmcnt(0)
	ds_write_b32 v45, v6
	s_and_saveexec_b32 s6, s5
	s_xor_b32 s5, exec_lo, s6
	s_cbranch_execz .LBB23_35
; %bb.34:                               ;   in Loop: Header=BB23_7 Depth=2
	global_load_dword v4, v[4:5], off
	s_waitcnt vmcnt(0)
	ds_write_b32 v45, v4 offset:64
.LBB23_35:                              ;   in Loop: Header=BB23_7 Depth=2
	s_andn2_saveexec_b32 s5, s5
; %bb.36:                               ;   in Loop: Header=BB23_7 Depth=2
	ds_write_b32 v45, v0 offset:64
; %bb.37:                               ;   in Loop: Header=BB23_7 Depth=2
	s_or_b32 exec_lo, exec_lo, s5
	v_cmp_le_i64_e64 s5, s[28:29], v[2:3]
	v_add_co_u32 v2, s6, v32, v40
	v_add_co_ci_u32_e64 v3, null, v33, v41, s6
	v_mov_b32_e32 v4, 0
	s_nor_b32 s8, s5, s1
	s_and_saveexec_b32 s6, s8
	s_cbranch_execz .LBB23_39
; %bb.38:                               ;   in Loop: Header=BB23_7 Depth=2
	global_load_dword v4, v[2:3], off
.LBB23_39:                              ;   in Loop: Header=BB23_7 Depth=2
	s_or_b32 exec_lo, exec_lo, s6
	s_nor_b32 s5, s5, s2
	s_waitcnt vmcnt(0)
	ds_write_b32 v45, v4 offset:2048
	s_and_saveexec_b32 s6, s5
	s_xor_b32 s5, exec_lo, s6
	s_cbranch_execz .LBB23_41
; %bb.40:                               ;   in Loop: Header=BB23_7 Depth=2
	global_load_dword v2, v[2:3], off offset:64
	s_waitcnt vmcnt(0)
	ds_write_b32 v45, v2 offset:2112
.LBB23_41:                              ;   in Loop: Header=BB23_7 Depth=2
	s_andn2_saveexec_b32 s5, s5
	s_cbranch_execz .LBB23_6
; %bb.42:                               ;   in Loop: Header=BB23_7 Depth=2
	ds_write_b32 v45, v0 offset:2112
	s_branch .LBB23_6
.LBB23_43:                              ;   in Loop: Header=BB23_4 Depth=1
	v_mul_lo_u32 v4, s41, v20
	v_mul_lo_u32 v5, s40, v21
	v_mad_u64_u32 v[2:3], null, s40, v20, 0
	v_cmp_gt_i32_e64 s3, s30, v20
	v_add3_u32 v3, v3, v5, v4
	v_lshlrev_b64 v[2:3], 2, v[2:3]
	v_add_co_u32 v2, s4, s44, v2
	v_add_co_ci_u32_e64 v3, null, s45, v3, s4
	s_and_b32 s4, vcc_lo, s3
	s_and_saveexec_b32 s5, s4
	s_cbranch_execz .LBB23_45
; %bb.44:                               ;   in Loop: Header=BB23_4 Depth=1
	v_add_co_u32 v4, s4, v2, v14
	v_add_co_ci_u32_e64 v5, null, v3, v15, s4
	global_load_dword v6, v[4:5], off
	s_waitcnt vmcnt(0)
	v_fmac_f32_e32 v6, s31, v53
	global_store_dword v[4:5], v6, off
.LBB23_45:                              ;   in Loop: Header=BB23_4 Depth=1
	s_or_b32 exec_lo, exec_lo, s5
	s_and_b32 s3, s0, s3
	s_and_saveexec_b32 s4, s3
	s_cbranch_execz .LBB23_47
; %bb.46:                               ;   in Loop: Header=BB23_4 Depth=1
	v_lshlrev_b64 v[4:5], 2, v[10:11]
	v_add_co_u32 v2, s3, v2, v4
	v_add_co_ci_u32_e64 v3, null, v3, v5, s3
	global_load_dword v4, v[2:3], off
	s_waitcnt vmcnt(0)
	v_fmac_f32_e32 v4, s31, v52
	global_store_dword v[2:3], v4, off
.LBB23_47:                              ;   in Loop: Header=BB23_4 Depth=1
	s_or_b32 exec_lo, exec_lo, s4
	v_add_nc_u32_e32 v4, 16, v20
	v_ashrrev_i32_e32 v5, 31, v4
	v_mul_lo_u32 v6, s41, v4
	v_mad_u64_u32 v[2:3], null, s40, v4, 0
	v_cmp_gt_i32_e64 s3, s30, v4
	v_mul_lo_u32 v5, s40, v5
	v_add3_u32 v3, v3, v5, v6
	v_lshlrev_b64 v[2:3], 2, v[2:3]
	v_add_co_u32 v2, s4, s44, v2
	v_add_co_ci_u32_e64 v3, null, s45, v3, s4
	s_and_b32 s4, vcc_lo, s3
	s_and_saveexec_b32 s5, s4
	s_cbranch_execz .LBB23_49
; %bb.48:                               ;   in Loop: Header=BB23_4 Depth=1
	v_add_co_u32 v4, s4, v2, v14
	v_add_co_ci_u32_e64 v5, null, v3, v15, s4
	global_load_dword v6, v[4:5], off
	s_waitcnt vmcnt(0)
	v_fmac_f32_e32 v6, s31, v51
	global_store_dword v[4:5], v6, off
.LBB23_49:                              ;   in Loop: Header=BB23_4 Depth=1
	s_or_b32 exec_lo, exec_lo, s5
	s_and_b32 s3, s0, s3
	s_and_saveexec_b32 s4, s3
	s_cbranch_execz .LBB23_3
; %bb.50:                               ;   in Loop: Header=BB23_4 Depth=1
	v_lshlrev_b64 v[4:5], 2, v[10:11]
	v_add_co_u32 v2, s3, v2, v4
	v_add_co_ci_u32_e64 v3, null, v3, v5, s3
	global_load_dword v4, v[2:3], off
	s_waitcnt vmcnt(0)
	v_fmac_f32_e32 v4, s31, v50
	global_store_dword v[2:3], v4, off
	s_branch .LBB23_3
.LBB23_51:
	s_endpgm
	.section	.rodata,"a",@progbits
	.p2align	6, 0x0
	.amdhsa_kernel _ZL30rocblas_trmm_outofplace_kernelIfLi32ELi2ELb0ELb1ELb1ELb1EfKffEv17rocblas_diagonal_iiT6_lPT7_lllS4_lllPT8_llli
		.amdhsa_group_segment_fixed_size 8192
		.amdhsa_private_segment_fixed_size 0
		.amdhsa_kernarg_size 384
		.amdhsa_user_sgpr_count 6
		.amdhsa_user_sgpr_private_segment_buffer 1
		.amdhsa_user_sgpr_dispatch_ptr 0
		.amdhsa_user_sgpr_queue_ptr 0
		.amdhsa_user_sgpr_kernarg_segment_ptr 1
		.amdhsa_user_sgpr_dispatch_id 0
		.amdhsa_user_sgpr_flat_scratch_init 0
		.amdhsa_user_sgpr_private_segment_size 0
		.amdhsa_wavefront_size32 1
		.amdhsa_uses_dynamic_stack 0
		.amdhsa_system_sgpr_private_segment_wavefront_offset 0
		.amdhsa_system_sgpr_workgroup_id_x 1
		.amdhsa_system_sgpr_workgroup_id_y 1
		.amdhsa_system_sgpr_workgroup_id_z 1
		.amdhsa_system_sgpr_workgroup_info 0
		.amdhsa_system_vgpr_workitem_id 1
		.amdhsa_next_free_vgpr 68
		.amdhsa_next_free_sgpr 49
		.amdhsa_reserve_vcc 1
		.amdhsa_reserve_flat_scratch 0
		.amdhsa_float_round_mode_32 0
		.amdhsa_float_round_mode_16_64 0
		.amdhsa_float_denorm_mode_32 3
		.amdhsa_float_denorm_mode_16_64 3
		.amdhsa_dx10_clamp 1
		.amdhsa_ieee_mode 1
		.amdhsa_fp16_overflow 0
		.amdhsa_workgroup_processor_mode 1
		.amdhsa_memory_ordered 1
		.amdhsa_forward_progress 1
		.amdhsa_shared_vgpr_count 0
		.amdhsa_exception_fp_ieee_invalid_op 0
		.amdhsa_exception_fp_denorm_src 0
		.amdhsa_exception_fp_ieee_div_zero 0
		.amdhsa_exception_fp_ieee_overflow 0
		.amdhsa_exception_fp_ieee_underflow 0
		.amdhsa_exception_fp_ieee_inexact 0
		.amdhsa_exception_int_div_zero 0
	.end_amdhsa_kernel
	.section	.text._ZL30rocblas_trmm_outofplace_kernelIfLi32ELi2ELb0ELb1ELb1ELb1EfKffEv17rocblas_diagonal_iiT6_lPT7_lllS4_lllPT8_llli,"axG",@progbits,_ZL30rocblas_trmm_outofplace_kernelIfLi32ELi2ELb0ELb1ELb1ELb1EfKffEv17rocblas_diagonal_iiT6_lPT7_lllS4_lllPT8_llli,comdat
.Lfunc_end23:
	.size	_ZL30rocblas_trmm_outofplace_kernelIfLi32ELi2ELb0ELb1ELb1ELb1EfKffEv17rocblas_diagonal_iiT6_lPT7_lllS4_lllPT8_llli, .Lfunc_end23-_ZL30rocblas_trmm_outofplace_kernelIfLi32ELi2ELb0ELb1ELb1ELb1EfKffEv17rocblas_diagonal_iiT6_lPT7_lllS4_lllPT8_llli
                                        ; -- End function
	.set _ZL30rocblas_trmm_outofplace_kernelIfLi32ELi2ELb0ELb1ELb1ELb1EfKffEv17rocblas_diagonal_iiT6_lPT7_lllS4_lllPT8_llli.num_vgpr, 68
	.set _ZL30rocblas_trmm_outofplace_kernelIfLi32ELi2ELb0ELb1ELb1ELb1EfKffEv17rocblas_diagonal_iiT6_lPT7_lllS4_lllPT8_llli.num_agpr, 0
	.set _ZL30rocblas_trmm_outofplace_kernelIfLi32ELi2ELb0ELb1ELb1ELb1EfKffEv17rocblas_diagonal_iiT6_lPT7_lllS4_lllPT8_llli.numbered_sgpr, 49
	.set _ZL30rocblas_trmm_outofplace_kernelIfLi32ELi2ELb0ELb1ELb1ELb1EfKffEv17rocblas_diagonal_iiT6_lPT7_lllS4_lllPT8_llli.num_named_barrier, 0
	.set _ZL30rocblas_trmm_outofplace_kernelIfLi32ELi2ELb0ELb1ELb1ELb1EfKffEv17rocblas_diagonal_iiT6_lPT7_lllS4_lllPT8_llli.private_seg_size, 0
	.set _ZL30rocblas_trmm_outofplace_kernelIfLi32ELi2ELb0ELb1ELb1ELb1EfKffEv17rocblas_diagonal_iiT6_lPT7_lllS4_lllPT8_llli.uses_vcc, 1
	.set _ZL30rocblas_trmm_outofplace_kernelIfLi32ELi2ELb0ELb1ELb1ELb1EfKffEv17rocblas_diagonal_iiT6_lPT7_lllS4_lllPT8_llli.uses_flat_scratch, 0
	.set _ZL30rocblas_trmm_outofplace_kernelIfLi32ELi2ELb0ELb1ELb1ELb1EfKffEv17rocblas_diagonal_iiT6_lPT7_lllS4_lllPT8_llli.has_dyn_sized_stack, 0
	.set _ZL30rocblas_trmm_outofplace_kernelIfLi32ELi2ELb0ELb1ELb1ELb1EfKffEv17rocblas_diagonal_iiT6_lPT7_lllS4_lllPT8_llli.has_recursion, 0
	.set _ZL30rocblas_trmm_outofplace_kernelIfLi32ELi2ELb0ELb1ELb1ELb1EfKffEv17rocblas_diagonal_iiT6_lPT7_lllS4_lllPT8_llli.has_indirect_call, 0
	.section	.AMDGPU.csdata,"",@progbits
; Kernel info:
; codeLenInByte = 3024
; TotalNumSgprs: 51
; NumVgprs: 68
; ScratchSize: 0
; MemoryBound: 0
; FloatMode: 240
; IeeeMode: 1
; LDSByteSize: 8192 bytes/workgroup (compile time only)
; SGPRBlocks: 0
; VGPRBlocks: 8
; NumSGPRsForWavesPerEU: 51
; NumVGPRsForWavesPerEU: 68
; Occupancy: 12
; WaveLimiterHint : 0
; COMPUTE_PGM_RSRC2:SCRATCH_EN: 0
; COMPUTE_PGM_RSRC2:USER_SGPR: 6
; COMPUTE_PGM_RSRC2:TRAP_HANDLER: 0
; COMPUTE_PGM_RSRC2:TGID_X_EN: 1
; COMPUTE_PGM_RSRC2:TGID_Y_EN: 1
; COMPUTE_PGM_RSRC2:TGID_Z_EN: 1
; COMPUTE_PGM_RSRC2:TIDIG_COMP_CNT: 1
	.section	.text._ZL23rocblas_trmm_lNx_kernelILi32EfPKfS0_fEv13rocblas_fill_17rocblas_diagonal_iiT1_lPT2_llS6_llPT3_lli,"axG",@progbits,_ZL23rocblas_trmm_lNx_kernelILi32EfPKfS0_fEv13rocblas_fill_17rocblas_diagonal_iiT1_lPT2_llS6_llPT3_lli,comdat
	.globl	_ZL23rocblas_trmm_lNx_kernelILi32EfPKfS0_fEv13rocblas_fill_17rocblas_diagonal_iiT1_lPT2_llS6_llPT3_lli ; -- Begin function _ZL23rocblas_trmm_lNx_kernelILi32EfPKfS0_fEv13rocblas_fill_17rocblas_diagonal_iiT1_lPT2_llS6_llPT3_lli
	.p2align	8
	.type	_ZL23rocblas_trmm_lNx_kernelILi32EfPKfS0_fEv13rocblas_fill_17rocblas_diagonal_iiT1_lPT2_llS6_llPT3_lli,@function
_ZL23rocblas_trmm_lNx_kernelILi32EfPKfS0_fEv13rocblas_fill_17rocblas_diagonal_iiT1_lPT2_llS6_llPT3_lli: ; @_ZL23rocblas_trmm_lNx_kernelILi32EfPKfS0_fEv13rocblas_fill_17rocblas_diagonal_iiT1_lPT2_llS6_llPT3_lli
; %bb.0:
	s_load_dwordx16 s[8:23], s[4:5], 0x10
	s_waitcnt lgkmcnt(0)
	s_mul_i32 s0, s11, s7
	s_mul_hi_u32 s1, s10, s7
	s_add_i32 s1, s1, s0
	s_mul_i32 s0, s10, s7
	s_lshl_b64 s[0:1], s[0:1], 2
	s_add_u32 s0, s8, s0
	s_addc_u32 s1, s9, s1
	s_load_dword s1, s[0:1], 0x0
	s_waitcnt lgkmcnt(0)
	v_cmp_eq_f32_e64 s0, s1, 0
	s_and_b32 vcc_lo, exec_lo, s0
	s_cbranch_vccnz .LBB24_15
; %bb.1:
	s_load_dwordx4 s[8:11], s[4:5], 0x0
	v_lshlrev_b32_e32 v3, 5, v1
	v_mov_b32_e32 v5, 0
	v_lshlrev_b32_e32 v2, 2, v0
	v_add_lshl_u32 v4, v3, v0, 2
	ds_write2st64_b32 v4, v5, v5 offset1:16
	s_waitcnt lgkmcnt(0)
	v_cmp_gt_i32_e64 s0, s10, v1
	v_cmp_gt_i32_e32 vcc_lo, s10, v0
	s_and_b32 s0, s0, vcc_lo
	s_and_saveexec_b32 s2, s0
	s_cbranch_execz .LBB24_3
; %bb.2:
	v_mad_u64_u32 v[5:6], null, s14, v1, 0
	s_mul_i32 s0, s17, s7
	s_mul_hi_u32 s3, s16, s7
	s_mul_i32 s14, s16, s7
	v_mad_u64_u32 v[6:7], null, s15, v1, v[6:7]
	s_add_i32 s15, s3, s0
	s_lshl_b64 s[14:15], s[14:15], 2
	s_add_u32 s0, s12, s14
	s_addc_u32 s3, s13, s15
	v_lshlrev_b64 v[5:6], 2, v[5:6]
	v_add_co_u32 v5, s0, s0, v5
	v_add_co_ci_u32_e64 v6, null, s3, v6, s0
	v_add_co_u32 v5, s0, v5, v2
	v_add_co_ci_u32_e64 v6, null, 0, v6, s0
	global_load_dword v5, v[5:6], off
	s_waitcnt vmcnt(0)
	ds_write_b32 v4, v5
.LBB24_3:
	s_or_b32 exec_lo, exec_lo, s2
	s_add_i32 s0, s11, -1
	s_ashr_i32 s2, s0, 31
	s_lshr_b32 s2, s2, 27
	s_add_i32 s0, s0, s2
	s_and_b32 s2, s0, 0xffffffe0
	s_ashr_i32 s0, s0, 5
	s_sub_i32 s2, s11, s2
	s_cmp_ge_i32 s6, s0
	s_cselect_b32 s0, s2, 32
	s_lshl_b32 s2, s6, 5
	v_cmp_gt_i32_e64 s0, s0, v1
	s_ashr_i32 s3, s2, 31
	s_and_b32 s0, vcc_lo, s0
	s_and_saveexec_b32 s6, s0
	s_cbranch_execz .LBB24_5
; %bb.4:
	v_mad_u64_u32 v[5:6], null, s20, v1, 0
	s_mul_i32 s11, s23, s7
	s_mul_hi_u32 s12, s22, s7
	s_mul_i32 s10, s22, s7
	s_add_i32 s11, s12, s11
	s_mul_i32 s13, s20, s3
	s_lshl_b64 s[10:11], s[10:11], 2
	v_mad_u64_u32 v[6:7], null, s21, v1, v[6:7]
	s_mul_hi_u32 s12, s20, s2
	s_add_u32 s15, s18, s10
	s_mul_i32 s14, s21, s2
	s_addc_u32 s16, s19, s11
	s_add_i32 s11, s12, s13
	s_mul_i32 s10, s20, s2
	s_add_i32 s11, s11, s14
	v_lshlrev_b64 v[5:6], 2, v[5:6]
	s_lshl_b64 s[10:11], s[10:11], 2
	s_add_u32 s10, s15, s10
	s_addc_u32 s11, s16, s11
	v_add_co_u32 v5, vcc_lo, s10, v5
	v_add_co_ci_u32_e64 v6, null, s11, v6, vcc_lo
	v_add_co_u32 v5, vcc_lo, v5, v2
	v_add_co_ci_u32_e64 v6, null, 0, v6, vcc_lo
	global_load_dword v5, v[5:6], off
	v_add_nc_u32_e32 v6, 0x1000, v4
	s_waitcnt vmcnt(0)
	ds_write_b32 v6, v5
.LBB24_5:
	s_or_b32 exec_lo, exec_lo, s6
	v_cmp_eq_u32_e32 vcc_lo, v1, v0
	s_cmpk_eq_i32 s9, 0x84
	s_cselect_b32 s6, -1, 0
	s_and_b32 s9, vcc_lo, s6
	s_and_saveexec_b32 s6, s9
; %bb.6:
	v_mov_b32_e32 v5, 1.0
	ds_write_b32 v4, v5
; %bb.7:
	s_or_b32 exec_lo, exec_lo, s6
	s_cmpk_lg_i32 s8, 0x79
	s_cbranch_scc0 .LBB24_9
; %bb.8:
	v_cmp_lt_u32_e32 vcc_lo, v0, v1
	s_and_b32 s6, vcc_lo, exec_lo
	s_cbranch_execz .LBB24_10
	s_branch .LBB24_11
.LBB24_9:
	s_mov_b32 s6, 0
.LBB24_10:
	v_cmp_gt_u32_e32 vcc_lo, v0, v1
	s_andn2_b32 s6, s6, exec_lo
	s_and_b32 s8, vcc_lo, exec_lo
	s_or_b32 s6, s6, s8
.LBB24_11:
	s_and_saveexec_b32 s8, s6
; %bb.12:
	v_mov_b32_e32 v0, 0
	ds_write_b32 v4, v0
; %bb.13:
	s_or_b32 exec_lo, exec_lo, s8
	s_waitcnt lgkmcnt(0)
	s_barrier
	buffer_gl0_inv
	s_and_saveexec_b32 s6, s0
	s_cbranch_execz .LBB24_15
; %bb.14:
	v_lshlrev_b32_e32 v0, 2, v3
	v_add_nc_u32_e32 v17, 0x400, v2
	v_add_nc_u32_e32 v20, 0xc00, v2
	s_load_dwordx4 s[8:11], s[4:5], 0x50
	ds_read2_b32 v[11:12], v2 offset1:32
	ds_read_b128 v[3:6], v0 offset:4096
	ds_read2_b32 v[13:14], v2 offset0:64 offset1:96
	ds_read2_b32 v[15:16], v2 offset0:128 offset1:160
	ds_read_b128 v[7:10], v0 offset:4112
	s_load_dwordx2 s[4:5], s[4:5], 0x60
	s_waitcnt lgkmcnt(0)
	v_fma_f32 v19, v11, v3, 0
	s_mul_i32 s3, s10, s3
	s_mul_hi_u32 s6, s10, s2
	s_mul_i32 s0, s5, s7
	v_fmac_f32_e32 v19, v12, v4
	ds_read2_b32 v[11:12], v2 offset0:192 offset1:224
	s_mul_hi_u32 s5, s4, s7
	s_mul_i32 s4, s4, s7
	s_add_i32 s5, s5, s0
	v_fmac_f32_e32 v19, v13, v5
	s_lshl_b64 s[4:5], s[4:5], 2
	s_mul_i32 s7, s11, s2
	s_add_u32 s0, s8, s4
	s_addc_u32 s4, s9, s5
	v_fmac_f32_e32 v19, v14, v6
	ds_read_b128 v[3:6], v0 offset:4128
	ds_read2_b32 v[13:14], v17 offset1:32
	s_add_i32 s3, s6, s3
	s_mul_i32 s2, s10, s2
	s_add_i32 s3, s3, s7
	v_fmac_f32_e32 v19, v15, v7
	s_lshl_b64 s[2:3], s[2:3], 2
	s_add_u32 s0, s0, s2
	s_addc_u32 s2, s4, s3
	v_fmac_f32_e32 v19, v16, v8
	ds_read2_b32 v[15:16], v17 offset0:64 offset1:96
	s_waitcnt lgkmcnt(3)
	v_fmac_f32_e32 v19, v11, v9
	v_fmac_f32_e32 v19, v12, v10
	ds_read_b128 v[7:10], v0 offset:4144
	ds_read2_b32 v[11:12], v17 offset0:128 offset1:160
	s_waitcnt lgkmcnt(3)
	v_fmac_f32_e32 v19, v13, v3
	v_fmac_f32_e32 v19, v14, v4
	ds_read2_b32 v[13:14], v17 offset0:192 offset1:224
	v_add_nc_u32_e32 v17, 0x800, v2
	s_waitcnt lgkmcnt(3)
	v_fmac_f32_e32 v19, v15, v5
	v_fmac_f32_e32 v19, v16, v6
	ds_read2_b32 v[15:16], v17 offset1:32
	ds_read_b128 v[3:6], v0 offset:4160
	s_waitcnt lgkmcnt(3)
	v_fmac_f32_e32 v19, v11, v7
	v_fmac_f32_e32 v19, v12, v8
	ds_read2_b32 v[11:12], v17 offset0:64 offset1:96
	s_waitcnt lgkmcnt(3)
	v_fmac_f32_e32 v19, v13, v9
	v_fmac_f32_e32 v19, v14, v10
	ds_read2_b32 v[13:14], v17 offset0:128 offset1:160
	ds_read_b128 v[7:10], v0 offset:4176
	s_waitcnt lgkmcnt(3)
	v_fmac_f32_e32 v19, v15, v3
	v_fmac_f32_e32 v19, v16, v4
	ds_read2_b32 v[15:16], v17 offset0:192 offset1:224
	v_mad_u64_u32 v[17:18], null, s10, v1, 0
	s_waitcnt lgkmcnt(3)
	v_fmac_f32_e32 v19, v11, v5
	v_fmac_f32_e32 v19, v12, v6
	ds_read2_b32 v[11:12], v20 offset1:32
	ds_read_b128 v[3:6], v0 offset:4192
	s_waitcnt lgkmcnt(3)
	v_fmac_f32_e32 v19, v13, v7
	v_fmac_f32_e32 v19, v14, v8
	ds_read2_b32 v[13:14], v20 offset0:64 offset1:96
	s_waitcnt lgkmcnt(3)
	v_fmac_f32_e32 v19, v15, v9
	v_fmac_f32_e32 v19, v16, v10
	ds_read2_b32 v[15:16], v20 offset0:128 offset1:160
	ds_read_b128 v[7:10], v0 offset:4208
	v_mov_b32_e32 v0, v18
	s_waitcnt lgkmcnt(3)
	v_fmac_f32_e32 v19, v11, v3
	v_mad_u64_u32 v[0:1], null, s11, v1, v[0:1]
	v_fmac_f32_e32 v19, v12, v4
	ds_read2_b32 v[3:4], v20 offset0:192 offset1:224
	v_mov_b32_e32 v18, v0
	s_waitcnt lgkmcnt(3)
	v_fmac_f32_e32 v19, v13, v5
	v_lshlrev_b64 v[0:1], 2, v[17:18]
	v_fmac_f32_e32 v19, v14, v6
	v_add_co_u32 v0, vcc_lo, s0, v0
	s_waitcnt lgkmcnt(1)
	v_fmac_f32_e32 v19, v15, v7
	v_add_co_ci_u32_e64 v1, null, s2, v1, vcc_lo
	v_add_co_u32 v0, vcc_lo, v0, v2
	v_fmac_f32_e32 v19, v16, v8
	v_add_co_ci_u32_e64 v1, null, 0, v1, vcc_lo
	s_waitcnt lgkmcnt(0)
	v_fmac_f32_e32 v19, v3, v9
	v_fmac_f32_e32 v19, v4, v10
	v_mul_f32_e32 v3, s1, v19
	global_store_dword v[0:1], v3, off
.LBB24_15:
	s_endpgm
	.section	.rodata,"a",@progbits
	.p2align	6, 0x0
	.amdhsa_kernel _ZL23rocblas_trmm_lNx_kernelILi32EfPKfS0_fEv13rocblas_fill_17rocblas_diagonal_iiT1_lPT2_llS6_llPT3_lli
		.amdhsa_group_segment_fixed_size 8192
		.amdhsa_private_segment_fixed_size 0
		.amdhsa_kernarg_size 108
		.amdhsa_user_sgpr_count 6
		.amdhsa_user_sgpr_private_segment_buffer 1
		.amdhsa_user_sgpr_dispatch_ptr 0
		.amdhsa_user_sgpr_queue_ptr 0
		.amdhsa_user_sgpr_kernarg_segment_ptr 1
		.amdhsa_user_sgpr_dispatch_id 0
		.amdhsa_user_sgpr_flat_scratch_init 0
		.amdhsa_user_sgpr_private_segment_size 0
		.amdhsa_wavefront_size32 1
		.amdhsa_uses_dynamic_stack 0
		.amdhsa_system_sgpr_private_segment_wavefront_offset 0
		.amdhsa_system_sgpr_workgroup_id_x 1
		.amdhsa_system_sgpr_workgroup_id_y 0
		.amdhsa_system_sgpr_workgroup_id_z 1
		.amdhsa_system_sgpr_workgroup_info 0
		.amdhsa_system_vgpr_workitem_id 1
		.amdhsa_next_free_vgpr 21
		.amdhsa_next_free_sgpr 24
		.amdhsa_reserve_vcc 1
		.amdhsa_reserve_flat_scratch 0
		.amdhsa_float_round_mode_32 0
		.amdhsa_float_round_mode_16_64 0
		.amdhsa_float_denorm_mode_32 3
		.amdhsa_float_denorm_mode_16_64 3
		.amdhsa_dx10_clamp 1
		.amdhsa_ieee_mode 1
		.amdhsa_fp16_overflow 0
		.amdhsa_workgroup_processor_mode 1
		.amdhsa_memory_ordered 1
		.amdhsa_forward_progress 1
		.amdhsa_shared_vgpr_count 0
		.amdhsa_exception_fp_ieee_invalid_op 0
		.amdhsa_exception_fp_denorm_src 0
		.amdhsa_exception_fp_ieee_div_zero 0
		.amdhsa_exception_fp_ieee_overflow 0
		.amdhsa_exception_fp_ieee_underflow 0
		.amdhsa_exception_fp_ieee_inexact 0
		.amdhsa_exception_int_div_zero 0
	.end_amdhsa_kernel
	.section	.text._ZL23rocblas_trmm_lNx_kernelILi32EfPKfS0_fEv13rocblas_fill_17rocblas_diagonal_iiT1_lPT2_llS6_llPT3_lli,"axG",@progbits,_ZL23rocblas_trmm_lNx_kernelILi32EfPKfS0_fEv13rocblas_fill_17rocblas_diagonal_iiT1_lPT2_llS6_llPT3_lli,comdat
.Lfunc_end24:
	.size	_ZL23rocblas_trmm_lNx_kernelILi32EfPKfS0_fEv13rocblas_fill_17rocblas_diagonal_iiT1_lPT2_llS6_llPT3_lli, .Lfunc_end24-_ZL23rocblas_trmm_lNx_kernelILi32EfPKfS0_fEv13rocblas_fill_17rocblas_diagonal_iiT1_lPT2_llS6_llPT3_lli
                                        ; -- End function
	.set _ZL23rocblas_trmm_lNx_kernelILi32EfPKfS0_fEv13rocblas_fill_17rocblas_diagonal_iiT1_lPT2_llS6_llPT3_lli.num_vgpr, 21
	.set _ZL23rocblas_trmm_lNx_kernelILi32EfPKfS0_fEv13rocblas_fill_17rocblas_diagonal_iiT1_lPT2_llS6_llPT3_lli.num_agpr, 0
	.set _ZL23rocblas_trmm_lNx_kernelILi32EfPKfS0_fEv13rocblas_fill_17rocblas_diagonal_iiT1_lPT2_llS6_llPT3_lli.numbered_sgpr, 24
	.set _ZL23rocblas_trmm_lNx_kernelILi32EfPKfS0_fEv13rocblas_fill_17rocblas_diagonal_iiT1_lPT2_llS6_llPT3_lli.num_named_barrier, 0
	.set _ZL23rocblas_trmm_lNx_kernelILi32EfPKfS0_fEv13rocblas_fill_17rocblas_diagonal_iiT1_lPT2_llS6_llPT3_lli.private_seg_size, 0
	.set _ZL23rocblas_trmm_lNx_kernelILi32EfPKfS0_fEv13rocblas_fill_17rocblas_diagonal_iiT1_lPT2_llS6_llPT3_lli.uses_vcc, 1
	.set _ZL23rocblas_trmm_lNx_kernelILi32EfPKfS0_fEv13rocblas_fill_17rocblas_diagonal_iiT1_lPT2_llS6_llPT3_lli.uses_flat_scratch, 0
	.set _ZL23rocblas_trmm_lNx_kernelILi32EfPKfS0_fEv13rocblas_fill_17rocblas_diagonal_iiT1_lPT2_llS6_llPT3_lli.has_dyn_sized_stack, 0
	.set _ZL23rocblas_trmm_lNx_kernelILi32EfPKfS0_fEv13rocblas_fill_17rocblas_diagonal_iiT1_lPT2_llS6_llPT3_lli.has_recursion, 0
	.set _ZL23rocblas_trmm_lNx_kernelILi32EfPKfS0_fEv13rocblas_fill_17rocblas_diagonal_iiT1_lPT2_llS6_llPT3_lli.has_indirect_call, 0
	.section	.AMDGPU.csdata,"",@progbits
; Kernel info:
; codeLenInByte = 1152
; TotalNumSgprs: 26
; NumVgprs: 21
; ScratchSize: 0
; MemoryBound: 0
; FloatMode: 240
; IeeeMode: 1
; LDSByteSize: 8192 bytes/workgroup (compile time only)
; SGPRBlocks: 0
; VGPRBlocks: 2
; NumSGPRsForWavesPerEU: 26
; NumVGPRsForWavesPerEU: 21
; Occupancy: 16
; WaveLimiterHint : 0
; COMPUTE_PGM_RSRC2:SCRATCH_EN: 0
; COMPUTE_PGM_RSRC2:USER_SGPR: 6
; COMPUTE_PGM_RSRC2:TRAP_HANDLER: 0
; COMPUTE_PGM_RSRC2:TGID_X_EN: 1
; COMPUTE_PGM_RSRC2:TGID_Y_EN: 0
; COMPUTE_PGM_RSRC2:TGID_Z_EN: 1
; COMPUTE_PGM_RSRC2:TIDIG_COMP_CNT: 1
	.section	.text._ZL23rocblas_trmm_lNx_kernelILi32EffKffEv13rocblas_fill_17rocblas_diagonal_iiT1_lPT2_llS5_llPT3_lli,"axG",@progbits,_ZL23rocblas_trmm_lNx_kernelILi32EffKffEv13rocblas_fill_17rocblas_diagonal_iiT1_lPT2_llS5_llPT3_lli,comdat
	.globl	_ZL23rocblas_trmm_lNx_kernelILi32EffKffEv13rocblas_fill_17rocblas_diagonal_iiT1_lPT2_llS5_llPT3_lli ; -- Begin function _ZL23rocblas_trmm_lNx_kernelILi32EffKffEv13rocblas_fill_17rocblas_diagonal_iiT1_lPT2_llS5_llPT3_lli
	.p2align	8
	.type	_ZL23rocblas_trmm_lNx_kernelILi32EffKffEv13rocblas_fill_17rocblas_diagonal_iiT1_lPT2_llS5_llPT3_lli,@function
_ZL23rocblas_trmm_lNx_kernelILi32EffKffEv13rocblas_fill_17rocblas_diagonal_iiT1_lPT2_llS5_llPT3_lli: ; @_ZL23rocblas_trmm_lNx_kernelILi32EffKffEv13rocblas_fill_17rocblas_diagonal_iiT1_lPT2_llS5_llPT3_lli
; %bb.0:
	s_load_dword s1, s[4:5], 0x10
	s_waitcnt lgkmcnt(0)
	v_cmp_eq_f32_e64 s0, s1, 0
	s_and_b32 vcc_lo, exec_lo, s0
	s_cbranch_vccnz .LBB25_15
; %bb.1:
	s_clause 0x1
	s_load_dwordx4 s[24:27], s[4:5], 0x0
	s_load_dwordx16 s[8:23], s[4:5], 0x20
	v_lshlrev_b32_e32 v3, 5, v1
	v_mov_b32_e32 v5, 0
	v_lshlrev_b32_e32 v2, 2, v0
	v_add_lshl_u32 v4, v3, v0, 2
	ds_write2st64_b32 v4, v5, v5 offset1:16
	s_waitcnt lgkmcnt(0)
	v_cmp_gt_i32_e64 s0, s26, v1
	v_cmp_gt_i32_e32 vcc_lo, s26, v0
	s_and_b32 s0, s0, vcc_lo
	s_and_saveexec_b32 s2, s0
	s_cbranch_execz .LBB25_3
; %bb.2:
	v_mad_u64_u32 v[5:6], null, s10, v1, 0
	s_mul_i32 s0, s13, s7
	s_mul_hi_u32 s3, s12, s7
	s_mul_i32 s10, s12, s7
	v_mad_u64_u32 v[6:7], null, s11, v1, v[6:7]
	s_add_i32 s11, s3, s0
	s_lshl_b64 s[10:11], s[10:11], 2
	s_add_u32 s0, s8, s10
	s_addc_u32 s3, s9, s11
	v_lshlrev_b64 v[5:6], 2, v[5:6]
	v_add_co_u32 v5, s0, s0, v5
	v_add_co_ci_u32_e64 v6, null, s3, v6, s0
	v_add_co_u32 v5, s0, v5, v2
	v_add_co_ci_u32_e64 v6, null, 0, v6, s0
	global_load_dword v5, v[5:6], off
	s_waitcnt vmcnt(0)
	ds_write_b32 v4, v5
.LBB25_3:
	s_or_b32 exec_lo, exec_lo, s2
	s_add_i32 s0, s27, -1
	s_ashr_i32 s2, s0, 31
	s_lshr_b32 s2, s2, 27
	s_add_i32 s0, s0, s2
	s_and_b32 s2, s0, 0xffffffe0
	s_ashr_i32 s0, s0, 5
	s_sub_i32 s2, s27, s2
	s_cmp_ge_i32 s6, s0
	s_cselect_b32 s0, s2, 32
	s_lshl_b32 s2, s6, 5
	v_cmp_gt_i32_e64 s0, s0, v1
	s_ashr_i32 s3, s2, 31
	s_and_b32 s0, vcc_lo, s0
	s_and_saveexec_b32 s6, s0
	s_cbranch_execz .LBB25_5
; %bb.4:
	v_mad_u64_u32 v[5:6], null, s16, v1, 0
	s_mul_i32 s9, s19, s7
	s_mul_hi_u32 s10, s18, s7
	s_mul_i32 s8, s18, s7
	s_add_i32 s9, s10, s9
	s_mul_i32 s11, s16, s3
	s_lshl_b64 s[8:9], s[8:9], 2
	v_mad_u64_u32 v[6:7], null, s17, v1, v[6:7]
	s_mul_hi_u32 s10, s16, s2
	s_add_u32 s13, s14, s8
	s_mul_i32 s12, s17, s2
	s_addc_u32 s14, s15, s9
	s_add_i32 s9, s10, s11
	s_mul_i32 s8, s16, s2
	s_add_i32 s9, s9, s12
	v_lshlrev_b64 v[5:6], 2, v[5:6]
	s_lshl_b64 s[8:9], s[8:9], 2
	s_add_u32 s8, s13, s8
	s_addc_u32 s9, s14, s9
	v_add_co_u32 v5, vcc_lo, s8, v5
	v_add_co_ci_u32_e64 v6, null, s9, v6, vcc_lo
	v_add_co_u32 v5, vcc_lo, v5, v2
	v_add_co_ci_u32_e64 v6, null, 0, v6, vcc_lo
	global_load_dword v5, v[5:6], off
	v_add_nc_u32_e32 v6, 0x1000, v4
	s_waitcnt vmcnt(0)
	ds_write_b32 v6, v5
.LBB25_5:
	s_or_b32 exec_lo, exec_lo, s6
	v_cmp_eq_u32_e32 vcc_lo, v1, v0
	s_cmpk_eq_i32 s25, 0x84
	s_cselect_b32 s6, -1, 0
	s_and_b32 s8, vcc_lo, s6
	s_and_saveexec_b32 s6, s8
; %bb.6:
	v_mov_b32_e32 v5, 1.0
	ds_write_b32 v4, v5
; %bb.7:
	s_or_b32 exec_lo, exec_lo, s6
	s_cmpk_lg_i32 s24, 0x79
	s_cbranch_scc0 .LBB25_9
; %bb.8:
	v_cmp_lt_u32_e32 vcc_lo, v0, v1
	s_and_b32 s6, vcc_lo, exec_lo
	s_cbranch_execz .LBB25_10
	s_branch .LBB25_11
.LBB25_9:
	s_mov_b32 s6, 0
.LBB25_10:
	v_cmp_gt_u32_e32 vcc_lo, v0, v1
	s_andn2_b32 s6, s6, exec_lo
	s_and_b32 s8, vcc_lo, exec_lo
	s_or_b32 s6, s6, s8
.LBB25_11:
	s_and_saveexec_b32 s8, s6
; %bb.12:
	v_mov_b32_e32 v0, 0
	ds_write_b32 v4, v0
; %bb.13:
	s_or_b32 exec_lo, exec_lo, s8
	s_waitcnt lgkmcnt(0)
	s_barrier
	buffer_gl0_inv
	s_and_saveexec_b32 s6, s0
	s_cbranch_execz .LBB25_15
; %bb.14:
	v_lshlrev_b32_e32 v0, 2, v3
	v_add_nc_u32_e32 v17, 0x400, v2
	v_add_nc_u32_e32 v20, 0xc00, v2
	s_load_dwordx2 s[4:5], s[4:5], 0x60
	ds_read2_b32 v[11:12], v2 offset1:32
	ds_read_b128 v[3:6], v0 offset:4096
	ds_read2_b32 v[13:14], v2 offset0:64 offset1:96
	ds_read2_b32 v[15:16], v2 offset0:128 offset1:160
	ds_read_b128 v[7:10], v0 offset:4112
	s_mul_i32 s0, s22, s3
	s_mul_hi_u32 s3, s22, s2
	s_mul_i32 s6, s23, s2
	s_mul_i32 s2, s22, s2
	s_waitcnt lgkmcnt(0)
	v_fma_f32 v19, v11, v3, 0
	s_mul_i32 s5, s5, s7
	s_mul_hi_u32 s8, s4, s7
	s_mul_i32 s4, s4, s7
	v_fmac_f32_e32 v19, v12, v4
	ds_read2_b32 v[11:12], v2 offset0:192 offset1:224
	s_add_i32 s5, s8, s5
	s_lshl_b64 s[4:5], s[4:5], 2
	v_fmac_f32_e32 v19, v13, v5
	s_add_u32 s4, s20, s4
	s_addc_u32 s5, s21, s5
	s_add_i32 s0, s3, s0
	s_add_i32 s3, s0, s6
	v_fmac_f32_e32 v19, v14, v6
	ds_read_b128 v[3:6], v0 offset:4128
	ds_read2_b32 v[13:14], v17 offset1:32
	s_lshl_b64 s[2:3], s[2:3], 2
	s_add_u32 s0, s4, s2
	v_fmac_f32_e32 v19, v15, v7
	s_addc_u32 s2, s5, s3
	v_fmac_f32_e32 v19, v16, v8
	ds_read2_b32 v[15:16], v17 offset0:64 offset1:96
	s_waitcnt lgkmcnt(3)
	v_fmac_f32_e32 v19, v11, v9
	v_fmac_f32_e32 v19, v12, v10
	ds_read_b128 v[7:10], v0 offset:4144
	ds_read2_b32 v[11:12], v17 offset0:128 offset1:160
	s_waitcnt lgkmcnt(3)
	v_fmac_f32_e32 v19, v13, v3
	v_fmac_f32_e32 v19, v14, v4
	ds_read2_b32 v[13:14], v17 offset0:192 offset1:224
	v_add_nc_u32_e32 v17, 0x800, v2
	s_waitcnt lgkmcnt(3)
	v_fmac_f32_e32 v19, v15, v5
	v_fmac_f32_e32 v19, v16, v6
	ds_read2_b32 v[15:16], v17 offset1:32
	ds_read_b128 v[3:6], v0 offset:4160
	s_waitcnt lgkmcnt(3)
	v_fmac_f32_e32 v19, v11, v7
	v_fmac_f32_e32 v19, v12, v8
	ds_read2_b32 v[11:12], v17 offset0:64 offset1:96
	s_waitcnt lgkmcnt(3)
	v_fmac_f32_e32 v19, v13, v9
	v_fmac_f32_e32 v19, v14, v10
	ds_read2_b32 v[13:14], v17 offset0:128 offset1:160
	ds_read_b128 v[7:10], v0 offset:4176
	s_waitcnt lgkmcnt(3)
	v_fmac_f32_e32 v19, v15, v3
	v_fmac_f32_e32 v19, v16, v4
	ds_read2_b32 v[15:16], v17 offset0:192 offset1:224
	v_mad_u64_u32 v[17:18], null, s22, v1, 0
	s_waitcnt lgkmcnt(3)
	v_fmac_f32_e32 v19, v11, v5
	v_fmac_f32_e32 v19, v12, v6
	ds_read2_b32 v[11:12], v20 offset1:32
	ds_read_b128 v[3:6], v0 offset:4192
	s_waitcnt lgkmcnt(3)
	v_fmac_f32_e32 v19, v13, v7
	v_fmac_f32_e32 v19, v14, v8
	ds_read2_b32 v[13:14], v20 offset0:64 offset1:96
	s_waitcnt lgkmcnt(3)
	v_fmac_f32_e32 v19, v15, v9
	v_fmac_f32_e32 v19, v16, v10
	ds_read2_b32 v[15:16], v20 offset0:128 offset1:160
	ds_read_b128 v[7:10], v0 offset:4208
	v_mov_b32_e32 v0, v18
	s_waitcnt lgkmcnt(3)
	v_fmac_f32_e32 v19, v11, v3
	v_mad_u64_u32 v[0:1], null, s23, v1, v[0:1]
	v_fmac_f32_e32 v19, v12, v4
	ds_read2_b32 v[3:4], v20 offset0:192 offset1:224
	v_mov_b32_e32 v18, v0
	s_waitcnt lgkmcnt(3)
	v_fmac_f32_e32 v19, v13, v5
	v_lshlrev_b64 v[0:1], 2, v[17:18]
	v_fmac_f32_e32 v19, v14, v6
	v_add_co_u32 v0, vcc_lo, s0, v0
	s_waitcnt lgkmcnt(1)
	v_fmac_f32_e32 v19, v15, v7
	v_add_co_ci_u32_e64 v1, null, s2, v1, vcc_lo
	v_add_co_u32 v0, vcc_lo, v0, v2
	v_fmac_f32_e32 v19, v16, v8
	v_add_co_ci_u32_e64 v1, null, 0, v1, vcc_lo
	s_waitcnt lgkmcnt(0)
	v_fmac_f32_e32 v19, v3, v9
	v_fmac_f32_e32 v19, v4, v10
	v_mul_f32_e32 v3, s1, v19
	global_store_dword v[0:1], v3, off
.LBB25_15:
	s_endpgm
	.section	.rodata,"a",@progbits
	.p2align	6, 0x0
	.amdhsa_kernel _ZL23rocblas_trmm_lNx_kernelILi32EffKffEv13rocblas_fill_17rocblas_diagonal_iiT1_lPT2_llS5_llPT3_lli
		.amdhsa_group_segment_fixed_size 8192
		.amdhsa_private_segment_fixed_size 0
		.amdhsa_kernarg_size 108
		.amdhsa_user_sgpr_count 6
		.amdhsa_user_sgpr_private_segment_buffer 1
		.amdhsa_user_sgpr_dispatch_ptr 0
		.amdhsa_user_sgpr_queue_ptr 0
		.amdhsa_user_sgpr_kernarg_segment_ptr 1
		.amdhsa_user_sgpr_dispatch_id 0
		.amdhsa_user_sgpr_flat_scratch_init 0
		.amdhsa_user_sgpr_private_segment_size 0
		.amdhsa_wavefront_size32 1
		.amdhsa_uses_dynamic_stack 0
		.amdhsa_system_sgpr_private_segment_wavefront_offset 0
		.amdhsa_system_sgpr_workgroup_id_x 1
		.amdhsa_system_sgpr_workgroup_id_y 0
		.amdhsa_system_sgpr_workgroup_id_z 1
		.amdhsa_system_sgpr_workgroup_info 0
		.amdhsa_system_vgpr_workitem_id 1
		.amdhsa_next_free_vgpr 21
		.amdhsa_next_free_sgpr 28
		.amdhsa_reserve_vcc 1
		.amdhsa_reserve_flat_scratch 0
		.amdhsa_float_round_mode_32 0
		.amdhsa_float_round_mode_16_64 0
		.amdhsa_float_denorm_mode_32 3
		.amdhsa_float_denorm_mode_16_64 3
		.amdhsa_dx10_clamp 1
		.amdhsa_ieee_mode 1
		.amdhsa_fp16_overflow 0
		.amdhsa_workgroup_processor_mode 1
		.amdhsa_memory_ordered 1
		.amdhsa_forward_progress 1
		.amdhsa_shared_vgpr_count 0
		.amdhsa_exception_fp_ieee_invalid_op 0
		.amdhsa_exception_fp_denorm_src 0
		.amdhsa_exception_fp_ieee_div_zero 0
		.amdhsa_exception_fp_ieee_overflow 0
		.amdhsa_exception_fp_ieee_underflow 0
		.amdhsa_exception_fp_ieee_inexact 0
		.amdhsa_exception_int_div_zero 0
	.end_amdhsa_kernel
	.section	.text._ZL23rocblas_trmm_lNx_kernelILi32EffKffEv13rocblas_fill_17rocblas_diagonal_iiT1_lPT2_llS5_llPT3_lli,"axG",@progbits,_ZL23rocblas_trmm_lNx_kernelILi32EffKffEv13rocblas_fill_17rocblas_diagonal_iiT1_lPT2_llS5_llPT3_lli,comdat
.Lfunc_end25:
	.size	_ZL23rocblas_trmm_lNx_kernelILi32EffKffEv13rocblas_fill_17rocblas_diagonal_iiT1_lPT2_llS5_llPT3_lli, .Lfunc_end25-_ZL23rocblas_trmm_lNx_kernelILi32EffKffEv13rocblas_fill_17rocblas_diagonal_iiT1_lPT2_llS5_llPT3_lli
                                        ; -- End function
	.set _ZL23rocblas_trmm_lNx_kernelILi32EffKffEv13rocblas_fill_17rocblas_diagonal_iiT1_lPT2_llS5_llPT3_lli.num_vgpr, 21
	.set _ZL23rocblas_trmm_lNx_kernelILi32EffKffEv13rocblas_fill_17rocblas_diagonal_iiT1_lPT2_llS5_llPT3_lli.num_agpr, 0
	.set _ZL23rocblas_trmm_lNx_kernelILi32EffKffEv13rocblas_fill_17rocblas_diagonal_iiT1_lPT2_llS5_llPT3_lli.numbered_sgpr, 28
	.set _ZL23rocblas_trmm_lNx_kernelILi32EffKffEv13rocblas_fill_17rocblas_diagonal_iiT1_lPT2_llS5_llPT3_lli.num_named_barrier, 0
	.set _ZL23rocblas_trmm_lNx_kernelILi32EffKffEv13rocblas_fill_17rocblas_diagonal_iiT1_lPT2_llS5_llPT3_lli.private_seg_size, 0
	.set _ZL23rocblas_trmm_lNx_kernelILi32EffKffEv13rocblas_fill_17rocblas_diagonal_iiT1_lPT2_llS5_llPT3_lli.uses_vcc, 1
	.set _ZL23rocblas_trmm_lNx_kernelILi32EffKffEv13rocblas_fill_17rocblas_diagonal_iiT1_lPT2_llS5_llPT3_lli.uses_flat_scratch, 0
	.set _ZL23rocblas_trmm_lNx_kernelILi32EffKffEv13rocblas_fill_17rocblas_diagonal_iiT1_lPT2_llS5_llPT3_lli.has_dyn_sized_stack, 0
	.set _ZL23rocblas_trmm_lNx_kernelILi32EffKffEv13rocblas_fill_17rocblas_diagonal_iiT1_lPT2_llS5_llPT3_lli.has_recursion, 0
	.set _ZL23rocblas_trmm_lNx_kernelILi32EffKffEv13rocblas_fill_17rocblas_diagonal_iiT1_lPT2_llS5_llPT3_lli.has_indirect_call, 0
	.section	.AMDGPU.csdata,"",@progbits
; Kernel info:
; codeLenInByte = 1116
; TotalNumSgprs: 30
; NumVgprs: 21
; ScratchSize: 0
; MemoryBound: 0
; FloatMode: 240
; IeeeMode: 1
; LDSByteSize: 8192 bytes/workgroup (compile time only)
; SGPRBlocks: 0
; VGPRBlocks: 2
; NumSGPRsForWavesPerEU: 30
; NumVGPRsForWavesPerEU: 21
; Occupancy: 16
; WaveLimiterHint : 0
; COMPUTE_PGM_RSRC2:SCRATCH_EN: 0
; COMPUTE_PGM_RSRC2:USER_SGPR: 6
; COMPUTE_PGM_RSRC2:TRAP_HANDLER: 0
; COMPUTE_PGM_RSRC2:TGID_X_EN: 1
; COMPUTE_PGM_RSRC2:TGID_Y_EN: 0
; COMPUTE_PGM_RSRC2:TGID_Z_EN: 1
; COMPUTE_PGM_RSRC2:TIDIG_COMP_CNT: 1
	.section	.text._ZL23rocblas_trmm_lTx_kernelILi32ELb0EfPKfS0_fEv13rocblas_fill_17rocblas_diagonal_iiT2_lPT3_llS6_llPT4_lli,"axG",@progbits,_ZL23rocblas_trmm_lTx_kernelILi32ELb0EfPKfS0_fEv13rocblas_fill_17rocblas_diagonal_iiT2_lPT3_llS6_llPT4_lli,comdat
	.globl	_ZL23rocblas_trmm_lTx_kernelILi32ELb0EfPKfS0_fEv13rocblas_fill_17rocblas_diagonal_iiT2_lPT3_llS6_llPT4_lli ; -- Begin function _ZL23rocblas_trmm_lTx_kernelILi32ELb0EfPKfS0_fEv13rocblas_fill_17rocblas_diagonal_iiT2_lPT3_llS6_llPT4_lli
	.p2align	8
	.type	_ZL23rocblas_trmm_lTx_kernelILi32ELb0EfPKfS0_fEv13rocblas_fill_17rocblas_diagonal_iiT2_lPT3_llS6_llPT4_lli,@function
_ZL23rocblas_trmm_lTx_kernelILi32ELb0EfPKfS0_fEv13rocblas_fill_17rocblas_diagonal_iiT2_lPT3_llS6_llPT4_lli: ; @_ZL23rocblas_trmm_lTx_kernelILi32ELb0EfPKfS0_fEv13rocblas_fill_17rocblas_diagonal_iiT2_lPT3_llS6_llPT4_lli
; %bb.0:
	s_load_dwordx16 s[8:23], s[4:5], 0x10
	s_waitcnt lgkmcnt(0)
	s_mul_i32 s0, s11, s7
	s_mul_hi_u32 s1, s10, s7
	s_add_i32 s1, s1, s0
	s_mul_i32 s0, s10, s7
	s_lshl_b64 s[0:1], s[0:1], 2
	s_add_u32 s0, s8, s0
	s_addc_u32 s1, s9, s1
	s_load_dword s1, s[0:1], 0x0
	s_waitcnt lgkmcnt(0)
	v_cmp_eq_f32_e64 s0, s1, 0
	s_and_b32 vcc_lo, exec_lo, s0
	s_cbranch_vccnz .LBB26_15
; %bb.1:
	s_load_dwordx4 s[8:11], s[4:5], 0x0
	v_lshlrev_b32_e32 v3, 5, v1
	v_mov_b32_e32 v2, 0
	v_add_lshl_u32 v4, v3, v0, 2
	ds_write2st64_b32 v4, v2, v2 offset1:16
	v_lshlrev_b32_e32 v2, 2, v0
	s_waitcnt lgkmcnt(0)
	s_barrier
	buffer_gl0_inv
	v_cmp_gt_i32_e64 s0, s10, v1
	v_cmp_gt_i32_e32 vcc_lo, s10, v0
	s_and_b32 s0, s0, vcc_lo
	s_and_saveexec_b32 s2, s0
	s_cbranch_execz .LBB26_3
; %bb.2:
	v_mad_u64_u32 v[5:6], null, s14, v1, 0
	s_mul_i32 s0, s17, s7
	s_mul_hi_u32 s3, s16, s7
	s_mul_i32 s14, s16, s7
	v_mad_u64_u32 v[6:7], null, s15, v1, v[6:7]
	s_add_i32 s15, s3, s0
	s_lshl_b64 s[14:15], s[14:15], 2
	s_add_u32 s0, s12, s14
	s_addc_u32 s3, s13, s15
	v_lshlrev_b64 v[5:6], 2, v[5:6]
	v_add_co_u32 v5, s0, s0, v5
	v_add_co_ci_u32_e64 v6, null, s3, v6, s0
	v_add_co_u32 v5, s0, v5, v2
	v_add_co_ci_u32_e64 v6, null, 0, v6, s0
	global_load_dword v5, v[5:6], off
	v_lshlrev_b32_e32 v6, 2, v1
	v_lshl_add_u32 v6, v0, 7, v6
	s_waitcnt vmcnt(0)
	ds_write_b32 v6, v5
.LBB26_3:
	s_or_b32 exec_lo, exec_lo, s2
	s_add_i32 s0, s11, -1
	s_ashr_i32 s2, s0, 31
	s_lshr_b32 s2, s2, 27
	s_add_i32 s0, s0, s2
	s_and_b32 s2, s0, 0xffffffe0
	s_ashr_i32 s0, s0, 5
	s_sub_i32 s2, s11, s2
	s_cmp_ge_i32 s6, s0
	s_cselect_b32 s0, s2, 32
	s_lshl_b32 s2, s6, 5
	v_cmp_gt_i32_e64 s0, s0, v1
	s_ashr_i32 s3, s2, 31
	s_and_b32 s0, vcc_lo, s0
	s_and_saveexec_b32 s6, s0
	s_cbranch_execz .LBB26_5
; %bb.4:
	v_mad_u64_u32 v[5:6], null, s20, v1, 0
	s_mul_i32 s11, s23, s7
	s_mul_hi_u32 s12, s22, s7
	s_mul_i32 s10, s22, s7
	s_add_i32 s11, s12, s11
	s_mul_i32 s13, s20, s3
	s_lshl_b64 s[10:11], s[10:11], 2
	v_mad_u64_u32 v[6:7], null, s21, v1, v[6:7]
	s_mul_hi_u32 s12, s20, s2
	s_add_u32 s15, s18, s10
	s_mul_i32 s14, s21, s2
	s_addc_u32 s16, s19, s11
	s_add_i32 s11, s12, s13
	s_mul_i32 s10, s20, s2
	s_add_i32 s11, s11, s14
	v_lshlrev_b64 v[5:6], 2, v[5:6]
	s_lshl_b64 s[10:11], s[10:11], 2
	s_add_u32 s10, s15, s10
	s_addc_u32 s11, s16, s11
	v_add_co_u32 v5, vcc_lo, s10, v5
	v_add_co_ci_u32_e64 v6, null, s11, v6, vcc_lo
	v_add_co_u32 v5, vcc_lo, v5, v2
	v_add_co_ci_u32_e64 v6, null, 0, v6, vcc_lo
	global_load_dword v5, v[5:6], off
	v_add_nc_u32_e32 v6, 0x1000, v4
	s_waitcnt vmcnt(0)
	ds_write_b32 v6, v5
.LBB26_5:
	s_or_b32 exec_lo, exec_lo, s6
	v_cmp_eq_u32_e32 vcc_lo, v1, v0
	s_cmpk_eq_i32 s9, 0x84
	s_cselect_b32 s6, -1, 0
	s_and_b32 s9, vcc_lo, s6
	s_and_saveexec_b32 s6, s9
; %bb.6:
	v_mov_b32_e32 v5, 1.0
	ds_write_b32 v4, v5
; %bb.7:
	s_or_b32 exec_lo, exec_lo, s6
	s_cmpk_lg_i32 s8, 0x7a
	s_waitcnt lgkmcnt(0)
	s_barrier
	buffer_gl0_inv
	s_cbranch_scc0 .LBB26_9
; %bb.8:
	v_cmp_lt_u32_e32 vcc_lo, v0, v1
	s_and_b32 s6, vcc_lo, exec_lo
	s_cbranch_execz .LBB26_10
	s_branch .LBB26_11
.LBB26_9:
	s_mov_b32 s6, 0
.LBB26_10:
	v_cmp_gt_u32_e32 vcc_lo, v0, v1
	s_andn2_b32 s6, s6, exec_lo
	s_and_b32 s8, vcc_lo, exec_lo
	s_or_b32 s6, s6, s8
.LBB26_11:
	s_and_saveexec_b32 s8, s6
; %bb.12:
	v_mov_b32_e32 v0, 0
	ds_write_b32 v4, v0
; %bb.13:
	s_or_b32 exec_lo, exec_lo, s8
	s_waitcnt lgkmcnt(0)
	s_barrier
	buffer_gl0_inv
	s_and_saveexec_b32 s6, s0
	s_cbranch_execz .LBB26_15
; %bb.14:
	v_lshlrev_b32_e32 v0, 2, v3
	v_add_nc_u32_e32 v17, 0x400, v2
	v_add_nc_u32_e32 v20, 0xc00, v2
	s_load_dwordx4 s[8:11], s[4:5], 0x50
	ds_read2_b32 v[11:12], v2 offset1:32
	ds_read_b128 v[3:6], v0 offset:4096
	ds_read2_b32 v[13:14], v2 offset0:64 offset1:96
	ds_read2_b32 v[15:16], v2 offset0:128 offset1:160
	ds_read_b128 v[7:10], v0 offset:4112
	s_load_dwordx2 s[4:5], s[4:5], 0x60
	s_waitcnt lgkmcnt(0)
	v_fma_f32 v19, v11, v3, 0
	s_mul_i32 s3, s10, s3
	s_mul_hi_u32 s6, s10, s2
	s_mul_i32 s0, s5, s7
	v_fmac_f32_e32 v19, v12, v4
	ds_read2_b32 v[11:12], v2 offset0:192 offset1:224
	s_mul_hi_u32 s5, s4, s7
	s_mul_i32 s4, s4, s7
	s_add_i32 s5, s5, s0
	v_fmac_f32_e32 v19, v13, v5
	s_lshl_b64 s[4:5], s[4:5], 2
	s_mul_i32 s7, s11, s2
	s_add_u32 s0, s8, s4
	s_addc_u32 s4, s9, s5
	v_fmac_f32_e32 v19, v14, v6
	ds_read_b128 v[3:6], v0 offset:4128
	ds_read2_b32 v[13:14], v17 offset1:32
	s_add_i32 s3, s6, s3
	s_mul_i32 s2, s10, s2
	s_add_i32 s3, s3, s7
	v_fmac_f32_e32 v19, v15, v7
	s_lshl_b64 s[2:3], s[2:3], 2
	s_add_u32 s0, s0, s2
	s_addc_u32 s2, s4, s3
	v_fmac_f32_e32 v19, v16, v8
	ds_read2_b32 v[15:16], v17 offset0:64 offset1:96
	s_waitcnt lgkmcnt(3)
	v_fmac_f32_e32 v19, v11, v9
	v_fmac_f32_e32 v19, v12, v10
	ds_read_b128 v[7:10], v0 offset:4144
	ds_read2_b32 v[11:12], v17 offset0:128 offset1:160
	s_waitcnt lgkmcnt(3)
	v_fmac_f32_e32 v19, v13, v3
	v_fmac_f32_e32 v19, v14, v4
	ds_read2_b32 v[13:14], v17 offset0:192 offset1:224
	v_add_nc_u32_e32 v17, 0x800, v2
	s_waitcnt lgkmcnt(3)
	v_fmac_f32_e32 v19, v15, v5
	v_fmac_f32_e32 v19, v16, v6
	ds_read2_b32 v[15:16], v17 offset1:32
	ds_read_b128 v[3:6], v0 offset:4160
	s_waitcnt lgkmcnt(3)
	v_fmac_f32_e32 v19, v11, v7
	v_fmac_f32_e32 v19, v12, v8
	ds_read2_b32 v[11:12], v17 offset0:64 offset1:96
	s_waitcnt lgkmcnt(3)
	v_fmac_f32_e32 v19, v13, v9
	v_fmac_f32_e32 v19, v14, v10
	ds_read2_b32 v[13:14], v17 offset0:128 offset1:160
	ds_read_b128 v[7:10], v0 offset:4176
	s_waitcnt lgkmcnt(3)
	v_fmac_f32_e32 v19, v15, v3
	v_fmac_f32_e32 v19, v16, v4
	ds_read2_b32 v[15:16], v17 offset0:192 offset1:224
	v_mad_u64_u32 v[17:18], null, s10, v1, 0
	s_waitcnt lgkmcnt(3)
	v_fmac_f32_e32 v19, v11, v5
	v_fmac_f32_e32 v19, v12, v6
	ds_read2_b32 v[11:12], v20 offset1:32
	ds_read_b128 v[3:6], v0 offset:4192
	s_waitcnt lgkmcnt(3)
	v_fmac_f32_e32 v19, v13, v7
	v_fmac_f32_e32 v19, v14, v8
	ds_read2_b32 v[13:14], v20 offset0:64 offset1:96
	s_waitcnt lgkmcnt(3)
	v_fmac_f32_e32 v19, v15, v9
	v_fmac_f32_e32 v19, v16, v10
	ds_read2_b32 v[15:16], v20 offset0:128 offset1:160
	ds_read_b128 v[7:10], v0 offset:4208
	v_mov_b32_e32 v0, v18
	s_waitcnt lgkmcnt(3)
	v_fmac_f32_e32 v19, v11, v3
	v_mad_u64_u32 v[0:1], null, s11, v1, v[0:1]
	v_fmac_f32_e32 v19, v12, v4
	ds_read2_b32 v[3:4], v20 offset0:192 offset1:224
	v_mov_b32_e32 v18, v0
	s_waitcnt lgkmcnt(3)
	v_fmac_f32_e32 v19, v13, v5
	v_lshlrev_b64 v[0:1], 2, v[17:18]
	v_fmac_f32_e32 v19, v14, v6
	v_add_co_u32 v0, vcc_lo, s0, v0
	s_waitcnt lgkmcnt(1)
	v_fmac_f32_e32 v19, v15, v7
	v_add_co_ci_u32_e64 v1, null, s2, v1, vcc_lo
	v_add_co_u32 v0, vcc_lo, v0, v2
	v_fmac_f32_e32 v19, v16, v8
	v_add_co_ci_u32_e64 v1, null, 0, v1, vcc_lo
	s_waitcnt lgkmcnt(0)
	v_fmac_f32_e32 v19, v3, v9
	v_fmac_f32_e32 v19, v4, v10
	v_mul_f32_e32 v3, s1, v19
	global_store_dword v[0:1], v3, off
.LBB26_15:
	s_endpgm
	.section	.rodata,"a",@progbits
	.p2align	6, 0x0
	.amdhsa_kernel _ZL23rocblas_trmm_lTx_kernelILi32ELb0EfPKfS0_fEv13rocblas_fill_17rocblas_diagonal_iiT2_lPT3_llS6_llPT4_lli
		.amdhsa_group_segment_fixed_size 8192
		.amdhsa_private_segment_fixed_size 0
		.amdhsa_kernarg_size 108
		.amdhsa_user_sgpr_count 6
		.amdhsa_user_sgpr_private_segment_buffer 1
		.amdhsa_user_sgpr_dispatch_ptr 0
		.amdhsa_user_sgpr_queue_ptr 0
		.amdhsa_user_sgpr_kernarg_segment_ptr 1
		.amdhsa_user_sgpr_dispatch_id 0
		.amdhsa_user_sgpr_flat_scratch_init 0
		.amdhsa_user_sgpr_private_segment_size 0
		.amdhsa_wavefront_size32 1
		.amdhsa_uses_dynamic_stack 0
		.amdhsa_system_sgpr_private_segment_wavefront_offset 0
		.amdhsa_system_sgpr_workgroup_id_x 1
		.amdhsa_system_sgpr_workgroup_id_y 0
		.amdhsa_system_sgpr_workgroup_id_z 1
		.amdhsa_system_sgpr_workgroup_info 0
		.amdhsa_system_vgpr_workitem_id 1
		.amdhsa_next_free_vgpr 21
		.amdhsa_next_free_sgpr 24
		.amdhsa_reserve_vcc 1
		.amdhsa_reserve_flat_scratch 0
		.amdhsa_float_round_mode_32 0
		.amdhsa_float_round_mode_16_64 0
		.amdhsa_float_denorm_mode_32 3
		.amdhsa_float_denorm_mode_16_64 3
		.amdhsa_dx10_clamp 1
		.amdhsa_ieee_mode 1
		.amdhsa_fp16_overflow 0
		.amdhsa_workgroup_processor_mode 1
		.amdhsa_memory_ordered 1
		.amdhsa_forward_progress 1
		.amdhsa_shared_vgpr_count 0
		.amdhsa_exception_fp_ieee_invalid_op 0
		.amdhsa_exception_fp_denorm_src 0
		.amdhsa_exception_fp_ieee_div_zero 0
		.amdhsa_exception_fp_ieee_overflow 0
		.amdhsa_exception_fp_ieee_underflow 0
		.amdhsa_exception_fp_ieee_inexact 0
		.amdhsa_exception_int_div_zero 0
	.end_amdhsa_kernel
	.section	.text._ZL23rocblas_trmm_lTx_kernelILi32ELb0EfPKfS0_fEv13rocblas_fill_17rocblas_diagonal_iiT2_lPT3_llS6_llPT4_lli,"axG",@progbits,_ZL23rocblas_trmm_lTx_kernelILi32ELb0EfPKfS0_fEv13rocblas_fill_17rocblas_diagonal_iiT2_lPT3_llS6_llPT4_lli,comdat
.Lfunc_end26:
	.size	_ZL23rocblas_trmm_lTx_kernelILi32ELb0EfPKfS0_fEv13rocblas_fill_17rocblas_diagonal_iiT2_lPT3_llS6_llPT4_lli, .Lfunc_end26-_ZL23rocblas_trmm_lTx_kernelILi32ELb0EfPKfS0_fEv13rocblas_fill_17rocblas_diagonal_iiT2_lPT3_llS6_llPT4_lli
                                        ; -- End function
	.set _ZL23rocblas_trmm_lTx_kernelILi32ELb0EfPKfS0_fEv13rocblas_fill_17rocblas_diagonal_iiT2_lPT3_llS6_llPT4_lli.num_vgpr, 21
	.set _ZL23rocblas_trmm_lTx_kernelILi32ELb0EfPKfS0_fEv13rocblas_fill_17rocblas_diagonal_iiT2_lPT3_llS6_llPT4_lli.num_agpr, 0
	.set _ZL23rocblas_trmm_lTx_kernelILi32ELb0EfPKfS0_fEv13rocblas_fill_17rocblas_diagonal_iiT2_lPT3_llS6_llPT4_lli.numbered_sgpr, 24
	.set _ZL23rocblas_trmm_lTx_kernelILi32ELb0EfPKfS0_fEv13rocblas_fill_17rocblas_diagonal_iiT2_lPT3_llS6_llPT4_lli.num_named_barrier, 0
	.set _ZL23rocblas_trmm_lTx_kernelILi32ELb0EfPKfS0_fEv13rocblas_fill_17rocblas_diagonal_iiT2_lPT3_llS6_llPT4_lli.private_seg_size, 0
	.set _ZL23rocblas_trmm_lTx_kernelILi32ELb0EfPKfS0_fEv13rocblas_fill_17rocblas_diagonal_iiT2_lPT3_llS6_llPT4_lli.uses_vcc, 1
	.set _ZL23rocblas_trmm_lTx_kernelILi32ELb0EfPKfS0_fEv13rocblas_fill_17rocblas_diagonal_iiT2_lPT3_llS6_llPT4_lli.uses_flat_scratch, 0
	.set _ZL23rocblas_trmm_lTx_kernelILi32ELb0EfPKfS0_fEv13rocblas_fill_17rocblas_diagonal_iiT2_lPT3_llS6_llPT4_lli.has_dyn_sized_stack, 0
	.set _ZL23rocblas_trmm_lTx_kernelILi32ELb0EfPKfS0_fEv13rocblas_fill_17rocblas_diagonal_iiT2_lPT3_llS6_llPT4_lli.has_recursion, 0
	.set _ZL23rocblas_trmm_lTx_kernelILi32ELb0EfPKfS0_fEv13rocblas_fill_17rocblas_diagonal_iiT2_lPT3_llS6_llPT4_lli.has_indirect_call, 0
	.section	.AMDGPU.csdata,"",@progbits
; Kernel info:
; codeLenInByte = 1192
; TotalNumSgprs: 26
; NumVgprs: 21
; ScratchSize: 0
; MemoryBound: 0
; FloatMode: 240
; IeeeMode: 1
; LDSByteSize: 8192 bytes/workgroup (compile time only)
; SGPRBlocks: 0
; VGPRBlocks: 2
; NumSGPRsForWavesPerEU: 26
; NumVGPRsForWavesPerEU: 21
; Occupancy: 16
; WaveLimiterHint : 0
; COMPUTE_PGM_RSRC2:SCRATCH_EN: 0
; COMPUTE_PGM_RSRC2:USER_SGPR: 6
; COMPUTE_PGM_RSRC2:TRAP_HANDLER: 0
; COMPUTE_PGM_RSRC2:TGID_X_EN: 1
; COMPUTE_PGM_RSRC2:TGID_Y_EN: 0
; COMPUTE_PGM_RSRC2:TGID_Z_EN: 1
; COMPUTE_PGM_RSRC2:TIDIG_COMP_CNT: 1
	.section	.text._ZL23rocblas_trmm_lTx_kernelILi32ELb0EffKffEv13rocblas_fill_17rocblas_diagonal_iiT2_lPT3_llS5_llPT4_lli,"axG",@progbits,_ZL23rocblas_trmm_lTx_kernelILi32ELb0EffKffEv13rocblas_fill_17rocblas_diagonal_iiT2_lPT3_llS5_llPT4_lli,comdat
	.globl	_ZL23rocblas_trmm_lTx_kernelILi32ELb0EffKffEv13rocblas_fill_17rocblas_diagonal_iiT2_lPT3_llS5_llPT4_lli ; -- Begin function _ZL23rocblas_trmm_lTx_kernelILi32ELb0EffKffEv13rocblas_fill_17rocblas_diagonal_iiT2_lPT3_llS5_llPT4_lli
	.p2align	8
	.type	_ZL23rocblas_trmm_lTx_kernelILi32ELb0EffKffEv13rocblas_fill_17rocblas_diagonal_iiT2_lPT3_llS5_llPT4_lli,@function
_ZL23rocblas_trmm_lTx_kernelILi32ELb0EffKffEv13rocblas_fill_17rocblas_diagonal_iiT2_lPT3_llS5_llPT4_lli: ; @_ZL23rocblas_trmm_lTx_kernelILi32ELb0EffKffEv13rocblas_fill_17rocblas_diagonal_iiT2_lPT3_llS5_llPT4_lli
; %bb.0:
	s_load_dword s1, s[4:5], 0x10
	s_waitcnt lgkmcnt(0)
	v_cmp_eq_f32_e64 s0, s1, 0
	s_and_b32 vcc_lo, exec_lo, s0
	s_cbranch_vccnz .LBB27_15
; %bb.1:
	s_clause 0x1
	s_load_dwordx4 s[24:27], s[4:5], 0x0
	s_load_dwordx16 s[8:23], s[4:5], 0x20
	v_lshlrev_b32_e32 v3, 5, v1
	v_mov_b32_e32 v2, 0
	v_add_lshl_u32 v4, v3, v0, 2
	ds_write2st64_b32 v4, v2, v2 offset1:16
	v_lshlrev_b32_e32 v2, 2, v0
	s_waitcnt lgkmcnt(0)
	s_barrier
	buffer_gl0_inv
	v_cmp_gt_i32_e64 s0, s26, v1
	v_cmp_gt_i32_e32 vcc_lo, s26, v0
	s_and_b32 s0, s0, vcc_lo
	s_and_saveexec_b32 s2, s0
	s_cbranch_execz .LBB27_3
; %bb.2:
	v_mad_u64_u32 v[5:6], null, s10, v1, 0
	s_mul_i32 s0, s13, s7
	s_mul_hi_u32 s3, s12, s7
	s_mul_i32 s10, s12, s7
	v_mad_u64_u32 v[6:7], null, s11, v1, v[6:7]
	s_add_i32 s11, s3, s0
	s_lshl_b64 s[10:11], s[10:11], 2
	s_add_u32 s0, s8, s10
	s_addc_u32 s3, s9, s11
	v_lshlrev_b64 v[5:6], 2, v[5:6]
	v_add_co_u32 v5, s0, s0, v5
	v_add_co_ci_u32_e64 v6, null, s3, v6, s0
	v_add_co_u32 v5, s0, v5, v2
	v_add_co_ci_u32_e64 v6, null, 0, v6, s0
	global_load_dword v5, v[5:6], off
	v_lshlrev_b32_e32 v6, 2, v1
	v_lshl_add_u32 v6, v0, 7, v6
	s_waitcnt vmcnt(0)
	ds_write_b32 v6, v5
.LBB27_3:
	s_or_b32 exec_lo, exec_lo, s2
	s_add_i32 s0, s27, -1
	s_ashr_i32 s2, s0, 31
	s_lshr_b32 s2, s2, 27
	s_add_i32 s0, s0, s2
	s_and_b32 s2, s0, 0xffffffe0
	s_ashr_i32 s0, s0, 5
	s_sub_i32 s2, s27, s2
	s_cmp_ge_i32 s6, s0
	s_cselect_b32 s0, s2, 32
	s_lshl_b32 s2, s6, 5
	v_cmp_gt_i32_e64 s0, s0, v1
	s_ashr_i32 s3, s2, 31
	s_and_b32 s0, vcc_lo, s0
	s_and_saveexec_b32 s6, s0
	s_cbranch_execz .LBB27_5
; %bb.4:
	v_mad_u64_u32 v[5:6], null, s16, v1, 0
	s_mul_i32 s9, s19, s7
	s_mul_hi_u32 s10, s18, s7
	s_mul_i32 s8, s18, s7
	s_add_i32 s9, s10, s9
	s_mul_i32 s11, s16, s3
	s_lshl_b64 s[8:9], s[8:9], 2
	v_mad_u64_u32 v[6:7], null, s17, v1, v[6:7]
	s_mul_hi_u32 s10, s16, s2
	s_add_u32 s13, s14, s8
	s_mul_i32 s12, s17, s2
	s_addc_u32 s14, s15, s9
	s_add_i32 s9, s10, s11
	s_mul_i32 s8, s16, s2
	s_add_i32 s9, s9, s12
	v_lshlrev_b64 v[5:6], 2, v[5:6]
	s_lshl_b64 s[8:9], s[8:9], 2
	s_add_u32 s8, s13, s8
	s_addc_u32 s9, s14, s9
	v_add_co_u32 v5, vcc_lo, s8, v5
	v_add_co_ci_u32_e64 v6, null, s9, v6, vcc_lo
	v_add_co_u32 v5, vcc_lo, v5, v2
	v_add_co_ci_u32_e64 v6, null, 0, v6, vcc_lo
	global_load_dword v5, v[5:6], off
	v_add_nc_u32_e32 v6, 0x1000, v4
	s_waitcnt vmcnt(0)
	ds_write_b32 v6, v5
.LBB27_5:
	s_or_b32 exec_lo, exec_lo, s6
	v_cmp_eq_u32_e32 vcc_lo, v1, v0
	s_cmpk_eq_i32 s25, 0x84
	s_cselect_b32 s6, -1, 0
	s_and_b32 s8, vcc_lo, s6
	s_and_saveexec_b32 s6, s8
; %bb.6:
	v_mov_b32_e32 v5, 1.0
	ds_write_b32 v4, v5
; %bb.7:
	s_or_b32 exec_lo, exec_lo, s6
	s_cmpk_lg_i32 s24, 0x7a
	s_waitcnt lgkmcnt(0)
	s_barrier
	buffer_gl0_inv
	s_cbranch_scc0 .LBB27_9
; %bb.8:
	v_cmp_lt_u32_e32 vcc_lo, v0, v1
	s_and_b32 s6, vcc_lo, exec_lo
	s_cbranch_execz .LBB27_10
	s_branch .LBB27_11
.LBB27_9:
	s_mov_b32 s6, 0
.LBB27_10:
	v_cmp_gt_u32_e32 vcc_lo, v0, v1
	s_andn2_b32 s6, s6, exec_lo
	s_and_b32 s8, vcc_lo, exec_lo
	s_or_b32 s6, s6, s8
.LBB27_11:
	s_and_saveexec_b32 s8, s6
; %bb.12:
	v_mov_b32_e32 v0, 0
	ds_write_b32 v4, v0
; %bb.13:
	s_or_b32 exec_lo, exec_lo, s8
	s_waitcnt lgkmcnt(0)
	s_barrier
	buffer_gl0_inv
	s_and_saveexec_b32 s6, s0
	s_cbranch_execz .LBB27_15
; %bb.14:
	v_lshlrev_b32_e32 v0, 2, v3
	v_add_nc_u32_e32 v17, 0x400, v2
	v_add_nc_u32_e32 v20, 0xc00, v2
	s_load_dwordx2 s[4:5], s[4:5], 0x60
	ds_read2_b32 v[11:12], v2 offset1:32
	ds_read_b128 v[3:6], v0 offset:4096
	ds_read2_b32 v[13:14], v2 offset0:64 offset1:96
	ds_read2_b32 v[15:16], v2 offset0:128 offset1:160
	ds_read_b128 v[7:10], v0 offset:4112
	s_mul_i32 s0, s22, s3
	s_mul_hi_u32 s3, s22, s2
	s_mul_i32 s6, s23, s2
	s_mul_i32 s2, s22, s2
	s_waitcnt lgkmcnt(0)
	v_fma_f32 v19, v11, v3, 0
	s_mul_i32 s5, s5, s7
	s_mul_hi_u32 s8, s4, s7
	s_mul_i32 s4, s4, s7
	v_fmac_f32_e32 v19, v12, v4
	ds_read2_b32 v[11:12], v2 offset0:192 offset1:224
	s_add_i32 s5, s8, s5
	s_lshl_b64 s[4:5], s[4:5], 2
	v_fmac_f32_e32 v19, v13, v5
	s_add_u32 s4, s20, s4
	s_addc_u32 s5, s21, s5
	s_add_i32 s0, s3, s0
	s_add_i32 s3, s0, s6
	v_fmac_f32_e32 v19, v14, v6
	ds_read_b128 v[3:6], v0 offset:4128
	ds_read2_b32 v[13:14], v17 offset1:32
	s_lshl_b64 s[2:3], s[2:3], 2
	s_add_u32 s0, s4, s2
	v_fmac_f32_e32 v19, v15, v7
	s_addc_u32 s2, s5, s3
	v_fmac_f32_e32 v19, v16, v8
	ds_read2_b32 v[15:16], v17 offset0:64 offset1:96
	s_waitcnt lgkmcnt(3)
	v_fmac_f32_e32 v19, v11, v9
	v_fmac_f32_e32 v19, v12, v10
	ds_read_b128 v[7:10], v0 offset:4144
	ds_read2_b32 v[11:12], v17 offset0:128 offset1:160
	s_waitcnt lgkmcnt(3)
	v_fmac_f32_e32 v19, v13, v3
	v_fmac_f32_e32 v19, v14, v4
	ds_read2_b32 v[13:14], v17 offset0:192 offset1:224
	v_add_nc_u32_e32 v17, 0x800, v2
	s_waitcnt lgkmcnt(3)
	v_fmac_f32_e32 v19, v15, v5
	v_fmac_f32_e32 v19, v16, v6
	ds_read2_b32 v[15:16], v17 offset1:32
	ds_read_b128 v[3:6], v0 offset:4160
	s_waitcnt lgkmcnt(3)
	v_fmac_f32_e32 v19, v11, v7
	v_fmac_f32_e32 v19, v12, v8
	ds_read2_b32 v[11:12], v17 offset0:64 offset1:96
	s_waitcnt lgkmcnt(3)
	v_fmac_f32_e32 v19, v13, v9
	v_fmac_f32_e32 v19, v14, v10
	ds_read2_b32 v[13:14], v17 offset0:128 offset1:160
	ds_read_b128 v[7:10], v0 offset:4176
	s_waitcnt lgkmcnt(3)
	v_fmac_f32_e32 v19, v15, v3
	v_fmac_f32_e32 v19, v16, v4
	ds_read2_b32 v[15:16], v17 offset0:192 offset1:224
	v_mad_u64_u32 v[17:18], null, s22, v1, 0
	s_waitcnt lgkmcnt(3)
	v_fmac_f32_e32 v19, v11, v5
	v_fmac_f32_e32 v19, v12, v6
	ds_read2_b32 v[11:12], v20 offset1:32
	ds_read_b128 v[3:6], v0 offset:4192
	s_waitcnt lgkmcnt(3)
	v_fmac_f32_e32 v19, v13, v7
	v_fmac_f32_e32 v19, v14, v8
	ds_read2_b32 v[13:14], v20 offset0:64 offset1:96
	s_waitcnt lgkmcnt(3)
	v_fmac_f32_e32 v19, v15, v9
	v_fmac_f32_e32 v19, v16, v10
	ds_read2_b32 v[15:16], v20 offset0:128 offset1:160
	ds_read_b128 v[7:10], v0 offset:4208
	v_mov_b32_e32 v0, v18
	s_waitcnt lgkmcnt(3)
	v_fmac_f32_e32 v19, v11, v3
	v_mad_u64_u32 v[0:1], null, s23, v1, v[0:1]
	v_fmac_f32_e32 v19, v12, v4
	ds_read2_b32 v[3:4], v20 offset0:192 offset1:224
	v_mov_b32_e32 v18, v0
	s_waitcnt lgkmcnt(3)
	v_fmac_f32_e32 v19, v13, v5
	v_lshlrev_b64 v[0:1], 2, v[17:18]
	v_fmac_f32_e32 v19, v14, v6
	v_add_co_u32 v0, vcc_lo, s0, v0
	s_waitcnt lgkmcnt(1)
	v_fmac_f32_e32 v19, v15, v7
	v_add_co_ci_u32_e64 v1, null, s2, v1, vcc_lo
	v_add_co_u32 v0, vcc_lo, v0, v2
	v_fmac_f32_e32 v19, v16, v8
	v_add_co_ci_u32_e64 v1, null, 0, v1, vcc_lo
	s_waitcnt lgkmcnt(0)
	v_fmac_f32_e32 v19, v3, v9
	v_fmac_f32_e32 v19, v4, v10
	v_mul_f32_e32 v3, s1, v19
	global_store_dword v[0:1], v3, off
.LBB27_15:
	s_endpgm
	.section	.rodata,"a",@progbits
	.p2align	6, 0x0
	.amdhsa_kernel _ZL23rocblas_trmm_lTx_kernelILi32ELb0EffKffEv13rocblas_fill_17rocblas_diagonal_iiT2_lPT3_llS5_llPT4_lli
		.amdhsa_group_segment_fixed_size 8192
		.amdhsa_private_segment_fixed_size 0
		.amdhsa_kernarg_size 108
		.amdhsa_user_sgpr_count 6
		.amdhsa_user_sgpr_private_segment_buffer 1
		.amdhsa_user_sgpr_dispatch_ptr 0
		.amdhsa_user_sgpr_queue_ptr 0
		.amdhsa_user_sgpr_kernarg_segment_ptr 1
		.amdhsa_user_sgpr_dispatch_id 0
		.amdhsa_user_sgpr_flat_scratch_init 0
		.amdhsa_user_sgpr_private_segment_size 0
		.amdhsa_wavefront_size32 1
		.amdhsa_uses_dynamic_stack 0
		.amdhsa_system_sgpr_private_segment_wavefront_offset 0
		.amdhsa_system_sgpr_workgroup_id_x 1
		.amdhsa_system_sgpr_workgroup_id_y 0
		.amdhsa_system_sgpr_workgroup_id_z 1
		.amdhsa_system_sgpr_workgroup_info 0
		.amdhsa_system_vgpr_workitem_id 1
		.amdhsa_next_free_vgpr 21
		.amdhsa_next_free_sgpr 28
		.amdhsa_reserve_vcc 1
		.amdhsa_reserve_flat_scratch 0
		.amdhsa_float_round_mode_32 0
		.amdhsa_float_round_mode_16_64 0
		.amdhsa_float_denorm_mode_32 3
		.amdhsa_float_denorm_mode_16_64 3
		.amdhsa_dx10_clamp 1
		.amdhsa_ieee_mode 1
		.amdhsa_fp16_overflow 0
		.amdhsa_workgroup_processor_mode 1
		.amdhsa_memory_ordered 1
		.amdhsa_forward_progress 1
		.amdhsa_shared_vgpr_count 0
		.amdhsa_exception_fp_ieee_invalid_op 0
		.amdhsa_exception_fp_denorm_src 0
		.amdhsa_exception_fp_ieee_div_zero 0
		.amdhsa_exception_fp_ieee_overflow 0
		.amdhsa_exception_fp_ieee_underflow 0
		.amdhsa_exception_fp_ieee_inexact 0
		.amdhsa_exception_int_div_zero 0
	.end_amdhsa_kernel
	.section	.text._ZL23rocblas_trmm_lTx_kernelILi32ELb0EffKffEv13rocblas_fill_17rocblas_diagonal_iiT2_lPT3_llS5_llPT4_lli,"axG",@progbits,_ZL23rocblas_trmm_lTx_kernelILi32ELb0EffKffEv13rocblas_fill_17rocblas_diagonal_iiT2_lPT3_llS5_llPT4_lli,comdat
.Lfunc_end27:
	.size	_ZL23rocblas_trmm_lTx_kernelILi32ELb0EffKffEv13rocblas_fill_17rocblas_diagonal_iiT2_lPT3_llS5_llPT4_lli, .Lfunc_end27-_ZL23rocblas_trmm_lTx_kernelILi32ELb0EffKffEv13rocblas_fill_17rocblas_diagonal_iiT2_lPT3_llS5_llPT4_lli
                                        ; -- End function
	.set _ZL23rocblas_trmm_lTx_kernelILi32ELb0EffKffEv13rocblas_fill_17rocblas_diagonal_iiT2_lPT3_llS5_llPT4_lli.num_vgpr, 21
	.set _ZL23rocblas_trmm_lTx_kernelILi32ELb0EffKffEv13rocblas_fill_17rocblas_diagonal_iiT2_lPT3_llS5_llPT4_lli.num_agpr, 0
	.set _ZL23rocblas_trmm_lTx_kernelILi32ELb0EffKffEv13rocblas_fill_17rocblas_diagonal_iiT2_lPT3_llS5_llPT4_lli.numbered_sgpr, 28
	.set _ZL23rocblas_trmm_lTx_kernelILi32ELb0EffKffEv13rocblas_fill_17rocblas_diagonal_iiT2_lPT3_llS5_llPT4_lli.num_named_barrier, 0
	.set _ZL23rocblas_trmm_lTx_kernelILi32ELb0EffKffEv13rocblas_fill_17rocblas_diagonal_iiT2_lPT3_llS5_llPT4_lli.private_seg_size, 0
	.set _ZL23rocblas_trmm_lTx_kernelILi32ELb0EffKffEv13rocblas_fill_17rocblas_diagonal_iiT2_lPT3_llS5_llPT4_lli.uses_vcc, 1
	.set _ZL23rocblas_trmm_lTx_kernelILi32ELb0EffKffEv13rocblas_fill_17rocblas_diagonal_iiT2_lPT3_llS5_llPT4_lli.uses_flat_scratch, 0
	.set _ZL23rocblas_trmm_lTx_kernelILi32ELb0EffKffEv13rocblas_fill_17rocblas_diagonal_iiT2_lPT3_llS5_llPT4_lli.has_dyn_sized_stack, 0
	.set _ZL23rocblas_trmm_lTx_kernelILi32ELb0EffKffEv13rocblas_fill_17rocblas_diagonal_iiT2_lPT3_llS5_llPT4_lli.has_recursion, 0
	.set _ZL23rocblas_trmm_lTx_kernelILi32ELb0EffKffEv13rocblas_fill_17rocblas_diagonal_iiT2_lPT3_llS5_llPT4_lli.has_indirect_call, 0
	.section	.AMDGPU.csdata,"",@progbits
; Kernel info:
; codeLenInByte = 1156
; TotalNumSgprs: 30
; NumVgprs: 21
; ScratchSize: 0
; MemoryBound: 0
; FloatMode: 240
; IeeeMode: 1
; LDSByteSize: 8192 bytes/workgroup (compile time only)
; SGPRBlocks: 0
; VGPRBlocks: 2
; NumSGPRsForWavesPerEU: 30
; NumVGPRsForWavesPerEU: 21
; Occupancy: 16
; WaveLimiterHint : 0
; COMPUTE_PGM_RSRC2:SCRATCH_EN: 0
; COMPUTE_PGM_RSRC2:USER_SGPR: 6
; COMPUTE_PGM_RSRC2:TRAP_HANDLER: 0
; COMPUTE_PGM_RSRC2:TGID_X_EN: 1
; COMPUTE_PGM_RSRC2:TGID_Y_EN: 0
; COMPUTE_PGM_RSRC2:TGID_Z_EN: 1
; COMPUTE_PGM_RSRC2:TIDIG_COMP_CNT: 1
	.section	.text._ZL23rocblas_trmm_lTx_kernelILi32ELb1EfPKfS0_fEv13rocblas_fill_17rocblas_diagonal_iiT2_lPT3_llS6_llPT4_lli,"axG",@progbits,_ZL23rocblas_trmm_lTx_kernelILi32ELb1EfPKfS0_fEv13rocblas_fill_17rocblas_diagonal_iiT2_lPT3_llS6_llPT4_lli,comdat
	.globl	_ZL23rocblas_trmm_lTx_kernelILi32ELb1EfPKfS0_fEv13rocblas_fill_17rocblas_diagonal_iiT2_lPT3_llS6_llPT4_lli ; -- Begin function _ZL23rocblas_trmm_lTx_kernelILi32ELb1EfPKfS0_fEv13rocblas_fill_17rocblas_diagonal_iiT2_lPT3_llS6_llPT4_lli
	.p2align	8
	.type	_ZL23rocblas_trmm_lTx_kernelILi32ELb1EfPKfS0_fEv13rocblas_fill_17rocblas_diagonal_iiT2_lPT3_llS6_llPT4_lli,@function
_ZL23rocblas_trmm_lTx_kernelILi32ELb1EfPKfS0_fEv13rocblas_fill_17rocblas_diagonal_iiT2_lPT3_llS6_llPT4_lli: ; @_ZL23rocblas_trmm_lTx_kernelILi32ELb1EfPKfS0_fEv13rocblas_fill_17rocblas_diagonal_iiT2_lPT3_llS6_llPT4_lli
; %bb.0:
	s_load_dwordx16 s[8:23], s[4:5], 0x10
	s_waitcnt lgkmcnt(0)
	s_mul_i32 s0, s11, s7
	s_mul_hi_u32 s1, s10, s7
	s_add_i32 s1, s1, s0
	s_mul_i32 s0, s10, s7
	s_lshl_b64 s[0:1], s[0:1], 2
	s_add_u32 s0, s8, s0
	s_addc_u32 s1, s9, s1
	s_load_dword s1, s[0:1], 0x0
	s_waitcnt lgkmcnt(0)
	v_cmp_eq_f32_e64 s0, s1, 0
	s_and_b32 vcc_lo, exec_lo, s0
	s_cbranch_vccnz .LBB28_15
; %bb.1:
	s_load_dwordx4 s[8:11], s[4:5], 0x0
	v_lshlrev_b32_e32 v3, 5, v1
	v_mov_b32_e32 v2, 0
	v_add_lshl_u32 v4, v3, v0, 2
	ds_write2st64_b32 v4, v2, v2 offset1:16
	v_lshlrev_b32_e32 v2, 2, v0
	s_waitcnt lgkmcnt(0)
	s_barrier
	buffer_gl0_inv
	v_cmp_gt_i32_e64 s0, s10, v1
	v_cmp_gt_i32_e32 vcc_lo, s10, v0
	s_and_b32 s0, s0, vcc_lo
	s_and_saveexec_b32 s2, s0
	s_cbranch_execz .LBB28_3
; %bb.2:
	v_mad_u64_u32 v[5:6], null, s14, v1, 0
	s_mul_i32 s0, s17, s7
	s_mul_hi_u32 s3, s16, s7
	s_mul_i32 s14, s16, s7
	v_mad_u64_u32 v[6:7], null, s15, v1, v[6:7]
	s_add_i32 s15, s3, s0
	s_lshl_b64 s[14:15], s[14:15], 2
	s_add_u32 s0, s12, s14
	s_addc_u32 s3, s13, s15
	v_lshlrev_b64 v[5:6], 2, v[5:6]
	v_add_co_u32 v5, s0, s0, v5
	v_add_co_ci_u32_e64 v6, null, s3, v6, s0
	v_add_co_u32 v5, s0, v5, v2
	v_add_co_ci_u32_e64 v6, null, 0, v6, s0
	global_load_dword v5, v[5:6], off
	v_lshlrev_b32_e32 v6, 2, v1
	v_lshl_add_u32 v6, v0, 7, v6
	s_waitcnt vmcnt(0)
	ds_write_b32 v6, v5
.LBB28_3:
	s_or_b32 exec_lo, exec_lo, s2
	s_add_i32 s0, s11, -1
	s_ashr_i32 s2, s0, 31
	s_lshr_b32 s2, s2, 27
	s_add_i32 s0, s0, s2
	s_and_b32 s2, s0, 0xffffffe0
	s_ashr_i32 s0, s0, 5
	s_sub_i32 s2, s11, s2
	s_cmp_ge_i32 s6, s0
	s_cselect_b32 s0, s2, 32
	s_lshl_b32 s2, s6, 5
	v_cmp_gt_i32_e64 s0, s0, v1
	s_ashr_i32 s3, s2, 31
	s_and_b32 s0, vcc_lo, s0
	s_and_saveexec_b32 s6, s0
	s_cbranch_execz .LBB28_5
; %bb.4:
	v_mad_u64_u32 v[5:6], null, s20, v1, 0
	s_mul_i32 s11, s23, s7
	s_mul_hi_u32 s12, s22, s7
	s_mul_i32 s10, s22, s7
	s_add_i32 s11, s12, s11
	s_mul_i32 s13, s20, s3
	s_lshl_b64 s[10:11], s[10:11], 2
	v_mad_u64_u32 v[6:7], null, s21, v1, v[6:7]
	s_mul_hi_u32 s12, s20, s2
	s_add_u32 s15, s18, s10
	s_mul_i32 s14, s21, s2
	s_addc_u32 s16, s19, s11
	s_add_i32 s11, s12, s13
	s_mul_i32 s10, s20, s2
	s_add_i32 s11, s11, s14
	v_lshlrev_b64 v[5:6], 2, v[5:6]
	s_lshl_b64 s[10:11], s[10:11], 2
	s_add_u32 s10, s15, s10
	s_addc_u32 s11, s16, s11
	v_add_co_u32 v5, vcc_lo, s10, v5
	v_add_co_ci_u32_e64 v6, null, s11, v6, vcc_lo
	v_add_co_u32 v5, vcc_lo, v5, v2
	v_add_co_ci_u32_e64 v6, null, 0, v6, vcc_lo
	global_load_dword v5, v[5:6], off
	v_add_nc_u32_e32 v6, 0x1000, v4
	s_waitcnt vmcnt(0)
	ds_write_b32 v6, v5
.LBB28_5:
	s_or_b32 exec_lo, exec_lo, s6
	v_cmp_eq_u32_e32 vcc_lo, v1, v0
	s_cmpk_eq_i32 s9, 0x84
	s_cselect_b32 s6, -1, 0
	s_and_b32 s9, vcc_lo, s6
	s_and_saveexec_b32 s6, s9
; %bb.6:
	v_mov_b32_e32 v5, 1.0
	ds_write_b32 v4, v5
; %bb.7:
	s_or_b32 exec_lo, exec_lo, s6
	s_cmpk_lg_i32 s8, 0x7a
	s_waitcnt lgkmcnt(0)
	s_barrier
	buffer_gl0_inv
	s_cbranch_scc0 .LBB28_9
; %bb.8:
	v_cmp_lt_u32_e32 vcc_lo, v0, v1
	s_and_b32 s6, vcc_lo, exec_lo
	s_cbranch_execz .LBB28_10
	s_branch .LBB28_11
.LBB28_9:
	s_mov_b32 s6, 0
.LBB28_10:
	v_cmp_gt_u32_e32 vcc_lo, v0, v1
	s_andn2_b32 s6, s6, exec_lo
	s_and_b32 s8, vcc_lo, exec_lo
	s_or_b32 s6, s6, s8
.LBB28_11:
	s_and_saveexec_b32 s8, s6
; %bb.12:
	v_mov_b32_e32 v0, 0
	ds_write_b32 v4, v0
; %bb.13:
	s_or_b32 exec_lo, exec_lo, s8
	s_waitcnt lgkmcnt(0)
	s_barrier
	buffer_gl0_inv
	s_and_saveexec_b32 s6, s0
	s_cbranch_execz .LBB28_15
; %bb.14:
	v_lshlrev_b32_e32 v0, 2, v3
	v_add_nc_u32_e32 v17, 0x400, v2
	v_add_nc_u32_e32 v20, 0xc00, v2
	s_load_dwordx4 s[8:11], s[4:5], 0x50
	ds_read2_b32 v[11:12], v2 offset1:32
	ds_read_b128 v[3:6], v0 offset:4096
	ds_read2_b32 v[13:14], v2 offset0:64 offset1:96
	ds_read2_b32 v[15:16], v2 offset0:128 offset1:160
	ds_read_b128 v[7:10], v0 offset:4112
	s_load_dwordx2 s[4:5], s[4:5], 0x60
	s_waitcnt lgkmcnt(0)
	v_fma_f32 v19, v11, v3, 0
	s_mul_i32 s3, s10, s3
	s_mul_hi_u32 s6, s10, s2
	s_mul_i32 s0, s5, s7
	v_fmac_f32_e32 v19, v12, v4
	ds_read2_b32 v[11:12], v2 offset0:192 offset1:224
	s_mul_hi_u32 s5, s4, s7
	s_mul_i32 s4, s4, s7
	s_add_i32 s5, s5, s0
	v_fmac_f32_e32 v19, v13, v5
	s_lshl_b64 s[4:5], s[4:5], 2
	s_mul_i32 s7, s11, s2
	s_add_u32 s0, s8, s4
	s_addc_u32 s4, s9, s5
	v_fmac_f32_e32 v19, v14, v6
	ds_read_b128 v[3:6], v0 offset:4128
	ds_read2_b32 v[13:14], v17 offset1:32
	s_add_i32 s3, s6, s3
	s_mul_i32 s2, s10, s2
	s_add_i32 s3, s3, s7
	v_fmac_f32_e32 v19, v15, v7
	s_lshl_b64 s[2:3], s[2:3], 2
	s_add_u32 s0, s0, s2
	s_addc_u32 s2, s4, s3
	v_fmac_f32_e32 v19, v16, v8
	ds_read2_b32 v[15:16], v17 offset0:64 offset1:96
	s_waitcnt lgkmcnt(3)
	v_fmac_f32_e32 v19, v11, v9
	v_fmac_f32_e32 v19, v12, v10
	ds_read_b128 v[7:10], v0 offset:4144
	ds_read2_b32 v[11:12], v17 offset0:128 offset1:160
	s_waitcnt lgkmcnt(3)
	v_fmac_f32_e32 v19, v13, v3
	v_fmac_f32_e32 v19, v14, v4
	ds_read2_b32 v[13:14], v17 offset0:192 offset1:224
	v_add_nc_u32_e32 v17, 0x800, v2
	s_waitcnt lgkmcnt(3)
	v_fmac_f32_e32 v19, v15, v5
	v_fmac_f32_e32 v19, v16, v6
	ds_read2_b32 v[15:16], v17 offset1:32
	ds_read_b128 v[3:6], v0 offset:4160
	s_waitcnt lgkmcnt(3)
	v_fmac_f32_e32 v19, v11, v7
	v_fmac_f32_e32 v19, v12, v8
	ds_read2_b32 v[11:12], v17 offset0:64 offset1:96
	s_waitcnt lgkmcnt(3)
	v_fmac_f32_e32 v19, v13, v9
	v_fmac_f32_e32 v19, v14, v10
	ds_read2_b32 v[13:14], v17 offset0:128 offset1:160
	ds_read_b128 v[7:10], v0 offset:4176
	s_waitcnt lgkmcnt(3)
	v_fmac_f32_e32 v19, v15, v3
	v_fmac_f32_e32 v19, v16, v4
	ds_read2_b32 v[15:16], v17 offset0:192 offset1:224
	v_mad_u64_u32 v[17:18], null, s10, v1, 0
	s_waitcnt lgkmcnt(3)
	v_fmac_f32_e32 v19, v11, v5
	v_fmac_f32_e32 v19, v12, v6
	ds_read2_b32 v[11:12], v20 offset1:32
	ds_read_b128 v[3:6], v0 offset:4192
	s_waitcnt lgkmcnt(3)
	v_fmac_f32_e32 v19, v13, v7
	v_fmac_f32_e32 v19, v14, v8
	ds_read2_b32 v[13:14], v20 offset0:64 offset1:96
	s_waitcnt lgkmcnt(3)
	v_fmac_f32_e32 v19, v15, v9
	v_fmac_f32_e32 v19, v16, v10
	ds_read2_b32 v[15:16], v20 offset0:128 offset1:160
	ds_read_b128 v[7:10], v0 offset:4208
	v_mov_b32_e32 v0, v18
	s_waitcnt lgkmcnt(3)
	v_fmac_f32_e32 v19, v11, v3
	v_mad_u64_u32 v[0:1], null, s11, v1, v[0:1]
	v_fmac_f32_e32 v19, v12, v4
	ds_read2_b32 v[3:4], v20 offset0:192 offset1:224
	v_mov_b32_e32 v18, v0
	s_waitcnt lgkmcnt(3)
	v_fmac_f32_e32 v19, v13, v5
	v_lshlrev_b64 v[0:1], 2, v[17:18]
	v_fmac_f32_e32 v19, v14, v6
	v_add_co_u32 v0, vcc_lo, s0, v0
	s_waitcnt lgkmcnt(1)
	v_fmac_f32_e32 v19, v15, v7
	v_add_co_ci_u32_e64 v1, null, s2, v1, vcc_lo
	v_add_co_u32 v0, vcc_lo, v0, v2
	v_fmac_f32_e32 v19, v16, v8
	v_add_co_ci_u32_e64 v1, null, 0, v1, vcc_lo
	s_waitcnt lgkmcnt(0)
	v_fmac_f32_e32 v19, v3, v9
	v_fmac_f32_e32 v19, v4, v10
	v_mul_f32_e32 v3, s1, v19
	global_store_dword v[0:1], v3, off
.LBB28_15:
	s_endpgm
	.section	.rodata,"a",@progbits
	.p2align	6, 0x0
	.amdhsa_kernel _ZL23rocblas_trmm_lTx_kernelILi32ELb1EfPKfS0_fEv13rocblas_fill_17rocblas_diagonal_iiT2_lPT3_llS6_llPT4_lli
		.amdhsa_group_segment_fixed_size 8192
		.amdhsa_private_segment_fixed_size 0
		.amdhsa_kernarg_size 108
		.amdhsa_user_sgpr_count 6
		.amdhsa_user_sgpr_private_segment_buffer 1
		.amdhsa_user_sgpr_dispatch_ptr 0
		.amdhsa_user_sgpr_queue_ptr 0
		.amdhsa_user_sgpr_kernarg_segment_ptr 1
		.amdhsa_user_sgpr_dispatch_id 0
		.amdhsa_user_sgpr_flat_scratch_init 0
		.amdhsa_user_sgpr_private_segment_size 0
		.amdhsa_wavefront_size32 1
		.amdhsa_uses_dynamic_stack 0
		.amdhsa_system_sgpr_private_segment_wavefront_offset 0
		.amdhsa_system_sgpr_workgroup_id_x 1
		.amdhsa_system_sgpr_workgroup_id_y 0
		.amdhsa_system_sgpr_workgroup_id_z 1
		.amdhsa_system_sgpr_workgroup_info 0
		.amdhsa_system_vgpr_workitem_id 1
		.amdhsa_next_free_vgpr 21
		.amdhsa_next_free_sgpr 24
		.amdhsa_reserve_vcc 1
		.amdhsa_reserve_flat_scratch 0
		.amdhsa_float_round_mode_32 0
		.amdhsa_float_round_mode_16_64 0
		.amdhsa_float_denorm_mode_32 3
		.amdhsa_float_denorm_mode_16_64 3
		.amdhsa_dx10_clamp 1
		.amdhsa_ieee_mode 1
		.amdhsa_fp16_overflow 0
		.amdhsa_workgroup_processor_mode 1
		.amdhsa_memory_ordered 1
		.amdhsa_forward_progress 1
		.amdhsa_shared_vgpr_count 0
		.amdhsa_exception_fp_ieee_invalid_op 0
		.amdhsa_exception_fp_denorm_src 0
		.amdhsa_exception_fp_ieee_div_zero 0
		.amdhsa_exception_fp_ieee_overflow 0
		.amdhsa_exception_fp_ieee_underflow 0
		.amdhsa_exception_fp_ieee_inexact 0
		.amdhsa_exception_int_div_zero 0
	.end_amdhsa_kernel
	.section	.text._ZL23rocblas_trmm_lTx_kernelILi32ELb1EfPKfS0_fEv13rocblas_fill_17rocblas_diagonal_iiT2_lPT3_llS6_llPT4_lli,"axG",@progbits,_ZL23rocblas_trmm_lTx_kernelILi32ELb1EfPKfS0_fEv13rocblas_fill_17rocblas_diagonal_iiT2_lPT3_llS6_llPT4_lli,comdat
.Lfunc_end28:
	.size	_ZL23rocblas_trmm_lTx_kernelILi32ELb1EfPKfS0_fEv13rocblas_fill_17rocblas_diagonal_iiT2_lPT3_llS6_llPT4_lli, .Lfunc_end28-_ZL23rocblas_trmm_lTx_kernelILi32ELb1EfPKfS0_fEv13rocblas_fill_17rocblas_diagonal_iiT2_lPT3_llS6_llPT4_lli
                                        ; -- End function
	.set _ZL23rocblas_trmm_lTx_kernelILi32ELb1EfPKfS0_fEv13rocblas_fill_17rocblas_diagonal_iiT2_lPT3_llS6_llPT4_lli.num_vgpr, 21
	.set _ZL23rocblas_trmm_lTx_kernelILi32ELb1EfPKfS0_fEv13rocblas_fill_17rocblas_diagonal_iiT2_lPT3_llS6_llPT4_lli.num_agpr, 0
	.set _ZL23rocblas_trmm_lTx_kernelILi32ELb1EfPKfS0_fEv13rocblas_fill_17rocblas_diagonal_iiT2_lPT3_llS6_llPT4_lli.numbered_sgpr, 24
	.set _ZL23rocblas_trmm_lTx_kernelILi32ELb1EfPKfS0_fEv13rocblas_fill_17rocblas_diagonal_iiT2_lPT3_llS6_llPT4_lli.num_named_barrier, 0
	.set _ZL23rocblas_trmm_lTx_kernelILi32ELb1EfPKfS0_fEv13rocblas_fill_17rocblas_diagonal_iiT2_lPT3_llS6_llPT4_lli.private_seg_size, 0
	.set _ZL23rocblas_trmm_lTx_kernelILi32ELb1EfPKfS0_fEv13rocblas_fill_17rocblas_diagonal_iiT2_lPT3_llS6_llPT4_lli.uses_vcc, 1
	.set _ZL23rocblas_trmm_lTx_kernelILi32ELb1EfPKfS0_fEv13rocblas_fill_17rocblas_diagonal_iiT2_lPT3_llS6_llPT4_lli.uses_flat_scratch, 0
	.set _ZL23rocblas_trmm_lTx_kernelILi32ELb1EfPKfS0_fEv13rocblas_fill_17rocblas_diagonal_iiT2_lPT3_llS6_llPT4_lli.has_dyn_sized_stack, 0
	.set _ZL23rocblas_trmm_lTx_kernelILi32ELb1EfPKfS0_fEv13rocblas_fill_17rocblas_diagonal_iiT2_lPT3_llS6_llPT4_lli.has_recursion, 0
	.set _ZL23rocblas_trmm_lTx_kernelILi32ELb1EfPKfS0_fEv13rocblas_fill_17rocblas_diagonal_iiT2_lPT3_llS6_llPT4_lli.has_indirect_call, 0
	.section	.AMDGPU.csdata,"",@progbits
; Kernel info:
; codeLenInByte = 1192
; TotalNumSgprs: 26
; NumVgprs: 21
; ScratchSize: 0
; MemoryBound: 0
; FloatMode: 240
; IeeeMode: 1
; LDSByteSize: 8192 bytes/workgroup (compile time only)
; SGPRBlocks: 0
; VGPRBlocks: 2
; NumSGPRsForWavesPerEU: 26
; NumVGPRsForWavesPerEU: 21
; Occupancy: 16
; WaveLimiterHint : 0
; COMPUTE_PGM_RSRC2:SCRATCH_EN: 0
; COMPUTE_PGM_RSRC2:USER_SGPR: 6
; COMPUTE_PGM_RSRC2:TRAP_HANDLER: 0
; COMPUTE_PGM_RSRC2:TGID_X_EN: 1
; COMPUTE_PGM_RSRC2:TGID_Y_EN: 0
; COMPUTE_PGM_RSRC2:TGID_Z_EN: 1
; COMPUTE_PGM_RSRC2:TIDIG_COMP_CNT: 1
	.section	.text._ZL23rocblas_trmm_lTx_kernelILi32ELb1EffKffEv13rocblas_fill_17rocblas_diagonal_iiT2_lPT3_llS5_llPT4_lli,"axG",@progbits,_ZL23rocblas_trmm_lTx_kernelILi32ELb1EffKffEv13rocblas_fill_17rocblas_diagonal_iiT2_lPT3_llS5_llPT4_lli,comdat
	.globl	_ZL23rocblas_trmm_lTx_kernelILi32ELb1EffKffEv13rocblas_fill_17rocblas_diagonal_iiT2_lPT3_llS5_llPT4_lli ; -- Begin function _ZL23rocblas_trmm_lTx_kernelILi32ELb1EffKffEv13rocblas_fill_17rocblas_diagonal_iiT2_lPT3_llS5_llPT4_lli
	.p2align	8
	.type	_ZL23rocblas_trmm_lTx_kernelILi32ELb1EffKffEv13rocblas_fill_17rocblas_diagonal_iiT2_lPT3_llS5_llPT4_lli,@function
_ZL23rocblas_trmm_lTx_kernelILi32ELb1EffKffEv13rocblas_fill_17rocblas_diagonal_iiT2_lPT3_llS5_llPT4_lli: ; @_ZL23rocblas_trmm_lTx_kernelILi32ELb1EffKffEv13rocblas_fill_17rocblas_diagonal_iiT2_lPT3_llS5_llPT4_lli
; %bb.0:
	s_load_dword s1, s[4:5], 0x10
	s_waitcnt lgkmcnt(0)
	v_cmp_eq_f32_e64 s0, s1, 0
	s_and_b32 vcc_lo, exec_lo, s0
	s_cbranch_vccnz .LBB29_15
; %bb.1:
	s_clause 0x1
	s_load_dwordx4 s[24:27], s[4:5], 0x0
	s_load_dwordx16 s[8:23], s[4:5], 0x20
	v_lshlrev_b32_e32 v3, 5, v1
	v_mov_b32_e32 v2, 0
	v_add_lshl_u32 v4, v3, v0, 2
	ds_write2st64_b32 v4, v2, v2 offset1:16
	v_lshlrev_b32_e32 v2, 2, v0
	s_waitcnt lgkmcnt(0)
	s_barrier
	buffer_gl0_inv
	v_cmp_gt_i32_e64 s0, s26, v1
	v_cmp_gt_i32_e32 vcc_lo, s26, v0
	s_and_b32 s0, s0, vcc_lo
	s_and_saveexec_b32 s2, s0
	s_cbranch_execz .LBB29_3
; %bb.2:
	v_mad_u64_u32 v[5:6], null, s10, v1, 0
	s_mul_i32 s0, s13, s7
	s_mul_hi_u32 s3, s12, s7
	s_mul_i32 s10, s12, s7
	v_mad_u64_u32 v[6:7], null, s11, v1, v[6:7]
	s_add_i32 s11, s3, s0
	s_lshl_b64 s[10:11], s[10:11], 2
	s_add_u32 s0, s8, s10
	s_addc_u32 s3, s9, s11
	v_lshlrev_b64 v[5:6], 2, v[5:6]
	v_add_co_u32 v5, s0, s0, v5
	v_add_co_ci_u32_e64 v6, null, s3, v6, s0
	v_add_co_u32 v5, s0, v5, v2
	v_add_co_ci_u32_e64 v6, null, 0, v6, s0
	global_load_dword v5, v[5:6], off
	v_lshlrev_b32_e32 v6, 2, v1
	v_lshl_add_u32 v6, v0, 7, v6
	s_waitcnt vmcnt(0)
	ds_write_b32 v6, v5
.LBB29_3:
	s_or_b32 exec_lo, exec_lo, s2
	s_add_i32 s0, s27, -1
	s_ashr_i32 s2, s0, 31
	s_lshr_b32 s2, s2, 27
	s_add_i32 s0, s0, s2
	s_and_b32 s2, s0, 0xffffffe0
	s_ashr_i32 s0, s0, 5
	s_sub_i32 s2, s27, s2
	s_cmp_ge_i32 s6, s0
	s_cselect_b32 s0, s2, 32
	s_lshl_b32 s2, s6, 5
	v_cmp_gt_i32_e64 s0, s0, v1
	s_ashr_i32 s3, s2, 31
	s_and_b32 s0, vcc_lo, s0
	s_and_saveexec_b32 s6, s0
	s_cbranch_execz .LBB29_5
; %bb.4:
	v_mad_u64_u32 v[5:6], null, s16, v1, 0
	s_mul_i32 s9, s19, s7
	s_mul_hi_u32 s10, s18, s7
	s_mul_i32 s8, s18, s7
	s_add_i32 s9, s10, s9
	s_mul_i32 s11, s16, s3
	s_lshl_b64 s[8:9], s[8:9], 2
	v_mad_u64_u32 v[6:7], null, s17, v1, v[6:7]
	s_mul_hi_u32 s10, s16, s2
	s_add_u32 s13, s14, s8
	s_mul_i32 s12, s17, s2
	s_addc_u32 s14, s15, s9
	s_add_i32 s9, s10, s11
	s_mul_i32 s8, s16, s2
	s_add_i32 s9, s9, s12
	v_lshlrev_b64 v[5:6], 2, v[5:6]
	s_lshl_b64 s[8:9], s[8:9], 2
	s_add_u32 s8, s13, s8
	s_addc_u32 s9, s14, s9
	v_add_co_u32 v5, vcc_lo, s8, v5
	v_add_co_ci_u32_e64 v6, null, s9, v6, vcc_lo
	v_add_co_u32 v5, vcc_lo, v5, v2
	v_add_co_ci_u32_e64 v6, null, 0, v6, vcc_lo
	global_load_dword v5, v[5:6], off
	v_add_nc_u32_e32 v6, 0x1000, v4
	s_waitcnt vmcnt(0)
	ds_write_b32 v6, v5
.LBB29_5:
	s_or_b32 exec_lo, exec_lo, s6
	v_cmp_eq_u32_e32 vcc_lo, v1, v0
	s_cmpk_eq_i32 s25, 0x84
	s_cselect_b32 s6, -1, 0
	s_and_b32 s8, vcc_lo, s6
	s_and_saveexec_b32 s6, s8
; %bb.6:
	v_mov_b32_e32 v5, 1.0
	ds_write_b32 v4, v5
; %bb.7:
	s_or_b32 exec_lo, exec_lo, s6
	s_cmpk_lg_i32 s24, 0x7a
	s_waitcnt lgkmcnt(0)
	s_barrier
	buffer_gl0_inv
	s_cbranch_scc0 .LBB29_9
; %bb.8:
	v_cmp_lt_u32_e32 vcc_lo, v0, v1
	s_and_b32 s6, vcc_lo, exec_lo
	s_cbranch_execz .LBB29_10
	s_branch .LBB29_11
.LBB29_9:
	s_mov_b32 s6, 0
.LBB29_10:
	v_cmp_gt_u32_e32 vcc_lo, v0, v1
	s_andn2_b32 s6, s6, exec_lo
	s_and_b32 s8, vcc_lo, exec_lo
	s_or_b32 s6, s6, s8
.LBB29_11:
	s_and_saveexec_b32 s8, s6
; %bb.12:
	v_mov_b32_e32 v0, 0
	ds_write_b32 v4, v0
; %bb.13:
	s_or_b32 exec_lo, exec_lo, s8
	s_waitcnt lgkmcnt(0)
	s_barrier
	buffer_gl0_inv
	s_and_saveexec_b32 s6, s0
	s_cbranch_execz .LBB29_15
; %bb.14:
	v_lshlrev_b32_e32 v0, 2, v3
	v_add_nc_u32_e32 v17, 0x400, v2
	v_add_nc_u32_e32 v20, 0xc00, v2
	s_load_dwordx2 s[4:5], s[4:5], 0x60
	ds_read2_b32 v[11:12], v2 offset1:32
	ds_read_b128 v[3:6], v0 offset:4096
	ds_read2_b32 v[13:14], v2 offset0:64 offset1:96
	ds_read2_b32 v[15:16], v2 offset0:128 offset1:160
	ds_read_b128 v[7:10], v0 offset:4112
	s_mul_i32 s0, s22, s3
	s_mul_hi_u32 s3, s22, s2
	s_mul_i32 s6, s23, s2
	s_mul_i32 s2, s22, s2
	s_waitcnt lgkmcnt(0)
	v_fma_f32 v19, v11, v3, 0
	s_mul_i32 s5, s5, s7
	s_mul_hi_u32 s8, s4, s7
	s_mul_i32 s4, s4, s7
	v_fmac_f32_e32 v19, v12, v4
	ds_read2_b32 v[11:12], v2 offset0:192 offset1:224
	s_add_i32 s5, s8, s5
	s_lshl_b64 s[4:5], s[4:5], 2
	v_fmac_f32_e32 v19, v13, v5
	s_add_u32 s4, s20, s4
	s_addc_u32 s5, s21, s5
	s_add_i32 s0, s3, s0
	s_add_i32 s3, s0, s6
	v_fmac_f32_e32 v19, v14, v6
	ds_read_b128 v[3:6], v0 offset:4128
	ds_read2_b32 v[13:14], v17 offset1:32
	s_lshl_b64 s[2:3], s[2:3], 2
	s_add_u32 s0, s4, s2
	v_fmac_f32_e32 v19, v15, v7
	s_addc_u32 s2, s5, s3
	v_fmac_f32_e32 v19, v16, v8
	ds_read2_b32 v[15:16], v17 offset0:64 offset1:96
	s_waitcnt lgkmcnt(3)
	v_fmac_f32_e32 v19, v11, v9
	v_fmac_f32_e32 v19, v12, v10
	ds_read_b128 v[7:10], v0 offset:4144
	ds_read2_b32 v[11:12], v17 offset0:128 offset1:160
	s_waitcnt lgkmcnt(3)
	v_fmac_f32_e32 v19, v13, v3
	v_fmac_f32_e32 v19, v14, v4
	ds_read2_b32 v[13:14], v17 offset0:192 offset1:224
	v_add_nc_u32_e32 v17, 0x800, v2
	s_waitcnt lgkmcnt(3)
	v_fmac_f32_e32 v19, v15, v5
	v_fmac_f32_e32 v19, v16, v6
	ds_read2_b32 v[15:16], v17 offset1:32
	ds_read_b128 v[3:6], v0 offset:4160
	s_waitcnt lgkmcnt(3)
	v_fmac_f32_e32 v19, v11, v7
	v_fmac_f32_e32 v19, v12, v8
	ds_read2_b32 v[11:12], v17 offset0:64 offset1:96
	s_waitcnt lgkmcnt(3)
	v_fmac_f32_e32 v19, v13, v9
	v_fmac_f32_e32 v19, v14, v10
	ds_read2_b32 v[13:14], v17 offset0:128 offset1:160
	ds_read_b128 v[7:10], v0 offset:4176
	s_waitcnt lgkmcnt(3)
	v_fmac_f32_e32 v19, v15, v3
	v_fmac_f32_e32 v19, v16, v4
	ds_read2_b32 v[15:16], v17 offset0:192 offset1:224
	v_mad_u64_u32 v[17:18], null, s22, v1, 0
	s_waitcnt lgkmcnt(3)
	v_fmac_f32_e32 v19, v11, v5
	v_fmac_f32_e32 v19, v12, v6
	ds_read2_b32 v[11:12], v20 offset1:32
	ds_read_b128 v[3:6], v0 offset:4192
	s_waitcnt lgkmcnt(3)
	v_fmac_f32_e32 v19, v13, v7
	v_fmac_f32_e32 v19, v14, v8
	ds_read2_b32 v[13:14], v20 offset0:64 offset1:96
	s_waitcnt lgkmcnt(3)
	v_fmac_f32_e32 v19, v15, v9
	v_fmac_f32_e32 v19, v16, v10
	ds_read2_b32 v[15:16], v20 offset0:128 offset1:160
	ds_read_b128 v[7:10], v0 offset:4208
	v_mov_b32_e32 v0, v18
	s_waitcnt lgkmcnt(3)
	v_fmac_f32_e32 v19, v11, v3
	v_mad_u64_u32 v[0:1], null, s23, v1, v[0:1]
	v_fmac_f32_e32 v19, v12, v4
	ds_read2_b32 v[3:4], v20 offset0:192 offset1:224
	v_mov_b32_e32 v18, v0
	s_waitcnt lgkmcnt(3)
	v_fmac_f32_e32 v19, v13, v5
	v_lshlrev_b64 v[0:1], 2, v[17:18]
	v_fmac_f32_e32 v19, v14, v6
	v_add_co_u32 v0, vcc_lo, s0, v0
	s_waitcnt lgkmcnt(1)
	v_fmac_f32_e32 v19, v15, v7
	v_add_co_ci_u32_e64 v1, null, s2, v1, vcc_lo
	v_add_co_u32 v0, vcc_lo, v0, v2
	v_fmac_f32_e32 v19, v16, v8
	v_add_co_ci_u32_e64 v1, null, 0, v1, vcc_lo
	s_waitcnt lgkmcnt(0)
	v_fmac_f32_e32 v19, v3, v9
	v_fmac_f32_e32 v19, v4, v10
	v_mul_f32_e32 v3, s1, v19
	global_store_dword v[0:1], v3, off
.LBB29_15:
	s_endpgm
	.section	.rodata,"a",@progbits
	.p2align	6, 0x0
	.amdhsa_kernel _ZL23rocblas_trmm_lTx_kernelILi32ELb1EffKffEv13rocblas_fill_17rocblas_diagonal_iiT2_lPT3_llS5_llPT4_lli
		.amdhsa_group_segment_fixed_size 8192
		.amdhsa_private_segment_fixed_size 0
		.amdhsa_kernarg_size 108
		.amdhsa_user_sgpr_count 6
		.amdhsa_user_sgpr_private_segment_buffer 1
		.amdhsa_user_sgpr_dispatch_ptr 0
		.amdhsa_user_sgpr_queue_ptr 0
		.amdhsa_user_sgpr_kernarg_segment_ptr 1
		.amdhsa_user_sgpr_dispatch_id 0
		.amdhsa_user_sgpr_flat_scratch_init 0
		.amdhsa_user_sgpr_private_segment_size 0
		.amdhsa_wavefront_size32 1
		.amdhsa_uses_dynamic_stack 0
		.amdhsa_system_sgpr_private_segment_wavefront_offset 0
		.amdhsa_system_sgpr_workgroup_id_x 1
		.amdhsa_system_sgpr_workgroup_id_y 0
		.amdhsa_system_sgpr_workgroup_id_z 1
		.amdhsa_system_sgpr_workgroup_info 0
		.amdhsa_system_vgpr_workitem_id 1
		.amdhsa_next_free_vgpr 21
		.amdhsa_next_free_sgpr 28
		.amdhsa_reserve_vcc 1
		.amdhsa_reserve_flat_scratch 0
		.amdhsa_float_round_mode_32 0
		.amdhsa_float_round_mode_16_64 0
		.amdhsa_float_denorm_mode_32 3
		.amdhsa_float_denorm_mode_16_64 3
		.amdhsa_dx10_clamp 1
		.amdhsa_ieee_mode 1
		.amdhsa_fp16_overflow 0
		.amdhsa_workgroup_processor_mode 1
		.amdhsa_memory_ordered 1
		.amdhsa_forward_progress 1
		.amdhsa_shared_vgpr_count 0
		.amdhsa_exception_fp_ieee_invalid_op 0
		.amdhsa_exception_fp_denorm_src 0
		.amdhsa_exception_fp_ieee_div_zero 0
		.amdhsa_exception_fp_ieee_overflow 0
		.amdhsa_exception_fp_ieee_underflow 0
		.amdhsa_exception_fp_ieee_inexact 0
		.amdhsa_exception_int_div_zero 0
	.end_amdhsa_kernel
	.section	.text._ZL23rocblas_trmm_lTx_kernelILi32ELb1EffKffEv13rocblas_fill_17rocblas_diagonal_iiT2_lPT3_llS5_llPT4_lli,"axG",@progbits,_ZL23rocblas_trmm_lTx_kernelILi32ELb1EffKffEv13rocblas_fill_17rocblas_diagonal_iiT2_lPT3_llS5_llPT4_lli,comdat
.Lfunc_end29:
	.size	_ZL23rocblas_trmm_lTx_kernelILi32ELb1EffKffEv13rocblas_fill_17rocblas_diagonal_iiT2_lPT3_llS5_llPT4_lli, .Lfunc_end29-_ZL23rocblas_trmm_lTx_kernelILi32ELb1EffKffEv13rocblas_fill_17rocblas_diagonal_iiT2_lPT3_llS5_llPT4_lli
                                        ; -- End function
	.set _ZL23rocblas_trmm_lTx_kernelILi32ELb1EffKffEv13rocblas_fill_17rocblas_diagonal_iiT2_lPT3_llS5_llPT4_lli.num_vgpr, 21
	.set _ZL23rocblas_trmm_lTx_kernelILi32ELb1EffKffEv13rocblas_fill_17rocblas_diagonal_iiT2_lPT3_llS5_llPT4_lli.num_agpr, 0
	.set _ZL23rocblas_trmm_lTx_kernelILi32ELb1EffKffEv13rocblas_fill_17rocblas_diagonal_iiT2_lPT3_llS5_llPT4_lli.numbered_sgpr, 28
	.set _ZL23rocblas_trmm_lTx_kernelILi32ELb1EffKffEv13rocblas_fill_17rocblas_diagonal_iiT2_lPT3_llS5_llPT4_lli.num_named_barrier, 0
	.set _ZL23rocblas_trmm_lTx_kernelILi32ELb1EffKffEv13rocblas_fill_17rocblas_diagonal_iiT2_lPT3_llS5_llPT4_lli.private_seg_size, 0
	.set _ZL23rocblas_trmm_lTx_kernelILi32ELb1EffKffEv13rocblas_fill_17rocblas_diagonal_iiT2_lPT3_llS5_llPT4_lli.uses_vcc, 1
	.set _ZL23rocblas_trmm_lTx_kernelILi32ELb1EffKffEv13rocblas_fill_17rocblas_diagonal_iiT2_lPT3_llS5_llPT4_lli.uses_flat_scratch, 0
	.set _ZL23rocblas_trmm_lTx_kernelILi32ELb1EffKffEv13rocblas_fill_17rocblas_diagonal_iiT2_lPT3_llS5_llPT4_lli.has_dyn_sized_stack, 0
	.set _ZL23rocblas_trmm_lTx_kernelILi32ELb1EffKffEv13rocblas_fill_17rocblas_diagonal_iiT2_lPT3_llS5_llPT4_lli.has_recursion, 0
	.set _ZL23rocblas_trmm_lTx_kernelILi32ELb1EffKffEv13rocblas_fill_17rocblas_diagonal_iiT2_lPT3_llS5_llPT4_lli.has_indirect_call, 0
	.section	.AMDGPU.csdata,"",@progbits
; Kernel info:
; codeLenInByte = 1156
; TotalNumSgprs: 30
; NumVgprs: 21
; ScratchSize: 0
; MemoryBound: 0
; FloatMode: 240
; IeeeMode: 1
; LDSByteSize: 8192 bytes/workgroup (compile time only)
; SGPRBlocks: 0
; VGPRBlocks: 2
; NumSGPRsForWavesPerEU: 30
; NumVGPRsForWavesPerEU: 21
; Occupancy: 16
; WaveLimiterHint : 0
; COMPUTE_PGM_RSRC2:SCRATCH_EN: 0
; COMPUTE_PGM_RSRC2:USER_SGPR: 6
; COMPUTE_PGM_RSRC2:TRAP_HANDLER: 0
; COMPUTE_PGM_RSRC2:TGID_X_EN: 1
; COMPUTE_PGM_RSRC2:TGID_Y_EN: 0
; COMPUTE_PGM_RSRC2:TGID_Z_EN: 1
; COMPUTE_PGM_RSRC2:TIDIG_COMP_CNT: 1
	.section	.text._ZL23rocblas_trmm_rNx_kernelILi32EfPKfS0_fEv13rocblas_fill_17rocblas_diagonal_iiT1_lPT2_llS6_llPT3_lli,"axG",@progbits,_ZL23rocblas_trmm_rNx_kernelILi32EfPKfS0_fEv13rocblas_fill_17rocblas_diagonal_iiT1_lPT2_llS6_llPT3_lli,comdat
	.globl	_ZL23rocblas_trmm_rNx_kernelILi32EfPKfS0_fEv13rocblas_fill_17rocblas_diagonal_iiT1_lPT2_llS6_llPT3_lli ; -- Begin function _ZL23rocblas_trmm_rNx_kernelILi32EfPKfS0_fEv13rocblas_fill_17rocblas_diagonal_iiT1_lPT2_llS6_llPT3_lli
	.p2align	8
	.type	_ZL23rocblas_trmm_rNx_kernelILi32EfPKfS0_fEv13rocblas_fill_17rocblas_diagonal_iiT1_lPT2_llS6_llPT3_lli,@function
_ZL23rocblas_trmm_rNx_kernelILi32EfPKfS0_fEv13rocblas_fill_17rocblas_diagonal_iiT1_lPT2_llS6_llPT3_lli: ; @_ZL23rocblas_trmm_rNx_kernelILi32EfPKfS0_fEv13rocblas_fill_17rocblas_diagonal_iiT1_lPT2_llS6_llPT3_lli
; %bb.0:
	s_load_dwordx16 s[8:23], s[4:5], 0x10
	s_waitcnt lgkmcnt(0)
	s_mul_i32 s0, s11, s7
	s_mul_hi_u32 s1, s10, s7
	s_add_i32 s1, s1, s0
	s_mul_i32 s0, s10, s7
	s_lshl_b64 s[0:1], s[0:1], 2
	s_add_u32 s0, s8, s0
	s_addc_u32 s1, s9, s1
	s_load_dword s1, s[0:1], 0x0
	s_waitcnt lgkmcnt(0)
	v_cmp_eq_f32_e64 s0, s1, 0
	s_and_b32 vcc_lo, exec_lo, s0
	s_cbranch_vccnz .LBB30_15
; %bb.1:
	s_load_dwordx4 s[8:11], s[4:5], 0x0
	v_lshlrev_b32_e32 v3, 5, v1
	v_mov_b32_e32 v5, 0
	v_lshlrev_b32_e32 v2, 2, v0
	v_add_lshl_u32 v4, v3, v0, 2
	ds_write2st64_b32 v4, v5, v5 offset1:16
	s_waitcnt lgkmcnt(0)
	v_cmp_gt_i32_e32 vcc_lo, s11, v1
	v_cmp_gt_i32_e64 s0, s11, v0
	s_and_b32 s0, vcc_lo, s0
	s_and_saveexec_b32 s2, s0
	s_cbranch_execz .LBB30_3
; %bb.2:
	v_mad_u64_u32 v[5:6], null, s14, v1, 0
	s_mul_i32 s0, s17, s7
	s_mul_hi_u32 s3, s16, s7
	s_mul_i32 s14, s16, s7
	v_mad_u64_u32 v[6:7], null, s15, v1, v[6:7]
	s_add_i32 s15, s3, s0
	s_lshl_b64 s[14:15], s[14:15], 2
	s_add_u32 s0, s12, s14
	s_addc_u32 s3, s13, s15
	v_lshlrev_b64 v[5:6], 2, v[5:6]
	v_add_co_u32 v5, s0, s0, v5
	v_add_co_ci_u32_e64 v6, null, s3, v6, s0
	v_add_co_u32 v5, s0, v5, v2
	v_add_co_ci_u32_e64 v6, null, 0, v6, s0
	global_load_dword v5, v[5:6], off
	s_waitcnt vmcnt(0)
	ds_write_b32 v4, v5
.LBB30_3:
	s_or_b32 exec_lo, exec_lo, s2
	s_add_i32 s0, s10, -1
	s_ashr_i32 s2, s0, 31
	s_lshr_b32 s2, s2, 27
	s_add_i32 s0, s0, s2
	s_and_b32 s2, s0, 0xffffffe0
	s_ashr_i32 s0, s0, 5
	s_sub_i32 s2, s10, s2
	s_cmp_ge_i32 s6, s0
	s_cselect_b32 s0, s2, 32
	s_lshl_b32 s2, s6, 5
	v_cmp_gt_i32_e64 s0, s0, v0
	s_ashr_i32 s3, s2, 31
	s_and_b32 s0, vcc_lo, s0
	s_and_saveexec_b32 s6, s0
	s_cbranch_execz .LBB30_5
; %bb.4:
	v_mad_u64_u32 v[5:6], null, s20, v1, 0
	s_mul_i32 s11, s23, s7
	s_mul_hi_u32 s12, s22, s7
	s_mul_i32 s10, s22, s7
	s_add_i32 s11, s12, s11
	s_lshl_b64 s[10:11], s[10:11], 2
	v_mad_u64_u32 v[6:7], null, s21, v1, v[6:7]
	s_add_u32 s12, s18, s10
	s_addc_u32 s13, s19, s11
	s_lshl_b64 s[10:11], s[2:3], 2
	s_add_u32 s10, s12, s10
	s_addc_u32 s11, s13, s11
	v_lshlrev_b64 v[5:6], 2, v[5:6]
	v_add_co_u32 v5, vcc_lo, s10, v5
	v_add_co_ci_u32_e64 v6, null, s11, v6, vcc_lo
	v_add_co_u32 v5, vcc_lo, v5, v2
	v_add_co_ci_u32_e64 v6, null, 0, v6, vcc_lo
	global_load_dword v5, v[5:6], off
	v_add_nc_u32_e32 v6, 0x1000, v4
	s_waitcnt vmcnt(0)
	ds_write_b32 v6, v5
.LBB30_5:
	s_or_b32 exec_lo, exec_lo, s6
	v_cmp_eq_u32_e32 vcc_lo, v1, v0
	s_cmpk_eq_i32 s9, 0x84
	s_cselect_b32 s6, -1, 0
	s_and_b32 s9, vcc_lo, s6
	s_and_saveexec_b32 s6, s9
; %bb.6:
	v_mov_b32_e32 v5, 1.0
	ds_write_b32 v4, v5
; %bb.7:
	s_or_b32 exec_lo, exec_lo, s6
	s_cmpk_lg_i32 s8, 0x79
	s_cbranch_scc0 .LBB30_9
; %bb.8:
	v_cmp_lt_u32_e32 vcc_lo, v0, v1
	s_and_b32 s6, vcc_lo, exec_lo
	s_cbranch_execz .LBB30_10
	s_branch .LBB30_11
.LBB30_9:
	s_mov_b32 s6, 0
.LBB30_10:
	v_cmp_gt_u32_e32 vcc_lo, v0, v1
	s_andn2_b32 s6, s6, exec_lo
	s_and_b32 s8, vcc_lo, exec_lo
	s_or_b32 s6, s6, s8
.LBB30_11:
	s_and_saveexec_b32 s8, s6
; %bb.12:
	v_mov_b32_e32 v0, 0
	ds_write_b32 v4, v0
; %bb.13:
	s_or_b32 exec_lo, exec_lo, s8
	s_waitcnt lgkmcnt(0)
	s_barrier
	buffer_gl0_inv
	s_and_saveexec_b32 s6, s0
	s_cbranch_execz .LBB30_15
; %bb.14:
	v_add_nc_u32_e32 v0, 0x1000, v2
	v_lshlrev_b32_e32 v17, 2, v3
	s_clause 0x1
	s_load_dwordx4 s[8:11], s[4:5], 0x50
	s_load_dwordx2 s[4:5], s[4:5], 0x60
	ds_read2_b32 v[11:12], v0 offset1:32
	ds_read_b128 v[3:6], v17
	ds_read2_b32 v[13:14], v0 offset0:64 offset1:96
	ds_read_b128 v[7:10], v17 offset:16
	ds_read2_b32 v[15:16], v0 offset0:128 offset1:160
	s_waitcnt lgkmcnt(0)
	v_fma_f32 v19, v11, v3, 0
	s_mul_i32 s0, s5, s7
	s_mul_hi_u32 s5, s4, s7
	s_mul_i32 s4, s4, s7
	s_add_i32 s5, s5, s0
	v_fmac_f32_e32 v19, v12, v4
	ds_read2_b32 v[11:12], v0 offset0:192 offset1:224
	v_add_nc_u32_e32 v0, 0x1400, v2
	s_lshl_b64 s[4:5], s[4:5], 2
	s_add_u32 s0, s8, s4
	v_fmac_f32_e32 v19, v13, v5
	s_addc_u32 s4, s9, s5
	s_lshl_b64 s[2:3], s[2:3], 2
	s_add_u32 s0, s0, s2
	v_fmac_f32_e32 v19, v14, v6
	ds_read_b128 v[3:6], v17 offset:32
	ds_read2_b32 v[13:14], v0 offset1:32
	s_addc_u32 s2, s4, s3
	v_fmac_f32_e32 v19, v15, v7
	v_fmac_f32_e32 v19, v16, v8
	ds_read2_b32 v[15:16], v0 offset0:64 offset1:96
	s_waitcnt lgkmcnt(3)
	v_fmac_f32_e32 v19, v11, v9
	v_fmac_f32_e32 v19, v12, v10
	ds_read_b128 v[7:10], v17 offset:48
	ds_read2_b32 v[11:12], v0 offset0:128 offset1:160
	s_waitcnt lgkmcnt(3)
	v_fmac_f32_e32 v19, v13, v3
	v_fmac_f32_e32 v19, v14, v4
	ds_read2_b32 v[13:14], v0 offset0:192 offset1:224
	v_add_nc_u32_e32 v0, 0x1800, v2
	s_waitcnt lgkmcnt(3)
	v_fmac_f32_e32 v19, v15, v5
	v_fmac_f32_e32 v19, v16, v6
	ds_read2_b32 v[15:16], v0 offset1:32
	ds_read_b128 v[3:6], v17 offset:64
	s_waitcnt lgkmcnt(3)
	v_fmac_f32_e32 v19, v11, v7
	v_fmac_f32_e32 v19, v12, v8
	ds_read2_b32 v[11:12], v0 offset0:64 offset1:96
	s_waitcnt lgkmcnt(3)
	v_fmac_f32_e32 v19, v13, v9
	v_fmac_f32_e32 v19, v14, v10
	ds_read2_b32 v[13:14], v0 offset0:128 offset1:160
	ds_read_b128 v[7:10], v17 offset:80
	s_waitcnt lgkmcnt(3)
	v_fmac_f32_e32 v19, v15, v3
	v_fmac_f32_e32 v19, v16, v4
	ds_read2_b32 v[15:16], v0 offset0:192 offset1:224
	v_add_nc_u32_e32 v0, 0x1c00, v2
	s_waitcnt lgkmcnt(3)
	v_fmac_f32_e32 v19, v11, v5
	v_fmac_f32_e32 v19, v12, v6
	ds_read2_b32 v[11:12], v0 offset1:32
	ds_read_b128 v[3:6], v17 offset:96
	s_waitcnt lgkmcnt(3)
	v_fmac_f32_e32 v19, v13, v7
	v_fmac_f32_e32 v19, v14, v8
	ds_read2_b32 v[13:14], v0 offset0:64 offset1:96
	s_waitcnt lgkmcnt(3)
	v_fmac_f32_e32 v19, v15, v9
	v_fmac_f32_e32 v19, v16, v10
	ds_read2_b32 v[15:16], v0 offset0:128 offset1:160
	ds_read_b128 v[7:10], v17 offset:112
	v_mad_u64_u32 v[17:18], null, s10, v1, 0
	s_waitcnt lgkmcnt(3)
	v_fmac_f32_e32 v19, v11, v3
	v_fmac_f32_e32 v19, v12, v4
	ds_read2_b32 v[3:4], v0 offset0:192 offset1:224
	v_mov_b32_e32 v0, v18
	s_waitcnt lgkmcnt(3)
	v_fmac_f32_e32 v19, v13, v5
	v_mad_u64_u32 v[0:1], null, s11, v1, v[0:1]
	v_fmac_f32_e32 v19, v14, v6
	v_mov_b32_e32 v18, v0
	s_waitcnt lgkmcnt(1)
	v_fmac_f32_e32 v19, v15, v7
	v_lshlrev_b64 v[0:1], 2, v[17:18]
	v_fmac_f32_e32 v19, v16, v8
	v_add_co_u32 v0, vcc_lo, s0, v0
	s_waitcnt lgkmcnt(0)
	v_fmac_f32_e32 v19, v3, v9
	v_add_co_ci_u32_e64 v1, null, s2, v1, vcc_lo
	v_add_co_u32 v0, vcc_lo, v0, v2
	v_fmac_f32_e32 v19, v4, v10
	v_add_co_ci_u32_e64 v1, null, 0, v1, vcc_lo
	v_mul_f32_e32 v3, s1, v19
	global_store_dword v[0:1], v3, off
.LBB30_15:
	s_endpgm
	.section	.rodata,"a",@progbits
	.p2align	6, 0x0
	.amdhsa_kernel _ZL23rocblas_trmm_rNx_kernelILi32EfPKfS0_fEv13rocblas_fill_17rocblas_diagonal_iiT1_lPT2_llS6_llPT3_lli
		.amdhsa_group_segment_fixed_size 8192
		.amdhsa_private_segment_fixed_size 0
		.amdhsa_kernarg_size 108
		.amdhsa_user_sgpr_count 6
		.amdhsa_user_sgpr_private_segment_buffer 1
		.amdhsa_user_sgpr_dispatch_ptr 0
		.amdhsa_user_sgpr_queue_ptr 0
		.amdhsa_user_sgpr_kernarg_segment_ptr 1
		.amdhsa_user_sgpr_dispatch_id 0
		.amdhsa_user_sgpr_flat_scratch_init 0
		.amdhsa_user_sgpr_private_segment_size 0
		.amdhsa_wavefront_size32 1
		.amdhsa_uses_dynamic_stack 0
		.amdhsa_system_sgpr_private_segment_wavefront_offset 0
		.amdhsa_system_sgpr_workgroup_id_x 1
		.amdhsa_system_sgpr_workgroup_id_y 0
		.amdhsa_system_sgpr_workgroup_id_z 1
		.amdhsa_system_sgpr_workgroup_info 0
		.amdhsa_system_vgpr_workitem_id 1
		.amdhsa_next_free_vgpr 20
		.amdhsa_next_free_sgpr 24
		.amdhsa_reserve_vcc 1
		.amdhsa_reserve_flat_scratch 0
		.amdhsa_float_round_mode_32 0
		.amdhsa_float_round_mode_16_64 0
		.amdhsa_float_denorm_mode_32 3
		.amdhsa_float_denorm_mode_16_64 3
		.amdhsa_dx10_clamp 1
		.amdhsa_ieee_mode 1
		.amdhsa_fp16_overflow 0
		.amdhsa_workgroup_processor_mode 1
		.amdhsa_memory_ordered 1
		.amdhsa_forward_progress 1
		.amdhsa_shared_vgpr_count 0
		.amdhsa_exception_fp_ieee_invalid_op 0
		.amdhsa_exception_fp_denorm_src 0
		.amdhsa_exception_fp_ieee_div_zero 0
		.amdhsa_exception_fp_ieee_overflow 0
		.amdhsa_exception_fp_ieee_underflow 0
		.amdhsa_exception_fp_ieee_inexact 0
		.amdhsa_exception_int_div_zero 0
	.end_amdhsa_kernel
	.section	.text._ZL23rocblas_trmm_rNx_kernelILi32EfPKfS0_fEv13rocblas_fill_17rocblas_diagonal_iiT1_lPT2_llS6_llPT3_lli,"axG",@progbits,_ZL23rocblas_trmm_rNx_kernelILi32EfPKfS0_fEv13rocblas_fill_17rocblas_diagonal_iiT1_lPT2_llS6_llPT3_lli,comdat
.Lfunc_end30:
	.size	_ZL23rocblas_trmm_rNx_kernelILi32EfPKfS0_fEv13rocblas_fill_17rocblas_diagonal_iiT1_lPT2_llS6_llPT3_lli, .Lfunc_end30-_ZL23rocblas_trmm_rNx_kernelILi32EfPKfS0_fEv13rocblas_fill_17rocblas_diagonal_iiT1_lPT2_llS6_llPT3_lli
                                        ; -- End function
	.set _ZL23rocblas_trmm_rNx_kernelILi32EfPKfS0_fEv13rocblas_fill_17rocblas_diagonal_iiT1_lPT2_llS6_llPT3_lli.num_vgpr, 20
	.set _ZL23rocblas_trmm_rNx_kernelILi32EfPKfS0_fEv13rocblas_fill_17rocblas_diagonal_iiT1_lPT2_llS6_llPT3_lli.num_agpr, 0
	.set _ZL23rocblas_trmm_rNx_kernelILi32EfPKfS0_fEv13rocblas_fill_17rocblas_diagonal_iiT1_lPT2_llS6_llPT3_lli.numbered_sgpr, 24
	.set _ZL23rocblas_trmm_rNx_kernelILi32EfPKfS0_fEv13rocblas_fill_17rocblas_diagonal_iiT1_lPT2_llS6_llPT3_lli.num_named_barrier, 0
	.set _ZL23rocblas_trmm_rNx_kernelILi32EfPKfS0_fEv13rocblas_fill_17rocblas_diagonal_iiT1_lPT2_llS6_llPT3_lli.private_seg_size, 0
	.set _ZL23rocblas_trmm_rNx_kernelILi32EfPKfS0_fEv13rocblas_fill_17rocblas_diagonal_iiT1_lPT2_llS6_llPT3_lli.uses_vcc, 1
	.set _ZL23rocblas_trmm_rNx_kernelILi32EfPKfS0_fEv13rocblas_fill_17rocblas_diagonal_iiT1_lPT2_llS6_llPT3_lli.uses_flat_scratch, 0
	.set _ZL23rocblas_trmm_rNx_kernelILi32EfPKfS0_fEv13rocblas_fill_17rocblas_diagonal_iiT1_lPT2_llS6_llPT3_lli.has_dyn_sized_stack, 0
	.set _ZL23rocblas_trmm_rNx_kernelILi32EfPKfS0_fEv13rocblas_fill_17rocblas_diagonal_iiT1_lPT2_llS6_llPT3_lli.has_recursion, 0
	.set _ZL23rocblas_trmm_rNx_kernelILi32EfPKfS0_fEv13rocblas_fill_17rocblas_diagonal_iiT1_lPT2_llS6_llPT3_lli.has_indirect_call, 0
	.section	.AMDGPU.csdata,"",@progbits
; Kernel info:
; codeLenInByte = 1116
; TotalNumSgprs: 26
; NumVgprs: 20
; ScratchSize: 0
; MemoryBound: 0
; FloatMode: 240
; IeeeMode: 1
; LDSByteSize: 8192 bytes/workgroup (compile time only)
; SGPRBlocks: 0
; VGPRBlocks: 2
; NumSGPRsForWavesPerEU: 26
; NumVGPRsForWavesPerEU: 20
; Occupancy: 16
; WaveLimiterHint : 0
; COMPUTE_PGM_RSRC2:SCRATCH_EN: 0
; COMPUTE_PGM_RSRC2:USER_SGPR: 6
; COMPUTE_PGM_RSRC2:TRAP_HANDLER: 0
; COMPUTE_PGM_RSRC2:TGID_X_EN: 1
; COMPUTE_PGM_RSRC2:TGID_Y_EN: 0
; COMPUTE_PGM_RSRC2:TGID_Z_EN: 1
; COMPUTE_PGM_RSRC2:TIDIG_COMP_CNT: 1
	.section	.text._ZL23rocblas_trmm_rNx_kernelILi32EffKffEv13rocblas_fill_17rocblas_diagonal_iiT1_lPT2_llS5_llPT3_lli,"axG",@progbits,_ZL23rocblas_trmm_rNx_kernelILi32EffKffEv13rocblas_fill_17rocblas_diagonal_iiT1_lPT2_llS5_llPT3_lli,comdat
	.globl	_ZL23rocblas_trmm_rNx_kernelILi32EffKffEv13rocblas_fill_17rocblas_diagonal_iiT1_lPT2_llS5_llPT3_lli ; -- Begin function _ZL23rocblas_trmm_rNx_kernelILi32EffKffEv13rocblas_fill_17rocblas_diagonal_iiT1_lPT2_llS5_llPT3_lli
	.p2align	8
	.type	_ZL23rocblas_trmm_rNx_kernelILi32EffKffEv13rocblas_fill_17rocblas_diagonal_iiT1_lPT2_llS5_llPT3_lli,@function
_ZL23rocblas_trmm_rNx_kernelILi32EffKffEv13rocblas_fill_17rocblas_diagonal_iiT1_lPT2_llS5_llPT3_lli: ; @_ZL23rocblas_trmm_rNx_kernelILi32EffKffEv13rocblas_fill_17rocblas_diagonal_iiT1_lPT2_llS5_llPT3_lli
; %bb.0:
	s_load_dword s1, s[4:5], 0x10
	s_waitcnt lgkmcnt(0)
	v_cmp_eq_f32_e64 s0, s1, 0
	s_and_b32 vcc_lo, exec_lo, s0
	s_cbranch_vccnz .LBB31_15
; %bb.1:
	s_clause 0x1
	s_load_dwordx4 s[24:27], s[4:5], 0x0
	s_load_dwordx16 s[8:23], s[4:5], 0x20
	v_lshlrev_b32_e32 v3, 5, v1
	v_mov_b32_e32 v5, 0
	v_lshlrev_b32_e32 v2, 2, v0
	v_add_lshl_u32 v4, v3, v0, 2
	ds_write2st64_b32 v4, v5, v5 offset1:16
	s_waitcnt lgkmcnt(0)
	v_cmp_gt_i32_e32 vcc_lo, s27, v1
	v_cmp_gt_i32_e64 s0, s27, v0
	s_and_b32 s0, vcc_lo, s0
	s_and_saveexec_b32 s2, s0
	s_cbranch_execz .LBB31_3
; %bb.2:
	v_mad_u64_u32 v[5:6], null, s10, v1, 0
	s_mul_i32 s0, s13, s7
	s_mul_hi_u32 s3, s12, s7
	s_mul_i32 s10, s12, s7
	v_mad_u64_u32 v[6:7], null, s11, v1, v[6:7]
	s_add_i32 s11, s3, s0
	s_lshl_b64 s[10:11], s[10:11], 2
	s_add_u32 s0, s8, s10
	s_addc_u32 s3, s9, s11
	v_lshlrev_b64 v[5:6], 2, v[5:6]
	v_add_co_u32 v5, s0, s0, v5
	v_add_co_ci_u32_e64 v6, null, s3, v6, s0
	v_add_co_u32 v5, s0, v5, v2
	v_add_co_ci_u32_e64 v6, null, 0, v6, s0
	global_load_dword v5, v[5:6], off
	s_waitcnt vmcnt(0)
	ds_write_b32 v4, v5
.LBB31_3:
	s_or_b32 exec_lo, exec_lo, s2
	s_add_i32 s0, s26, -1
	s_ashr_i32 s2, s0, 31
	s_lshr_b32 s2, s2, 27
	s_add_i32 s0, s0, s2
	s_and_b32 s2, s0, 0xffffffe0
	s_ashr_i32 s0, s0, 5
	s_sub_i32 s2, s26, s2
	s_cmp_ge_i32 s6, s0
	s_cselect_b32 s0, s2, 32
	s_lshl_b32 s2, s6, 5
	v_cmp_gt_i32_e64 s0, s0, v0
	s_ashr_i32 s3, s2, 31
	s_and_b32 s0, vcc_lo, s0
	s_and_saveexec_b32 s6, s0
	s_cbranch_execz .LBB31_5
; %bb.4:
	v_mad_u64_u32 v[5:6], null, s16, v1, 0
	s_mul_i32 s9, s19, s7
	s_mul_hi_u32 s10, s18, s7
	s_mul_i32 s8, s18, s7
	s_add_i32 s9, s10, s9
	s_lshl_b64 s[8:9], s[8:9], 2
	v_mad_u64_u32 v[6:7], null, s17, v1, v[6:7]
	s_add_u32 s10, s14, s8
	s_addc_u32 s11, s15, s9
	s_lshl_b64 s[8:9], s[2:3], 2
	s_add_u32 s8, s10, s8
	s_addc_u32 s9, s11, s9
	v_lshlrev_b64 v[5:6], 2, v[5:6]
	v_add_co_u32 v5, vcc_lo, s8, v5
	v_add_co_ci_u32_e64 v6, null, s9, v6, vcc_lo
	v_add_co_u32 v5, vcc_lo, v5, v2
	v_add_co_ci_u32_e64 v6, null, 0, v6, vcc_lo
	global_load_dword v5, v[5:6], off
	v_add_nc_u32_e32 v6, 0x1000, v4
	s_waitcnt vmcnt(0)
	ds_write_b32 v6, v5
.LBB31_5:
	s_or_b32 exec_lo, exec_lo, s6
	v_cmp_eq_u32_e32 vcc_lo, v1, v0
	s_cmpk_eq_i32 s25, 0x84
	s_cselect_b32 s6, -1, 0
	s_and_b32 s8, vcc_lo, s6
	s_and_saveexec_b32 s6, s8
; %bb.6:
	v_mov_b32_e32 v5, 1.0
	ds_write_b32 v4, v5
; %bb.7:
	s_or_b32 exec_lo, exec_lo, s6
	s_cmpk_lg_i32 s24, 0x79
	s_cbranch_scc0 .LBB31_9
; %bb.8:
	v_cmp_lt_u32_e32 vcc_lo, v0, v1
	s_and_b32 s6, vcc_lo, exec_lo
	s_cbranch_execz .LBB31_10
	s_branch .LBB31_11
.LBB31_9:
	s_mov_b32 s6, 0
.LBB31_10:
	v_cmp_gt_u32_e32 vcc_lo, v0, v1
	s_andn2_b32 s6, s6, exec_lo
	s_and_b32 s8, vcc_lo, exec_lo
	s_or_b32 s6, s6, s8
.LBB31_11:
	s_and_saveexec_b32 s8, s6
; %bb.12:
	v_mov_b32_e32 v0, 0
	ds_write_b32 v4, v0
; %bb.13:
	s_or_b32 exec_lo, exec_lo, s8
	s_waitcnt lgkmcnt(0)
	s_barrier
	buffer_gl0_inv
	s_and_saveexec_b32 s6, s0
	s_cbranch_execz .LBB31_15
; %bb.14:
	v_add_nc_u32_e32 v0, 0x1000, v2
	v_lshlrev_b32_e32 v17, 2, v3
	s_load_dwordx2 s[4:5], s[4:5], 0x60
	ds_read2_b32 v[11:12], v0 offset1:32
	ds_read_b128 v[3:6], v17
	ds_read2_b32 v[13:14], v0 offset0:64 offset1:96
	ds_read_b128 v[7:10], v17 offset:16
	ds_read2_b32 v[15:16], v0 offset0:128 offset1:160
	s_waitcnt lgkmcnt(0)
	s_mul_i32 s0, s5, s7
	v_fma_f32 v19, v11, v3, 0
	s_mul_hi_u32 s5, s4, s7
	s_mul_i32 s4, s4, s7
	s_add_i32 s5, s5, s0
	v_fmac_f32_e32 v19, v12, v4
	ds_read2_b32 v[11:12], v0 offset0:192 offset1:224
	v_add_nc_u32_e32 v0, 0x1400, v2
	s_lshl_b64 s[4:5], s[4:5], 2
	v_fmac_f32_e32 v19, v13, v5
	s_add_u32 s0, s20, s4
	s_addc_u32 s4, s21, s5
	s_lshl_b64 s[2:3], s[2:3], 2
	v_fmac_f32_e32 v19, v14, v6
	ds_read_b128 v[3:6], v17 offset:32
	ds_read2_b32 v[13:14], v0 offset1:32
	s_add_u32 s0, s0, s2
	s_addc_u32 s2, s4, s3
	v_fmac_f32_e32 v19, v15, v7
	v_fmac_f32_e32 v19, v16, v8
	ds_read2_b32 v[15:16], v0 offset0:64 offset1:96
	s_waitcnt lgkmcnt(3)
	v_fmac_f32_e32 v19, v11, v9
	v_fmac_f32_e32 v19, v12, v10
	ds_read_b128 v[7:10], v17 offset:48
	ds_read2_b32 v[11:12], v0 offset0:128 offset1:160
	s_waitcnt lgkmcnt(3)
	v_fmac_f32_e32 v19, v13, v3
	v_fmac_f32_e32 v19, v14, v4
	ds_read2_b32 v[13:14], v0 offset0:192 offset1:224
	v_add_nc_u32_e32 v0, 0x1800, v2
	s_waitcnt lgkmcnt(3)
	v_fmac_f32_e32 v19, v15, v5
	v_fmac_f32_e32 v19, v16, v6
	ds_read2_b32 v[15:16], v0 offset1:32
	ds_read_b128 v[3:6], v17 offset:64
	s_waitcnt lgkmcnt(3)
	v_fmac_f32_e32 v19, v11, v7
	v_fmac_f32_e32 v19, v12, v8
	ds_read2_b32 v[11:12], v0 offset0:64 offset1:96
	s_waitcnt lgkmcnt(3)
	v_fmac_f32_e32 v19, v13, v9
	v_fmac_f32_e32 v19, v14, v10
	ds_read2_b32 v[13:14], v0 offset0:128 offset1:160
	ds_read_b128 v[7:10], v17 offset:80
	s_waitcnt lgkmcnt(3)
	v_fmac_f32_e32 v19, v15, v3
	v_fmac_f32_e32 v19, v16, v4
	ds_read2_b32 v[15:16], v0 offset0:192 offset1:224
	v_add_nc_u32_e32 v0, 0x1c00, v2
	s_waitcnt lgkmcnt(3)
	v_fmac_f32_e32 v19, v11, v5
	v_fmac_f32_e32 v19, v12, v6
	ds_read2_b32 v[11:12], v0 offset1:32
	ds_read_b128 v[3:6], v17 offset:96
	s_waitcnt lgkmcnt(3)
	v_fmac_f32_e32 v19, v13, v7
	v_fmac_f32_e32 v19, v14, v8
	ds_read2_b32 v[13:14], v0 offset0:64 offset1:96
	s_waitcnt lgkmcnt(3)
	v_fmac_f32_e32 v19, v15, v9
	v_fmac_f32_e32 v19, v16, v10
	ds_read2_b32 v[15:16], v0 offset0:128 offset1:160
	ds_read_b128 v[7:10], v17 offset:112
	v_mad_u64_u32 v[17:18], null, s22, v1, 0
	s_waitcnt lgkmcnt(3)
	v_fmac_f32_e32 v19, v11, v3
	v_fmac_f32_e32 v19, v12, v4
	ds_read2_b32 v[3:4], v0 offset0:192 offset1:224
	v_mov_b32_e32 v0, v18
	s_waitcnt lgkmcnt(3)
	v_fmac_f32_e32 v19, v13, v5
	v_mad_u64_u32 v[0:1], null, s23, v1, v[0:1]
	v_fmac_f32_e32 v19, v14, v6
	v_mov_b32_e32 v18, v0
	s_waitcnt lgkmcnt(1)
	v_fmac_f32_e32 v19, v15, v7
	v_lshlrev_b64 v[0:1], 2, v[17:18]
	v_fmac_f32_e32 v19, v16, v8
	v_add_co_u32 v0, vcc_lo, s0, v0
	s_waitcnt lgkmcnt(0)
	v_fmac_f32_e32 v19, v3, v9
	v_add_co_ci_u32_e64 v1, null, s2, v1, vcc_lo
	v_add_co_u32 v0, vcc_lo, v0, v2
	v_fmac_f32_e32 v19, v4, v10
	v_add_co_ci_u32_e64 v1, null, 0, v1, vcc_lo
	v_mul_f32_e32 v3, s1, v19
	global_store_dword v[0:1], v3, off
.LBB31_15:
	s_endpgm
	.section	.rodata,"a",@progbits
	.p2align	6, 0x0
	.amdhsa_kernel _ZL23rocblas_trmm_rNx_kernelILi32EffKffEv13rocblas_fill_17rocblas_diagonal_iiT1_lPT2_llS5_llPT3_lli
		.amdhsa_group_segment_fixed_size 8192
		.amdhsa_private_segment_fixed_size 0
		.amdhsa_kernarg_size 108
		.amdhsa_user_sgpr_count 6
		.amdhsa_user_sgpr_private_segment_buffer 1
		.amdhsa_user_sgpr_dispatch_ptr 0
		.amdhsa_user_sgpr_queue_ptr 0
		.amdhsa_user_sgpr_kernarg_segment_ptr 1
		.amdhsa_user_sgpr_dispatch_id 0
		.amdhsa_user_sgpr_flat_scratch_init 0
		.amdhsa_user_sgpr_private_segment_size 0
		.amdhsa_wavefront_size32 1
		.amdhsa_uses_dynamic_stack 0
		.amdhsa_system_sgpr_private_segment_wavefront_offset 0
		.amdhsa_system_sgpr_workgroup_id_x 1
		.amdhsa_system_sgpr_workgroup_id_y 0
		.amdhsa_system_sgpr_workgroup_id_z 1
		.amdhsa_system_sgpr_workgroup_info 0
		.amdhsa_system_vgpr_workitem_id 1
		.amdhsa_next_free_vgpr 20
		.amdhsa_next_free_sgpr 28
		.amdhsa_reserve_vcc 1
		.amdhsa_reserve_flat_scratch 0
		.amdhsa_float_round_mode_32 0
		.amdhsa_float_round_mode_16_64 0
		.amdhsa_float_denorm_mode_32 3
		.amdhsa_float_denorm_mode_16_64 3
		.amdhsa_dx10_clamp 1
		.amdhsa_ieee_mode 1
		.amdhsa_fp16_overflow 0
		.amdhsa_workgroup_processor_mode 1
		.amdhsa_memory_ordered 1
		.amdhsa_forward_progress 1
		.amdhsa_shared_vgpr_count 0
		.amdhsa_exception_fp_ieee_invalid_op 0
		.amdhsa_exception_fp_denorm_src 0
		.amdhsa_exception_fp_ieee_div_zero 0
		.amdhsa_exception_fp_ieee_overflow 0
		.amdhsa_exception_fp_ieee_underflow 0
		.amdhsa_exception_fp_ieee_inexact 0
		.amdhsa_exception_int_div_zero 0
	.end_amdhsa_kernel
	.section	.text._ZL23rocblas_trmm_rNx_kernelILi32EffKffEv13rocblas_fill_17rocblas_diagonal_iiT1_lPT2_llS5_llPT3_lli,"axG",@progbits,_ZL23rocblas_trmm_rNx_kernelILi32EffKffEv13rocblas_fill_17rocblas_diagonal_iiT1_lPT2_llS5_llPT3_lli,comdat
.Lfunc_end31:
	.size	_ZL23rocblas_trmm_rNx_kernelILi32EffKffEv13rocblas_fill_17rocblas_diagonal_iiT1_lPT2_llS5_llPT3_lli, .Lfunc_end31-_ZL23rocblas_trmm_rNx_kernelILi32EffKffEv13rocblas_fill_17rocblas_diagonal_iiT1_lPT2_llS5_llPT3_lli
                                        ; -- End function
	.set _ZL23rocblas_trmm_rNx_kernelILi32EffKffEv13rocblas_fill_17rocblas_diagonal_iiT1_lPT2_llS5_llPT3_lli.num_vgpr, 20
	.set _ZL23rocblas_trmm_rNx_kernelILi32EffKffEv13rocblas_fill_17rocblas_diagonal_iiT1_lPT2_llS5_llPT3_lli.num_agpr, 0
	.set _ZL23rocblas_trmm_rNx_kernelILi32EffKffEv13rocblas_fill_17rocblas_diagonal_iiT1_lPT2_llS5_llPT3_lli.numbered_sgpr, 28
	.set _ZL23rocblas_trmm_rNx_kernelILi32EffKffEv13rocblas_fill_17rocblas_diagonal_iiT1_lPT2_llS5_llPT3_lli.num_named_barrier, 0
	.set _ZL23rocblas_trmm_rNx_kernelILi32EffKffEv13rocblas_fill_17rocblas_diagonal_iiT1_lPT2_llS5_llPT3_lli.private_seg_size, 0
	.set _ZL23rocblas_trmm_rNx_kernelILi32EffKffEv13rocblas_fill_17rocblas_diagonal_iiT1_lPT2_llS5_llPT3_lli.uses_vcc, 1
	.set _ZL23rocblas_trmm_rNx_kernelILi32EffKffEv13rocblas_fill_17rocblas_diagonal_iiT1_lPT2_llS5_llPT3_lli.uses_flat_scratch, 0
	.set _ZL23rocblas_trmm_rNx_kernelILi32EffKffEv13rocblas_fill_17rocblas_diagonal_iiT1_lPT2_llS5_llPT3_lli.has_dyn_sized_stack, 0
	.set _ZL23rocblas_trmm_rNx_kernelILi32EffKffEv13rocblas_fill_17rocblas_diagonal_iiT1_lPT2_llS5_llPT3_lli.has_recursion, 0
	.set _ZL23rocblas_trmm_rNx_kernelILi32EffKffEv13rocblas_fill_17rocblas_diagonal_iiT1_lPT2_llS5_llPT3_lli.has_indirect_call, 0
	.section	.AMDGPU.csdata,"",@progbits
; Kernel info:
; codeLenInByte = 1076
; TotalNumSgprs: 30
; NumVgprs: 20
; ScratchSize: 0
; MemoryBound: 0
; FloatMode: 240
; IeeeMode: 1
; LDSByteSize: 8192 bytes/workgroup (compile time only)
; SGPRBlocks: 0
; VGPRBlocks: 2
; NumSGPRsForWavesPerEU: 30
; NumVGPRsForWavesPerEU: 20
; Occupancy: 16
; WaveLimiterHint : 0
; COMPUTE_PGM_RSRC2:SCRATCH_EN: 0
; COMPUTE_PGM_RSRC2:USER_SGPR: 6
; COMPUTE_PGM_RSRC2:TRAP_HANDLER: 0
; COMPUTE_PGM_RSRC2:TGID_X_EN: 1
; COMPUTE_PGM_RSRC2:TGID_Y_EN: 0
; COMPUTE_PGM_RSRC2:TGID_Z_EN: 1
; COMPUTE_PGM_RSRC2:TIDIG_COMP_CNT: 1
	.section	.text._ZL23rocblas_trmm_rTx_kernelILi32ELb0EfPKfS0_fEv13rocblas_fill_17rocblas_diagonal_iiT2_lPT3_llS6_llPT4_lli,"axG",@progbits,_ZL23rocblas_trmm_rTx_kernelILi32ELb0EfPKfS0_fEv13rocblas_fill_17rocblas_diagonal_iiT2_lPT3_llS6_llPT4_lli,comdat
	.globl	_ZL23rocblas_trmm_rTx_kernelILi32ELb0EfPKfS0_fEv13rocblas_fill_17rocblas_diagonal_iiT2_lPT3_llS6_llPT4_lli ; -- Begin function _ZL23rocblas_trmm_rTx_kernelILi32ELb0EfPKfS0_fEv13rocblas_fill_17rocblas_diagonal_iiT2_lPT3_llS6_llPT4_lli
	.p2align	8
	.type	_ZL23rocblas_trmm_rTx_kernelILi32ELb0EfPKfS0_fEv13rocblas_fill_17rocblas_diagonal_iiT2_lPT3_llS6_llPT4_lli,@function
_ZL23rocblas_trmm_rTx_kernelILi32ELb0EfPKfS0_fEv13rocblas_fill_17rocblas_diagonal_iiT2_lPT3_llS6_llPT4_lli: ; @_ZL23rocblas_trmm_rTx_kernelILi32ELb0EfPKfS0_fEv13rocblas_fill_17rocblas_diagonal_iiT2_lPT3_llS6_llPT4_lli
; %bb.0:
	s_load_dwordx16 s[8:23], s[4:5], 0x10
	s_waitcnt lgkmcnt(0)
	s_mul_i32 s0, s11, s7
	s_mul_hi_u32 s1, s10, s7
	s_add_i32 s1, s1, s0
	s_mul_i32 s0, s10, s7
	s_lshl_b64 s[0:1], s[0:1], 2
	s_add_u32 s0, s8, s0
	s_addc_u32 s1, s9, s1
	s_load_dword s1, s[0:1], 0x0
	s_waitcnt lgkmcnt(0)
	v_cmp_eq_f32_e64 s0, s1, 0
	s_and_b32 vcc_lo, exec_lo, s0
	s_cbranch_vccnz .LBB32_15
; %bb.1:
	s_load_dwordx4 s[8:11], s[4:5], 0x0
	v_lshlrev_b32_e32 v2, 5, v1
	v_mov_b32_e32 v4, 0
	v_add_lshl_u32 v3, v2, v0, 2
	v_lshlrev_b32_e32 v2, 2, v0
	ds_write2st64_b32 v3, v4, v4 offset1:16
	s_waitcnt lgkmcnt(0)
	v_cmp_gt_i32_e32 vcc_lo, s11, v1
	v_cmp_gt_i32_e64 s0, s11, v0
	s_and_b32 s0, vcc_lo, s0
	s_and_saveexec_b32 s2, s0
	s_cbranch_execz .LBB32_3
; %bb.2:
	v_mad_u64_u32 v[4:5], null, s14, v1, 0
	s_mul_i32 s0, s17, s7
	s_mul_hi_u32 s3, s16, s7
	s_mul_i32 s14, s16, s7
	v_mad_u64_u32 v[5:6], null, s15, v1, v[5:6]
	s_add_i32 s15, s3, s0
	s_lshl_b64 s[14:15], s[14:15], 2
	s_add_u32 s0, s12, s14
	s_addc_u32 s3, s13, s15
	v_lshlrev_b64 v[4:5], 2, v[4:5]
	v_add_co_u32 v4, s0, s0, v4
	v_add_co_ci_u32_e64 v5, null, s3, v5, s0
	v_add_co_u32 v4, s0, v4, v2
	v_add_co_ci_u32_e64 v5, null, 0, v5, s0
	global_load_dword v4, v[4:5], off
	s_waitcnt vmcnt(0)
	ds_write_b32 v3, v4
.LBB32_3:
	s_or_b32 exec_lo, exec_lo, s2
	s_add_i32 s0, s10, -1
	s_ashr_i32 s2, s0, 31
	s_lshr_b32 s2, s2, 27
	s_add_i32 s0, s0, s2
	s_and_b32 s2, s0, 0xffffffe0
	s_ashr_i32 s0, s0, 5
	s_sub_i32 s2, s10, s2
	s_cmp_ge_i32 s6, s0
	s_cselect_b32 s0, s2, 32
	s_lshl_b32 s2, s6, 5
	v_cmp_gt_i32_e64 s0, s0, v0
	s_ashr_i32 s3, s2, 31
	s_and_b32 s0, vcc_lo, s0
	s_and_saveexec_b32 s6, s0
	s_cbranch_execz .LBB32_5
; %bb.4:
	v_mad_u64_u32 v[4:5], null, s20, v1, 0
	s_mul_i32 s11, s23, s7
	s_mul_hi_u32 s12, s22, s7
	s_mul_i32 s10, s22, s7
	s_add_i32 s11, s12, s11
	s_lshl_b64 s[10:11], s[10:11], 2
	v_mad_u64_u32 v[5:6], null, s21, v1, v[5:6]
	s_add_u32 s12, s18, s10
	s_addc_u32 s13, s19, s11
	s_lshl_b64 s[10:11], s[2:3], 2
	s_add_u32 s10, s12, s10
	s_addc_u32 s11, s13, s11
	v_lshlrev_b64 v[4:5], 2, v[4:5]
	v_add_co_u32 v4, vcc_lo, s10, v4
	v_add_co_ci_u32_e64 v5, null, s11, v5, vcc_lo
	v_add_co_u32 v4, vcc_lo, v4, v2
	v_add_co_ci_u32_e64 v5, null, 0, v5, vcc_lo
	global_load_dword v4, v[4:5], off
	v_add_nc_u32_e32 v5, 0x1000, v3
	s_waitcnt vmcnt(0)
	ds_write_b32 v5, v4
.LBB32_5:
	s_or_b32 exec_lo, exec_lo, s6
	v_cmp_eq_u32_e32 vcc_lo, v1, v0
	s_cmpk_eq_i32 s9, 0x84
	s_cselect_b32 s6, -1, 0
	s_and_b32 s9, vcc_lo, s6
	s_and_saveexec_b32 s6, s9
; %bb.6:
	v_mov_b32_e32 v4, 1.0
	ds_write_b32 v3, v4
; %bb.7:
	s_or_b32 exec_lo, exec_lo, s6
	s_cmpk_lg_i32 s8, 0x79
	s_cbranch_scc0 .LBB32_9
; %bb.8:
	v_cmp_lt_u32_e32 vcc_lo, v0, v1
	s_and_b32 s6, vcc_lo, exec_lo
	s_cbranch_execz .LBB32_10
	s_branch .LBB32_11
.LBB32_9:
	s_mov_b32 s6, 0
.LBB32_10:
	v_cmp_gt_u32_e32 vcc_lo, v0, v1
	s_andn2_b32 s6, s6, exec_lo
	s_and_b32 s8, vcc_lo, exec_lo
	s_or_b32 s6, s6, s8
.LBB32_11:
	s_and_saveexec_b32 s8, s6
; %bb.12:
	v_mov_b32_e32 v0, 0
	ds_write_b32 v3, v0
; %bb.13:
	s_or_b32 exec_lo, exec_lo, s8
	s_waitcnt lgkmcnt(0)
	s_barrier
	buffer_gl0_inv
	s_and_saveexec_b32 s6, s0
	s_cbranch_execz .LBB32_15
; %bb.14:
	v_add_nc_u32_e32 v0, 0x1000, v2
	v_lshlrev_b32_e32 v15, 2, v1
	s_clause 0x1
	s_load_dwordx4 s[8:11], s[4:5], 0x50
	s_load_dwordx2 s[4:5], s[4:5], 0x60
	ds_read2_b32 v[3:4], v0 offset1:32
	ds_read2_b32 v[5:6], v15 offset1:32
	ds_read2_b32 v[7:8], v0 offset0:64 offset1:96
	ds_read2_b32 v[9:10], v15 offset0:64 offset1:96
	;; [unrolled: 1-line block ×4, first 2 shown]
	v_add_nc_u32_e32 v16, 0x400, v15
	v_add_nc_u32_e32 v18, 0xc00, v15
	s_waitcnt lgkmcnt(0)
	v_fma_f32 v17, v3, v5, 0
	s_mul_i32 s0, s5, s7
	s_mul_hi_u32 s5, s4, s7
	s_mul_i32 s4, s4, s7
	v_fmac_f32_e32 v17, v4, v6
	ds_read2_b32 v[3:4], v0 offset0:192 offset1:224
	ds_read2_b32 v[5:6], v15 offset0:192 offset1:224
	v_add_nc_u32_e32 v0, 0x1400, v2
	s_add_i32 s5, s5, s0
	s_lshl_b64 s[4:5], s[4:5], 2
	v_fmac_f32_e32 v17, v7, v9
	s_add_u32 s0, s8, s4
	s_addc_u32 s4, s9, s5
	s_lshl_b64 s[2:3], s[2:3], 2
	v_fmac_f32_e32 v17, v8, v10
	ds_read2_b32 v[7:8], v0 offset1:32
	ds_read2_b32 v[9:10], v16 offset1:32
	s_add_u32 s0, s0, s2
	s_addc_u32 s2, s4, s3
	v_fmac_f32_e32 v17, v11, v13
	v_fmac_f32_e32 v17, v12, v14
	ds_read2_b32 v[11:12], v0 offset0:64 offset1:96
	ds_read2_b32 v[13:14], v16 offset0:64 offset1:96
	s_waitcnt lgkmcnt(4)
	v_fmac_f32_e32 v17, v3, v5
	v_fmac_f32_e32 v17, v4, v6
	ds_read2_b32 v[3:4], v0 offset0:128 offset1:160
	ds_read2_b32 v[5:6], v16 offset0:128 offset1:160
	s_waitcnt lgkmcnt(4)
	v_fmac_f32_e32 v17, v7, v9
	v_fmac_f32_e32 v17, v8, v10
	ds_read2_b32 v[7:8], v0 offset0:192 offset1:224
	ds_read2_b32 v[9:10], v16 offset0:192 offset1:224
	v_add_nc_u32_e32 v0, 0x1800, v2
	v_add_nc_u32_e32 v16, 0x800, v15
	s_waitcnt lgkmcnt(4)
	v_fmac_f32_e32 v17, v11, v13
	v_fmac_f32_e32 v17, v12, v14
	ds_read2_b32 v[11:12], v0 offset1:32
	ds_read2_b32 v[13:14], v16 offset1:32
	s_waitcnt lgkmcnt(4)
	v_fmac_f32_e32 v17, v3, v5
	v_fmac_f32_e32 v17, v4, v6
	ds_read2_b32 v[3:4], v0 offset0:64 offset1:96
	ds_read2_b32 v[5:6], v16 offset0:64 offset1:96
	s_waitcnt lgkmcnt(4)
	v_fmac_f32_e32 v17, v7, v9
	v_fmac_f32_e32 v17, v8, v10
	ds_read2_b32 v[7:8], v0 offset0:128 offset1:160
	ds_read2_b32 v[9:10], v16 offset0:128 offset1:160
	;; [unrolled: 5-line block ×3, first 2 shown]
	v_add_nc_u32_e32 v0, 0x1c00, v2
	v_mad_u64_u32 v[15:16], null, s10, v1, 0
	s_waitcnt lgkmcnt(4)
	v_fmac_f32_e32 v17, v3, v5
	v_fmac_f32_e32 v17, v4, v6
	ds_read2_b32 v[3:4], v0 offset1:32
	ds_read2_b32 v[5:6], v18 offset1:32
	s_waitcnt lgkmcnt(4)
	v_fmac_f32_e32 v17, v7, v9
	v_fmac_f32_e32 v17, v8, v10
	ds_read2_b32 v[7:8], v0 offset0:64 offset1:96
	ds_read2_b32 v[9:10], v18 offset0:64 offset1:96
	s_waitcnt lgkmcnt(4)
	v_fmac_f32_e32 v17, v11, v13
	v_fmac_f32_e32 v17, v12, v14
	ds_read2_b32 v[11:12], v0 offset0:128 offset1:160
	ds_read2_b32 v[13:14], v18 offset0:128 offset1:160
	;; [unrolled: 5-line block ×3, first 2 shown]
	v_mov_b32_e32 v0, v16
	s_waitcnt lgkmcnt(4)
	v_fmac_f32_e32 v17, v7, v9
	v_mad_u64_u32 v[0:1], null, s11, v1, v[0:1]
	v_fmac_f32_e32 v17, v8, v10
	v_mov_b32_e32 v16, v0
	s_waitcnt lgkmcnt(2)
	v_fmac_f32_e32 v17, v11, v13
	v_lshlrev_b64 v[0:1], 2, v[15:16]
	v_fmac_f32_e32 v17, v12, v14
	v_add_co_u32 v0, vcc_lo, s0, v0
	s_waitcnt lgkmcnt(0)
	v_fmac_f32_e32 v17, v3, v5
	v_add_co_ci_u32_e64 v1, null, s2, v1, vcc_lo
	v_add_co_u32 v0, vcc_lo, v0, v2
	v_fmac_f32_e32 v17, v4, v6
	v_add_co_ci_u32_e64 v1, null, 0, v1, vcc_lo
	v_mul_f32_e32 v3, s1, v17
	global_store_dword v[0:1], v3, off
.LBB32_15:
	s_endpgm
	.section	.rodata,"a",@progbits
	.p2align	6, 0x0
	.amdhsa_kernel _ZL23rocblas_trmm_rTx_kernelILi32ELb0EfPKfS0_fEv13rocblas_fill_17rocblas_diagonal_iiT2_lPT3_llS6_llPT4_lli
		.amdhsa_group_segment_fixed_size 8192
		.amdhsa_private_segment_fixed_size 0
		.amdhsa_kernarg_size 108
		.amdhsa_user_sgpr_count 6
		.amdhsa_user_sgpr_private_segment_buffer 1
		.amdhsa_user_sgpr_dispatch_ptr 0
		.amdhsa_user_sgpr_queue_ptr 0
		.amdhsa_user_sgpr_kernarg_segment_ptr 1
		.amdhsa_user_sgpr_dispatch_id 0
		.amdhsa_user_sgpr_flat_scratch_init 0
		.amdhsa_user_sgpr_private_segment_size 0
		.amdhsa_wavefront_size32 1
		.amdhsa_uses_dynamic_stack 0
		.amdhsa_system_sgpr_private_segment_wavefront_offset 0
		.amdhsa_system_sgpr_workgroup_id_x 1
		.amdhsa_system_sgpr_workgroup_id_y 0
		.amdhsa_system_sgpr_workgroup_id_z 1
		.amdhsa_system_sgpr_workgroup_info 0
		.amdhsa_system_vgpr_workitem_id 1
		.amdhsa_next_free_vgpr 19
		.amdhsa_next_free_sgpr 24
		.amdhsa_reserve_vcc 1
		.amdhsa_reserve_flat_scratch 0
		.amdhsa_float_round_mode_32 0
		.amdhsa_float_round_mode_16_64 0
		.amdhsa_float_denorm_mode_32 3
		.amdhsa_float_denorm_mode_16_64 3
		.amdhsa_dx10_clamp 1
		.amdhsa_ieee_mode 1
		.amdhsa_fp16_overflow 0
		.amdhsa_workgroup_processor_mode 1
		.amdhsa_memory_ordered 1
		.amdhsa_forward_progress 1
		.amdhsa_shared_vgpr_count 0
		.amdhsa_exception_fp_ieee_invalid_op 0
		.amdhsa_exception_fp_denorm_src 0
		.amdhsa_exception_fp_ieee_div_zero 0
		.amdhsa_exception_fp_ieee_overflow 0
		.amdhsa_exception_fp_ieee_underflow 0
		.amdhsa_exception_fp_ieee_inexact 0
		.amdhsa_exception_int_div_zero 0
	.end_amdhsa_kernel
	.section	.text._ZL23rocblas_trmm_rTx_kernelILi32ELb0EfPKfS0_fEv13rocblas_fill_17rocblas_diagonal_iiT2_lPT3_llS6_llPT4_lli,"axG",@progbits,_ZL23rocblas_trmm_rTx_kernelILi32ELb0EfPKfS0_fEv13rocblas_fill_17rocblas_diagonal_iiT2_lPT3_llS6_llPT4_lli,comdat
.Lfunc_end32:
	.size	_ZL23rocblas_trmm_rTx_kernelILi32ELb0EfPKfS0_fEv13rocblas_fill_17rocblas_diagonal_iiT2_lPT3_llS6_llPT4_lli, .Lfunc_end32-_ZL23rocblas_trmm_rTx_kernelILi32ELb0EfPKfS0_fEv13rocblas_fill_17rocblas_diagonal_iiT2_lPT3_llS6_llPT4_lli
                                        ; -- End function
	.set _ZL23rocblas_trmm_rTx_kernelILi32ELb0EfPKfS0_fEv13rocblas_fill_17rocblas_diagonal_iiT2_lPT3_llS6_llPT4_lli.num_vgpr, 19
	.set _ZL23rocblas_trmm_rTx_kernelILi32ELb0EfPKfS0_fEv13rocblas_fill_17rocblas_diagonal_iiT2_lPT3_llS6_llPT4_lli.num_agpr, 0
	.set _ZL23rocblas_trmm_rTx_kernelILi32ELb0EfPKfS0_fEv13rocblas_fill_17rocblas_diagonal_iiT2_lPT3_llS6_llPT4_lli.numbered_sgpr, 24
	.set _ZL23rocblas_trmm_rTx_kernelILi32ELb0EfPKfS0_fEv13rocblas_fill_17rocblas_diagonal_iiT2_lPT3_llS6_llPT4_lli.num_named_barrier, 0
	.set _ZL23rocblas_trmm_rTx_kernelILi32ELb0EfPKfS0_fEv13rocblas_fill_17rocblas_diagonal_iiT2_lPT3_llS6_llPT4_lli.private_seg_size, 0
	.set _ZL23rocblas_trmm_rTx_kernelILi32ELb0EfPKfS0_fEv13rocblas_fill_17rocblas_diagonal_iiT2_lPT3_llS6_llPT4_lli.uses_vcc, 1
	.set _ZL23rocblas_trmm_rTx_kernelILi32ELb0EfPKfS0_fEv13rocblas_fill_17rocblas_diagonal_iiT2_lPT3_llS6_llPT4_lli.uses_flat_scratch, 0
	.set _ZL23rocblas_trmm_rTx_kernelILi32ELb0EfPKfS0_fEv13rocblas_fill_17rocblas_diagonal_iiT2_lPT3_llS6_llPT4_lli.has_dyn_sized_stack, 0
	.set _ZL23rocblas_trmm_rTx_kernelILi32ELb0EfPKfS0_fEv13rocblas_fill_17rocblas_diagonal_iiT2_lPT3_llS6_llPT4_lli.has_recursion, 0
	.set _ZL23rocblas_trmm_rTx_kernelILi32ELb0EfPKfS0_fEv13rocblas_fill_17rocblas_diagonal_iiT2_lPT3_llS6_llPT4_lli.has_indirect_call, 0
	.section	.AMDGPU.csdata,"",@progbits
; Kernel info:
; codeLenInByte = 1204
; TotalNumSgprs: 26
; NumVgprs: 19
; ScratchSize: 0
; MemoryBound: 0
; FloatMode: 240
; IeeeMode: 1
; LDSByteSize: 8192 bytes/workgroup (compile time only)
; SGPRBlocks: 0
; VGPRBlocks: 2
; NumSGPRsForWavesPerEU: 26
; NumVGPRsForWavesPerEU: 19
; Occupancy: 16
; WaveLimiterHint : 0
; COMPUTE_PGM_RSRC2:SCRATCH_EN: 0
; COMPUTE_PGM_RSRC2:USER_SGPR: 6
; COMPUTE_PGM_RSRC2:TRAP_HANDLER: 0
; COMPUTE_PGM_RSRC2:TGID_X_EN: 1
; COMPUTE_PGM_RSRC2:TGID_Y_EN: 0
; COMPUTE_PGM_RSRC2:TGID_Z_EN: 1
; COMPUTE_PGM_RSRC2:TIDIG_COMP_CNT: 1
	.section	.text._ZL23rocblas_trmm_rTx_kernelILi32ELb0EffKffEv13rocblas_fill_17rocblas_diagonal_iiT2_lPT3_llS5_llPT4_lli,"axG",@progbits,_ZL23rocblas_trmm_rTx_kernelILi32ELb0EffKffEv13rocblas_fill_17rocblas_diagonal_iiT2_lPT3_llS5_llPT4_lli,comdat
	.globl	_ZL23rocblas_trmm_rTx_kernelILi32ELb0EffKffEv13rocblas_fill_17rocblas_diagonal_iiT2_lPT3_llS5_llPT4_lli ; -- Begin function _ZL23rocblas_trmm_rTx_kernelILi32ELb0EffKffEv13rocblas_fill_17rocblas_diagonal_iiT2_lPT3_llS5_llPT4_lli
	.p2align	8
	.type	_ZL23rocblas_trmm_rTx_kernelILi32ELb0EffKffEv13rocblas_fill_17rocblas_diagonal_iiT2_lPT3_llS5_llPT4_lli,@function
_ZL23rocblas_trmm_rTx_kernelILi32ELb0EffKffEv13rocblas_fill_17rocblas_diagonal_iiT2_lPT3_llS5_llPT4_lli: ; @_ZL23rocblas_trmm_rTx_kernelILi32ELb0EffKffEv13rocblas_fill_17rocblas_diagonal_iiT2_lPT3_llS5_llPT4_lli
; %bb.0:
	s_load_dword s1, s[4:5], 0x10
	s_waitcnt lgkmcnt(0)
	v_cmp_eq_f32_e64 s0, s1, 0
	s_and_b32 vcc_lo, exec_lo, s0
	s_cbranch_vccnz .LBB33_15
; %bb.1:
	s_clause 0x1
	s_load_dwordx4 s[24:27], s[4:5], 0x0
	s_load_dwordx16 s[8:23], s[4:5], 0x20
	v_lshlrev_b32_e32 v2, 5, v1
	v_mov_b32_e32 v4, 0
	v_add_lshl_u32 v3, v2, v0, 2
	v_lshlrev_b32_e32 v2, 2, v0
	ds_write2st64_b32 v3, v4, v4 offset1:16
	s_waitcnt lgkmcnt(0)
	v_cmp_gt_i32_e32 vcc_lo, s27, v1
	v_cmp_gt_i32_e64 s0, s27, v0
	s_and_b32 s0, vcc_lo, s0
	s_and_saveexec_b32 s2, s0
	s_cbranch_execz .LBB33_3
; %bb.2:
	v_mad_u64_u32 v[4:5], null, s10, v1, 0
	s_mul_i32 s0, s13, s7
	s_mul_hi_u32 s3, s12, s7
	s_mul_i32 s10, s12, s7
	v_mad_u64_u32 v[5:6], null, s11, v1, v[5:6]
	s_add_i32 s11, s3, s0
	s_lshl_b64 s[10:11], s[10:11], 2
	s_add_u32 s0, s8, s10
	s_addc_u32 s3, s9, s11
	v_lshlrev_b64 v[4:5], 2, v[4:5]
	v_add_co_u32 v4, s0, s0, v4
	v_add_co_ci_u32_e64 v5, null, s3, v5, s0
	v_add_co_u32 v4, s0, v4, v2
	v_add_co_ci_u32_e64 v5, null, 0, v5, s0
	global_load_dword v4, v[4:5], off
	s_waitcnt vmcnt(0)
	ds_write_b32 v3, v4
.LBB33_3:
	s_or_b32 exec_lo, exec_lo, s2
	s_add_i32 s0, s26, -1
	s_ashr_i32 s2, s0, 31
	s_lshr_b32 s2, s2, 27
	s_add_i32 s0, s0, s2
	s_and_b32 s2, s0, 0xffffffe0
	s_ashr_i32 s0, s0, 5
	s_sub_i32 s2, s26, s2
	s_cmp_ge_i32 s6, s0
	s_cselect_b32 s0, s2, 32
	s_lshl_b32 s2, s6, 5
	v_cmp_gt_i32_e64 s0, s0, v0
	s_ashr_i32 s3, s2, 31
	s_and_b32 s0, vcc_lo, s0
	s_and_saveexec_b32 s6, s0
	s_cbranch_execz .LBB33_5
; %bb.4:
	v_mad_u64_u32 v[4:5], null, s16, v1, 0
	s_mul_i32 s9, s19, s7
	s_mul_hi_u32 s10, s18, s7
	s_mul_i32 s8, s18, s7
	s_add_i32 s9, s10, s9
	s_lshl_b64 s[8:9], s[8:9], 2
	v_mad_u64_u32 v[5:6], null, s17, v1, v[5:6]
	s_add_u32 s10, s14, s8
	s_addc_u32 s11, s15, s9
	s_lshl_b64 s[8:9], s[2:3], 2
	s_add_u32 s8, s10, s8
	s_addc_u32 s9, s11, s9
	v_lshlrev_b64 v[4:5], 2, v[4:5]
	v_add_co_u32 v4, vcc_lo, s8, v4
	v_add_co_ci_u32_e64 v5, null, s9, v5, vcc_lo
	v_add_co_u32 v4, vcc_lo, v4, v2
	v_add_co_ci_u32_e64 v5, null, 0, v5, vcc_lo
	global_load_dword v4, v[4:5], off
	v_add_nc_u32_e32 v5, 0x1000, v3
	s_waitcnt vmcnt(0)
	ds_write_b32 v5, v4
.LBB33_5:
	s_or_b32 exec_lo, exec_lo, s6
	v_cmp_eq_u32_e32 vcc_lo, v1, v0
	s_cmpk_eq_i32 s25, 0x84
	s_cselect_b32 s6, -1, 0
	s_and_b32 s8, vcc_lo, s6
	s_and_saveexec_b32 s6, s8
; %bb.6:
	v_mov_b32_e32 v4, 1.0
	ds_write_b32 v3, v4
; %bb.7:
	s_or_b32 exec_lo, exec_lo, s6
	s_cmpk_lg_i32 s24, 0x79
	s_cbranch_scc0 .LBB33_9
; %bb.8:
	v_cmp_lt_u32_e32 vcc_lo, v0, v1
	s_and_b32 s6, vcc_lo, exec_lo
	s_cbranch_execz .LBB33_10
	s_branch .LBB33_11
.LBB33_9:
	s_mov_b32 s6, 0
.LBB33_10:
	v_cmp_gt_u32_e32 vcc_lo, v0, v1
	s_andn2_b32 s6, s6, exec_lo
	s_and_b32 s8, vcc_lo, exec_lo
	s_or_b32 s6, s6, s8
.LBB33_11:
	s_and_saveexec_b32 s8, s6
; %bb.12:
	v_mov_b32_e32 v0, 0
	ds_write_b32 v3, v0
; %bb.13:
	s_or_b32 exec_lo, exec_lo, s8
	s_waitcnt lgkmcnt(0)
	s_barrier
	buffer_gl0_inv
	s_and_saveexec_b32 s6, s0
	s_cbranch_execz .LBB33_15
; %bb.14:
	v_add_nc_u32_e32 v0, 0x1000, v2
	v_lshlrev_b32_e32 v15, 2, v1
	s_load_dwordx2 s[4:5], s[4:5], 0x60
	ds_read2_b32 v[3:4], v0 offset1:32
	ds_read2_b32 v[5:6], v15 offset1:32
	ds_read2_b32 v[7:8], v0 offset0:64 offset1:96
	ds_read2_b32 v[9:10], v15 offset0:64 offset1:96
	;; [unrolled: 1-line block ×4, first 2 shown]
	v_add_nc_u32_e32 v16, 0x400, v15
	v_add_nc_u32_e32 v18, 0xc00, v15
	s_waitcnt lgkmcnt(0)
	v_fma_f32 v17, v3, v5, 0
	s_mul_i32 s0, s5, s7
	s_mul_hi_u32 s5, s4, s7
	s_mul_i32 s4, s4, s7
	s_add_i32 s5, s5, s0
	v_fmac_f32_e32 v17, v4, v6
	ds_read2_b32 v[3:4], v0 offset0:192 offset1:224
	ds_read2_b32 v[5:6], v15 offset0:192 offset1:224
	v_add_nc_u32_e32 v0, 0x1400, v2
	s_lshl_b64 s[4:5], s[4:5], 2
	s_add_u32 s0, s20, s4
	v_fmac_f32_e32 v17, v7, v9
	s_addc_u32 s4, s21, s5
	s_lshl_b64 s[2:3], s[2:3], 2
	s_add_u32 s0, s0, s2
	v_fmac_f32_e32 v17, v8, v10
	ds_read2_b32 v[7:8], v0 offset1:32
	ds_read2_b32 v[9:10], v16 offset1:32
	s_addc_u32 s2, s4, s3
	v_fmac_f32_e32 v17, v11, v13
	v_fmac_f32_e32 v17, v12, v14
	ds_read2_b32 v[11:12], v0 offset0:64 offset1:96
	ds_read2_b32 v[13:14], v16 offset0:64 offset1:96
	s_waitcnt lgkmcnt(4)
	v_fmac_f32_e32 v17, v3, v5
	v_fmac_f32_e32 v17, v4, v6
	ds_read2_b32 v[3:4], v0 offset0:128 offset1:160
	ds_read2_b32 v[5:6], v16 offset0:128 offset1:160
	s_waitcnt lgkmcnt(4)
	v_fmac_f32_e32 v17, v7, v9
	v_fmac_f32_e32 v17, v8, v10
	ds_read2_b32 v[7:8], v0 offset0:192 offset1:224
	ds_read2_b32 v[9:10], v16 offset0:192 offset1:224
	v_add_nc_u32_e32 v0, 0x1800, v2
	v_add_nc_u32_e32 v16, 0x800, v15
	s_waitcnt lgkmcnt(4)
	v_fmac_f32_e32 v17, v11, v13
	v_fmac_f32_e32 v17, v12, v14
	ds_read2_b32 v[11:12], v0 offset1:32
	ds_read2_b32 v[13:14], v16 offset1:32
	s_waitcnt lgkmcnt(4)
	v_fmac_f32_e32 v17, v3, v5
	v_fmac_f32_e32 v17, v4, v6
	ds_read2_b32 v[3:4], v0 offset0:64 offset1:96
	ds_read2_b32 v[5:6], v16 offset0:64 offset1:96
	s_waitcnt lgkmcnt(4)
	v_fmac_f32_e32 v17, v7, v9
	v_fmac_f32_e32 v17, v8, v10
	ds_read2_b32 v[7:8], v0 offset0:128 offset1:160
	ds_read2_b32 v[9:10], v16 offset0:128 offset1:160
	s_waitcnt lgkmcnt(4)
	v_fmac_f32_e32 v17, v11, v13
	v_fmac_f32_e32 v17, v12, v14
	ds_read2_b32 v[11:12], v0 offset0:192 offset1:224
	ds_read2_b32 v[13:14], v16 offset0:192 offset1:224
	v_add_nc_u32_e32 v0, 0x1c00, v2
	s_waitcnt lgkmcnt(4)
	v_fmac_f32_e32 v17, v3, v5
	v_fmac_f32_e32 v17, v4, v6
	ds_read2_b32 v[3:4], v0 offset1:32
	ds_read2_b32 v[5:6], v18 offset1:32
	s_waitcnt lgkmcnt(4)
	v_fmac_f32_e32 v17, v7, v9
	v_fmac_f32_e32 v17, v8, v10
	ds_read2_b32 v[7:8], v0 offset0:64 offset1:96
	ds_read2_b32 v[9:10], v18 offset0:64 offset1:96
	s_waitcnt lgkmcnt(4)
	v_fmac_f32_e32 v17, v11, v13
	v_fmac_f32_e32 v17, v12, v14
	ds_read2_b32 v[13:14], v0 offset0:128 offset1:160
	ds_read2_b32 v[15:16], v18 offset0:128 offset1:160
	v_mad_u64_u32 v[11:12], null, s22, v1, 0
	s_waitcnt lgkmcnt(4)
	v_fmac_f32_e32 v17, v3, v5
	v_fmac_f32_e32 v17, v4, v6
	ds_read2_b32 v[3:4], v0 offset0:192 offset1:224
	v_mov_b32_e32 v0, v12
	ds_read2_b32 v[5:6], v18 offset0:192 offset1:224
	s_waitcnt lgkmcnt(4)
	v_fmac_f32_e32 v17, v7, v9
	v_mad_u64_u32 v[0:1], null, s23, v1, v[0:1]
	v_fmac_f32_e32 v17, v8, v10
	v_mov_b32_e32 v12, v0
	s_waitcnt lgkmcnt(2)
	v_fmac_f32_e32 v17, v13, v15
	v_lshlrev_b64 v[0:1], 2, v[11:12]
	v_fmac_f32_e32 v17, v14, v16
	v_add_co_u32 v0, vcc_lo, s0, v0
	s_waitcnt lgkmcnt(0)
	v_fmac_f32_e32 v17, v3, v5
	v_add_co_ci_u32_e64 v1, null, s2, v1, vcc_lo
	v_add_co_u32 v0, vcc_lo, v0, v2
	v_fmac_f32_e32 v17, v4, v6
	v_add_co_ci_u32_e64 v1, null, 0, v1, vcc_lo
	v_mul_f32_e32 v3, s1, v17
	global_store_dword v[0:1], v3, off
.LBB33_15:
	s_endpgm
	.section	.rodata,"a",@progbits
	.p2align	6, 0x0
	.amdhsa_kernel _ZL23rocblas_trmm_rTx_kernelILi32ELb0EffKffEv13rocblas_fill_17rocblas_diagonal_iiT2_lPT3_llS5_llPT4_lli
		.amdhsa_group_segment_fixed_size 8192
		.amdhsa_private_segment_fixed_size 0
		.amdhsa_kernarg_size 108
		.amdhsa_user_sgpr_count 6
		.amdhsa_user_sgpr_private_segment_buffer 1
		.amdhsa_user_sgpr_dispatch_ptr 0
		.amdhsa_user_sgpr_queue_ptr 0
		.amdhsa_user_sgpr_kernarg_segment_ptr 1
		.amdhsa_user_sgpr_dispatch_id 0
		.amdhsa_user_sgpr_flat_scratch_init 0
		.amdhsa_user_sgpr_private_segment_size 0
		.amdhsa_wavefront_size32 1
		.amdhsa_uses_dynamic_stack 0
		.amdhsa_system_sgpr_private_segment_wavefront_offset 0
		.amdhsa_system_sgpr_workgroup_id_x 1
		.amdhsa_system_sgpr_workgroup_id_y 0
		.amdhsa_system_sgpr_workgroup_id_z 1
		.amdhsa_system_sgpr_workgroup_info 0
		.amdhsa_system_vgpr_workitem_id 1
		.amdhsa_next_free_vgpr 19
		.amdhsa_next_free_sgpr 28
		.amdhsa_reserve_vcc 1
		.amdhsa_reserve_flat_scratch 0
		.amdhsa_float_round_mode_32 0
		.amdhsa_float_round_mode_16_64 0
		.amdhsa_float_denorm_mode_32 3
		.amdhsa_float_denorm_mode_16_64 3
		.amdhsa_dx10_clamp 1
		.amdhsa_ieee_mode 1
		.amdhsa_fp16_overflow 0
		.amdhsa_workgroup_processor_mode 1
		.amdhsa_memory_ordered 1
		.amdhsa_forward_progress 1
		.amdhsa_shared_vgpr_count 0
		.amdhsa_exception_fp_ieee_invalid_op 0
		.amdhsa_exception_fp_denorm_src 0
		.amdhsa_exception_fp_ieee_div_zero 0
		.amdhsa_exception_fp_ieee_overflow 0
		.amdhsa_exception_fp_ieee_underflow 0
		.amdhsa_exception_fp_ieee_inexact 0
		.amdhsa_exception_int_div_zero 0
	.end_amdhsa_kernel
	.section	.text._ZL23rocblas_trmm_rTx_kernelILi32ELb0EffKffEv13rocblas_fill_17rocblas_diagonal_iiT2_lPT3_llS5_llPT4_lli,"axG",@progbits,_ZL23rocblas_trmm_rTx_kernelILi32ELb0EffKffEv13rocblas_fill_17rocblas_diagonal_iiT2_lPT3_llS5_llPT4_lli,comdat
.Lfunc_end33:
	.size	_ZL23rocblas_trmm_rTx_kernelILi32ELb0EffKffEv13rocblas_fill_17rocblas_diagonal_iiT2_lPT3_llS5_llPT4_lli, .Lfunc_end33-_ZL23rocblas_trmm_rTx_kernelILi32ELb0EffKffEv13rocblas_fill_17rocblas_diagonal_iiT2_lPT3_llS5_llPT4_lli
                                        ; -- End function
	.set _ZL23rocblas_trmm_rTx_kernelILi32ELb0EffKffEv13rocblas_fill_17rocblas_diagonal_iiT2_lPT3_llS5_llPT4_lli.num_vgpr, 19
	.set _ZL23rocblas_trmm_rTx_kernelILi32ELb0EffKffEv13rocblas_fill_17rocblas_diagonal_iiT2_lPT3_llS5_llPT4_lli.num_agpr, 0
	.set _ZL23rocblas_trmm_rTx_kernelILi32ELb0EffKffEv13rocblas_fill_17rocblas_diagonal_iiT2_lPT3_llS5_llPT4_lli.numbered_sgpr, 28
	.set _ZL23rocblas_trmm_rTx_kernelILi32ELb0EffKffEv13rocblas_fill_17rocblas_diagonal_iiT2_lPT3_llS5_llPT4_lli.num_named_barrier, 0
	.set _ZL23rocblas_trmm_rTx_kernelILi32ELb0EffKffEv13rocblas_fill_17rocblas_diagonal_iiT2_lPT3_llS5_llPT4_lli.private_seg_size, 0
	.set _ZL23rocblas_trmm_rTx_kernelILi32ELb0EffKffEv13rocblas_fill_17rocblas_diagonal_iiT2_lPT3_llS5_llPT4_lli.uses_vcc, 1
	.set _ZL23rocblas_trmm_rTx_kernelILi32ELb0EffKffEv13rocblas_fill_17rocblas_diagonal_iiT2_lPT3_llS5_llPT4_lli.uses_flat_scratch, 0
	.set _ZL23rocblas_trmm_rTx_kernelILi32ELb0EffKffEv13rocblas_fill_17rocblas_diagonal_iiT2_lPT3_llS5_llPT4_lli.has_dyn_sized_stack, 0
	.set _ZL23rocblas_trmm_rTx_kernelILi32ELb0EffKffEv13rocblas_fill_17rocblas_diagonal_iiT2_lPT3_llS5_llPT4_lli.has_recursion, 0
	.set _ZL23rocblas_trmm_rTx_kernelILi32ELb0EffKffEv13rocblas_fill_17rocblas_diagonal_iiT2_lPT3_llS5_llPT4_lli.has_indirect_call, 0
	.section	.AMDGPU.csdata,"",@progbits
; Kernel info:
; codeLenInByte = 1164
; TotalNumSgprs: 30
; NumVgprs: 19
; ScratchSize: 0
; MemoryBound: 0
; FloatMode: 240
; IeeeMode: 1
; LDSByteSize: 8192 bytes/workgroup (compile time only)
; SGPRBlocks: 0
; VGPRBlocks: 2
; NumSGPRsForWavesPerEU: 30
; NumVGPRsForWavesPerEU: 19
; Occupancy: 16
; WaveLimiterHint : 0
; COMPUTE_PGM_RSRC2:SCRATCH_EN: 0
; COMPUTE_PGM_RSRC2:USER_SGPR: 6
; COMPUTE_PGM_RSRC2:TRAP_HANDLER: 0
; COMPUTE_PGM_RSRC2:TGID_X_EN: 1
; COMPUTE_PGM_RSRC2:TGID_Y_EN: 0
; COMPUTE_PGM_RSRC2:TGID_Z_EN: 1
; COMPUTE_PGM_RSRC2:TIDIG_COMP_CNT: 1
	.section	.text._ZL23rocblas_trmm_rTx_kernelILi32ELb1EfPKfS0_fEv13rocblas_fill_17rocblas_diagonal_iiT2_lPT3_llS6_llPT4_lli,"axG",@progbits,_ZL23rocblas_trmm_rTx_kernelILi32ELb1EfPKfS0_fEv13rocblas_fill_17rocblas_diagonal_iiT2_lPT3_llS6_llPT4_lli,comdat
	.globl	_ZL23rocblas_trmm_rTx_kernelILi32ELb1EfPKfS0_fEv13rocblas_fill_17rocblas_diagonal_iiT2_lPT3_llS6_llPT4_lli ; -- Begin function _ZL23rocblas_trmm_rTx_kernelILi32ELb1EfPKfS0_fEv13rocblas_fill_17rocblas_diagonal_iiT2_lPT3_llS6_llPT4_lli
	.p2align	8
	.type	_ZL23rocblas_trmm_rTx_kernelILi32ELb1EfPKfS0_fEv13rocblas_fill_17rocblas_diagonal_iiT2_lPT3_llS6_llPT4_lli,@function
_ZL23rocblas_trmm_rTx_kernelILi32ELb1EfPKfS0_fEv13rocblas_fill_17rocblas_diagonal_iiT2_lPT3_llS6_llPT4_lli: ; @_ZL23rocblas_trmm_rTx_kernelILi32ELb1EfPKfS0_fEv13rocblas_fill_17rocblas_diagonal_iiT2_lPT3_llS6_llPT4_lli
; %bb.0:
	s_load_dwordx16 s[8:23], s[4:5], 0x10
	s_waitcnt lgkmcnt(0)
	s_mul_i32 s0, s11, s7
	s_mul_hi_u32 s1, s10, s7
	s_add_i32 s1, s1, s0
	s_mul_i32 s0, s10, s7
	s_lshl_b64 s[0:1], s[0:1], 2
	s_add_u32 s0, s8, s0
	s_addc_u32 s1, s9, s1
	s_load_dword s1, s[0:1], 0x0
	s_waitcnt lgkmcnt(0)
	v_cmp_eq_f32_e64 s0, s1, 0
	s_and_b32 vcc_lo, exec_lo, s0
	s_cbranch_vccnz .LBB34_15
; %bb.1:
	s_load_dwordx4 s[8:11], s[4:5], 0x0
	v_lshlrev_b32_e32 v2, 5, v1
	v_mov_b32_e32 v4, 0
	v_add_lshl_u32 v3, v2, v0, 2
	v_lshlrev_b32_e32 v2, 2, v0
	ds_write2st64_b32 v3, v4, v4 offset1:16
	s_waitcnt lgkmcnt(0)
	v_cmp_gt_i32_e32 vcc_lo, s11, v1
	v_cmp_gt_i32_e64 s0, s11, v0
	s_and_b32 s0, vcc_lo, s0
	s_and_saveexec_b32 s2, s0
	s_cbranch_execz .LBB34_3
; %bb.2:
	v_mad_u64_u32 v[4:5], null, s14, v1, 0
	s_mul_i32 s0, s17, s7
	s_mul_hi_u32 s3, s16, s7
	s_mul_i32 s14, s16, s7
	v_mad_u64_u32 v[5:6], null, s15, v1, v[5:6]
	s_add_i32 s15, s3, s0
	s_lshl_b64 s[14:15], s[14:15], 2
	s_add_u32 s0, s12, s14
	s_addc_u32 s3, s13, s15
	v_lshlrev_b64 v[4:5], 2, v[4:5]
	v_add_co_u32 v4, s0, s0, v4
	v_add_co_ci_u32_e64 v5, null, s3, v5, s0
	v_add_co_u32 v4, s0, v4, v2
	v_add_co_ci_u32_e64 v5, null, 0, v5, s0
	global_load_dword v4, v[4:5], off
	s_waitcnt vmcnt(0)
	ds_write_b32 v3, v4
.LBB34_3:
	s_or_b32 exec_lo, exec_lo, s2
	s_add_i32 s0, s10, -1
	s_ashr_i32 s2, s0, 31
	s_lshr_b32 s2, s2, 27
	s_add_i32 s0, s0, s2
	s_and_b32 s2, s0, 0xffffffe0
	s_ashr_i32 s0, s0, 5
	s_sub_i32 s2, s10, s2
	s_cmp_ge_i32 s6, s0
	s_cselect_b32 s0, s2, 32
	s_lshl_b32 s2, s6, 5
	v_cmp_gt_i32_e64 s0, s0, v0
	s_ashr_i32 s3, s2, 31
	s_and_b32 s0, vcc_lo, s0
	s_and_saveexec_b32 s6, s0
	s_cbranch_execz .LBB34_5
; %bb.4:
	v_mad_u64_u32 v[4:5], null, s20, v1, 0
	s_mul_i32 s11, s23, s7
	s_mul_hi_u32 s12, s22, s7
	s_mul_i32 s10, s22, s7
	s_add_i32 s11, s12, s11
	s_lshl_b64 s[10:11], s[10:11], 2
	v_mad_u64_u32 v[5:6], null, s21, v1, v[5:6]
	s_add_u32 s12, s18, s10
	s_addc_u32 s13, s19, s11
	s_lshl_b64 s[10:11], s[2:3], 2
	s_add_u32 s10, s12, s10
	s_addc_u32 s11, s13, s11
	v_lshlrev_b64 v[4:5], 2, v[4:5]
	v_add_co_u32 v4, vcc_lo, s10, v4
	v_add_co_ci_u32_e64 v5, null, s11, v5, vcc_lo
	v_add_co_u32 v4, vcc_lo, v4, v2
	v_add_co_ci_u32_e64 v5, null, 0, v5, vcc_lo
	global_load_dword v4, v[4:5], off
	v_add_nc_u32_e32 v5, 0x1000, v3
	s_waitcnt vmcnt(0)
	ds_write_b32 v5, v4
.LBB34_5:
	s_or_b32 exec_lo, exec_lo, s6
	v_cmp_eq_u32_e32 vcc_lo, v1, v0
	s_cmpk_eq_i32 s9, 0x84
	s_cselect_b32 s6, -1, 0
	s_and_b32 s9, vcc_lo, s6
	s_and_saveexec_b32 s6, s9
; %bb.6:
	v_mov_b32_e32 v4, 1.0
	ds_write_b32 v3, v4
; %bb.7:
	s_or_b32 exec_lo, exec_lo, s6
	s_cmpk_lg_i32 s8, 0x79
	s_cbranch_scc0 .LBB34_9
; %bb.8:
	v_cmp_lt_u32_e32 vcc_lo, v0, v1
	s_and_b32 s6, vcc_lo, exec_lo
	s_cbranch_execz .LBB34_10
	s_branch .LBB34_11
.LBB34_9:
	s_mov_b32 s6, 0
.LBB34_10:
	v_cmp_gt_u32_e32 vcc_lo, v0, v1
	s_andn2_b32 s6, s6, exec_lo
	s_and_b32 s8, vcc_lo, exec_lo
	s_or_b32 s6, s6, s8
.LBB34_11:
	s_and_saveexec_b32 s8, s6
; %bb.12:
	v_mov_b32_e32 v0, 0
	ds_write_b32 v3, v0
; %bb.13:
	s_or_b32 exec_lo, exec_lo, s8
	s_waitcnt lgkmcnt(0)
	s_barrier
	buffer_gl0_inv
	s_and_saveexec_b32 s6, s0
	s_cbranch_execz .LBB34_15
; %bb.14:
	v_add_nc_u32_e32 v0, 0x1000, v2
	v_lshlrev_b32_e32 v15, 2, v1
	s_clause 0x1
	s_load_dwordx4 s[8:11], s[4:5], 0x50
	s_load_dwordx2 s[4:5], s[4:5], 0x60
	ds_read2_b32 v[3:4], v0 offset1:32
	ds_read2_b32 v[5:6], v15 offset1:32
	ds_read2_b32 v[7:8], v0 offset0:64 offset1:96
	ds_read2_b32 v[9:10], v15 offset0:64 offset1:96
	;; [unrolled: 1-line block ×4, first 2 shown]
	v_add_nc_u32_e32 v16, 0x400, v15
	v_add_nc_u32_e32 v18, 0xc00, v15
	s_waitcnt lgkmcnt(0)
	v_fma_f32 v17, v3, v5, 0
	s_mul_i32 s0, s5, s7
	s_mul_hi_u32 s5, s4, s7
	s_mul_i32 s4, s4, s7
	v_fmac_f32_e32 v17, v4, v6
	ds_read2_b32 v[3:4], v0 offset0:192 offset1:224
	ds_read2_b32 v[5:6], v15 offset0:192 offset1:224
	v_add_nc_u32_e32 v0, 0x1400, v2
	s_add_i32 s5, s5, s0
	s_lshl_b64 s[4:5], s[4:5], 2
	v_fmac_f32_e32 v17, v7, v9
	s_add_u32 s0, s8, s4
	s_addc_u32 s4, s9, s5
	s_lshl_b64 s[2:3], s[2:3], 2
	v_fmac_f32_e32 v17, v8, v10
	ds_read2_b32 v[7:8], v0 offset1:32
	ds_read2_b32 v[9:10], v16 offset1:32
	s_add_u32 s0, s0, s2
	s_addc_u32 s2, s4, s3
	v_fmac_f32_e32 v17, v11, v13
	v_fmac_f32_e32 v17, v12, v14
	ds_read2_b32 v[11:12], v0 offset0:64 offset1:96
	ds_read2_b32 v[13:14], v16 offset0:64 offset1:96
	s_waitcnt lgkmcnt(4)
	v_fmac_f32_e32 v17, v3, v5
	v_fmac_f32_e32 v17, v4, v6
	ds_read2_b32 v[3:4], v0 offset0:128 offset1:160
	ds_read2_b32 v[5:6], v16 offset0:128 offset1:160
	s_waitcnt lgkmcnt(4)
	v_fmac_f32_e32 v17, v7, v9
	v_fmac_f32_e32 v17, v8, v10
	ds_read2_b32 v[7:8], v0 offset0:192 offset1:224
	ds_read2_b32 v[9:10], v16 offset0:192 offset1:224
	v_add_nc_u32_e32 v0, 0x1800, v2
	v_add_nc_u32_e32 v16, 0x800, v15
	s_waitcnt lgkmcnt(4)
	v_fmac_f32_e32 v17, v11, v13
	v_fmac_f32_e32 v17, v12, v14
	ds_read2_b32 v[11:12], v0 offset1:32
	ds_read2_b32 v[13:14], v16 offset1:32
	s_waitcnt lgkmcnt(4)
	v_fmac_f32_e32 v17, v3, v5
	v_fmac_f32_e32 v17, v4, v6
	ds_read2_b32 v[3:4], v0 offset0:64 offset1:96
	ds_read2_b32 v[5:6], v16 offset0:64 offset1:96
	s_waitcnt lgkmcnt(4)
	v_fmac_f32_e32 v17, v7, v9
	v_fmac_f32_e32 v17, v8, v10
	ds_read2_b32 v[7:8], v0 offset0:128 offset1:160
	ds_read2_b32 v[9:10], v16 offset0:128 offset1:160
	;; [unrolled: 5-line block ×3, first 2 shown]
	v_add_nc_u32_e32 v0, 0x1c00, v2
	v_mad_u64_u32 v[15:16], null, s10, v1, 0
	s_waitcnt lgkmcnt(4)
	v_fmac_f32_e32 v17, v3, v5
	v_fmac_f32_e32 v17, v4, v6
	ds_read2_b32 v[3:4], v0 offset1:32
	ds_read2_b32 v[5:6], v18 offset1:32
	s_waitcnt lgkmcnt(4)
	v_fmac_f32_e32 v17, v7, v9
	v_fmac_f32_e32 v17, v8, v10
	ds_read2_b32 v[7:8], v0 offset0:64 offset1:96
	ds_read2_b32 v[9:10], v18 offset0:64 offset1:96
	s_waitcnt lgkmcnt(4)
	v_fmac_f32_e32 v17, v11, v13
	v_fmac_f32_e32 v17, v12, v14
	ds_read2_b32 v[11:12], v0 offset0:128 offset1:160
	ds_read2_b32 v[13:14], v18 offset0:128 offset1:160
	s_waitcnt lgkmcnt(4)
	v_fmac_f32_e32 v17, v3, v5
	v_fmac_f32_e32 v17, v4, v6
	ds_read2_b32 v[3:4], v0 offset0:192 offset1:224
	ds_read2_b32 v[5:6], v18 offset0:192 offset1:224
	v_mov_b32_e32 v0, v16
	s_waitcnt lgkmcnt(4)
	v_fmac_f32_e32 v17, v7, v9
	v_mad_u64_u32 v[0:1], null, s11, v1, v[0:1]
	v_fmac_f32_e32 v17, v8, v10
	v_mov_b32_e32 v16, v0
	s_waitcnt lgkmcnt(2)
	v_fmac_f32_e32 v17, v11, v13
	v_lshlrev_b64 v[0:1], 2, v[15:16]
	v_fmac_f32_e32 v17, v12, v14
	v_add_co_u32 v0, vcc_lo, s0, v0
	s_waitcnt lgkmcnt(0)
	v_fmac_f32_e32 v17, v3, v5
	v_add_co_ci_u32_e64 v1, null, s2, v1, vcc_lo
	v_add_co_u32 v0, vcc_lo, v0, v2
	v_fmac_f32_e32 v17, v4, v6
	v_add_co_ci_u32_e64 v1, null, 0, v1, vcc_lo
	v_mul_f32_e32 v3, s1, v17
	global_store_dword v[0:1], v3, off
.LBB34_15:
	s_endpgm
	.section	.rodata,"a",@progbits
	.p2align	6, 0x0
	.amdhsa_kernel _ZL23rocblas_trmm_rTx_kernelILi32ELb1EfPKfS0_fEv13rocblas_fill_17rocblas_diagonal_iiT2_lPT3_llS6_llPT4_lli
		.amdhsa_group_segment_fixed_size 8192
		.amdhsa_private_segment_fixed_size 0
		.amdhsa_kernarg_size 108
		.amdhsa_user_sgpr_count 6
		.amdhsa_user_sgpr_private_segment_buffer 1
		.amdhsa_user_sgpr_dispatch_ptr 0
		.amdhsa_user_sgpr_queue_ptr 0
		.amdhsa_user_sgpr_kernarg_segment_ptr 1
		.amdhsa_user_sgpr_dispatch_id 0
		.amdhsa_user_sgpr_flat_scratch_init 0
		.amdhsa_user_sgpr_private_segment_size 0
		.amdhsa_wavefront_size32 1
		.amdhsa_uses_dynamic_stack 0
		.amdhsa_system_sgpr_private_segment_wavefront_offset 0
		.amdhsa_system_sgpr_workgroup_id_x 1
		.amdhsa_system_sgpr_workgroup_id_y 0
		.amdhsa_system_sgpr_workgroup_id_z 1
		.amdhsa_system_sgpr_workgroup_info 0
		.amdhsa_system_vgpr_workitem_id 1
		.amdhsa_next_free_vgpr 19
		.amdhsa_next_free_sgpr 24
		.amdhsa_reserve_vcc 1
		.amdhsa_reserve_flat_scratch 0
		.amdhsa_float_round_mode_32 0
		.amdhsa_float_round_mode_16_64 0
		.amdhsa_float_denorm_mode_32 3
		.amdhsa_float_denorm_mode_16_64 3
		.amdhsa_dx10_clamp 1
		.amdhsa_ieee_mode 1
		.amdhsa_fp16_overflow 0
		.amdhsa_workgroup_processor_mode 1
		.amdhsa_memory_ordered 1
		.amdhsa_forward_progress 1
		.amdhsa_shared_vgpr_count 0
		.amdhsa_exception_fp_ieee_invalid_op 0
		.amdhsa_exception_fp_denorm_src 0
		.amdhsa_exception_fp_ieee_div_zero 0
		.amdhsa_exception_fp_ieee_overflow 0
		.amdhsa_exception_fp_ieee_underflow 0
		.amdhsa_exception_fp_ieee_inexact 0
		.amdhsa_exception_int_div_zero 0
	.end_amdhsa_kernel
	.section	.text._ZL23rocblas_trmm_rTx_kernelILi32ELb1EfPKfS0_fEv13rocblas_fill_17rocblas_diagonal_iiT2_lPT3_llS6_llPT4_lli,"axG",@progbits,_ZL23rocblas_trmm_rTx_kernelILi32ELb1EfPKfS0_fEv13rocblas_fill_17rocblas_diagonal_iiT2_lPT3_llS6_llPT4_lli,comdat
.Lfunc_end34:
	.size	_ZL23rocblas_trmm_rTx_kernelILi32ELb1EfPKfS0_fEv13rocblas_fill_17rocblas_diagonal_iiT2_lPT3_llS6_llPT4_lli, .Lfunc_end34-_ZL23rocblas_trmm_rTx_kernelILi32ELb1EfPKfS0_fEv13rocblas_fill_17rocblas_diagonal_iiT2_lPT3_llS6_llPT4_lli
                                        ; -- End function
	.set _ZL23rocblas_trmm_rTx_kernelILi32ELb1EfPKfS0_fEv13rocblas_fill_17rocblas_diagonal_iiT2_lPT3_llS6_llPT4_lli.num_vgpr, 19
	.set _ZL23rocblas_trmm_rTx_kernelILi32ELb1EfPKfS0_fEv13rocblas_fill_17rocblas_diagonal_iiT2_lPT3_llS6_llPT4_lli.num_agpr, 0
	.set _ZL23rocblas_trmm_rTx_kernelILi32ELb1EfPKfS0_fEv13rocblas_fill_17rocblas_diagonal_iiT2_lPT3_llS6_llPT4_lli.numbered_sgpr, 24
	.set _ZL23rocblas_trmm_rTx_kernelILi32ELb1EfPKfS0_fEv13rocblas_fill_17rocblas_diagonal_iiT2_lPT3_llS6_llPT4_lli.num_named_barrier, 0
	.set _ZL23rocblas_trmm_rTx_kernelILi32ELb1EfPKfS0_fEv13rocblas_fill_17rocblas_diagonal_iiT2_lPT3_llS6_llPT4_lli.private_seg_size, 0
	.set _ZL23rocblas_trmm_rTx_kernelILi32ELb1EfPKfS0_fEv13rocblas_fill_17rocblas_diagonal_iiT2_lPT3_llS6_llPT4_lli.uses_vcc, 1
	.set _ZL23rocblas_trmm_rTx_kernelILi32ELb1EfPKfS0_fEv13rocblas_fill_17rocblas_diagonal_iiT2_lPT3_llS6_llPT4_lli.uses_flat_scratch, 0
	.set _ZL23rocblas_trmm_rTx_kernelILi32ELb1EfPKfS0_fEv13rocblas_fill_17rocblas_diagonal_iiT2_lPT3_llS6_llPT4_lli.has_dyn_sized_stack, 0
	.set _ZL23rocblas_trmm_rTx_kernelILi32ELb1EfPKfS0_fEv13rocblas_fill_17rocblas_diagonal_iiT2_lPT3_llS6_llPT4_lli.has_recursion, 0
	.set _ZL23rocblas_trmm_rTx_kernelILi32ELb1EfPKfS0_fEv13rocblas_fill_17rocblas_diagonal_iiT2_lPT3_llS6_llPT4_lli.has_indirect_call, 0
	.section	.AMDGPU.csdata,"",@progbits
; Kernel info:
; codeLenInByte = 1204
; TotalNumSgprs: 26
; NumVgprs: 19
; ScratchSize: 0
; MemoryBound: 0
; FloatMode: 240
; IeeeMode: 1
; LDSByteSize: 8192 bytes/workgroup (compile time only)
; SGPRBlocks: 0
; VGPRBlocks: 2
; NumSGPRsForWavesPerEU: 26
; NumVGPRsForWavesPerEU: 19
; Occupancy: 16
; WaveLimiterHint : 0
; COMPUTE_PGM_RSRC2:SCRATCH_EN: 0
; COMPUTE_PGM_RSRC2:USER_SGPR: 6
; COMPUTE_PGM_RSRC2:TRAP_HANDLER: 0
; COMPUTE_PGM_RSRC2:TGID_X_EN: 1
; COMPUTE_PGM_RSRC2:TGID_Y_EN: 0
; COMPUTE_PGM_RSRC2:TGID_Z_EN: 1
; COMPUTE_PGM_RSRC2:TIDIG_COMP_CNT: 1
	.section	.text._ZL23rocblas_trmm_rTx_kernelILi32ELb1EffKffEv13rocblas_fill_17rocblas_diagonal_iiT2_lPT3_llS5_llPT4_lli,"axG",@progbits,_ZL23rocblas_trmm_rTx_kernelILi32ELb1EffKffEv13rocblas_fill_17rocblas_diagonal_iiT2_lPT3_llS5_llPT4_lli,comdat
	.globl	_ZL23rocblas_trmm_rTx_kernelILi32ELb1EffKffEv13rocblas_fill_17rocblas_diagonal_iiT2_lPT3_llS5_llPT4_lli ; -- Begin function _ZL23rocblas_trmm_rTx_kernelILi32ELb1EffKffEv13rocblas_fill_17rocblas_diagonal_iiT2_lPT3_llS5_llPT4_lli
	.p2align	8
	.type	_ZL23rocblas_trmm_rTx_kernelILi32ELb1EffKffEv13rocblas_fill_17rocblas_diagonal_iiT2_lPT3_llS5_llPT4_lli,@function
_ZL23rocblas_trmm_rTx_kernelILi32ELb1EffKffEv13rocblas_fill_17rocblas_diagonal_iiT2_lPT3_llS5_llPT4_lli: ; @_ZL23rocblas_trmm_rTx_kernelILi32ELb1EffKffEv13rocblas_fill_17rocblas_diagonal_iiT2_lPT3_llS5_llPT4_lli
; %bb.0:
	s_load_dword s1, s[4:5], 0x10
	s_waitcnt lgkmcnt(0)
	v_cmp_eq_f32_e64 s0, s1, 0
	s_and_b32 vcc_lo, exec_lo, s0
	s_cbranch_vccnz .LBB35_15
; %bb.1:
	s_clause 0x1
	s_load_dwordx4 s[24:27], s[4:5], 0x0
	s_load_dwordx16 s[8:23], s[4:5], 0x20
	v_lshlrev_b32_e32 v2, 5, v1
	v_mov_b32_e32 v4, 0
	v_add_lshl_u32 v3, v2, v0, 2
	v_lshlrev_b32_e32 v2, 2, v0
	ds_write2st64_b32 v3, v4, v4 offset1:16
	s_waitcnt lgkmcnt(0)
	v_cmp_gt_i32_e32 vcc_lo, s27, v1
	v_cmp_gt_i32_e64 s0, s27, v0
	s_and_b32 s0, vcc_lo, s0
	s_and_saveexec_b32 s2, s0
	s_cbranch_execz .LBB35_3
; %bb.2:
	v_mad_u64_u32 v[4:5], null, s10, v1, 0
	s_mul_i32 s0, s13, s7
	s_mul_hi_u32 s3, s12, s7
	s_mul_i32 s10, s12, s7
	v_mad_u64_u32 v[5:6], null, s11, v1, v[5:6]
	s_add_i32 s11, s3, s0
	s_lshl_b64 s[10:11], s[10:11], 2
	s_add_u32 s0, s8, s10
	s_addc_u32 s3, s9, s11
	v_lshlrev_b64 v[4:5], 2, v[4:5]
	v_add_co_u32 v4, s0, s0, v4
	v_add_co_ci_u32_e64 v5, null, s3, v5, s0
	v_add_co_u32 v4, s0, v4, v2
	v_add_co_ci_u32_e64 v5, null, 0, v5, s0
	global_load_dword v4, v[4:5], off
	s_waitcnt vmcnt(0)
	ds_write_b32 v3, v4
.LBB35_3:
	s_or_b32 exec_lo, exec_lo, s2
	s_add_i32 s0, s26, -1
	s_ashr_i32 s2, s0, 31
	s_lshr_b32 s2, s2, 27
	s_add_i32 s0, s0, s2
	s_and_b32 s2, s0, 0xffffffe0
	s_ashr_i32 s0, s0, 5
	s_sub_i32 s2, s26, s2
	s_cmp_ge_i32 s6, s0
	s_cselect_b32 s0, s2, 32
	s_lshl_b32 s2, s6, 5
	v_cmp_gt_i32_e64 s0, s0, v0
	s_ashr_i32 s3, s2, 31
	s_and_b32 s0, vcc_lo, s0
	s_and_saveexec_b32 s6, s0
	s_cbranch_execz .LBB35_5
; %bb.4:
	v_mad_u64_u32 v[4:5], null, s16, v1, 0
	s_mul_i32 s9, s19, s7
	s_mul_hi_u32 s10, s18, s7
	s_mul_i32 s8, s18, s7
	s_add_i32 s9, s10, s9
	s_lshl_b64 s[8:9], s[8:9], 2
	v_mad_u64_u32 v[5:6], null, s17, v1, v[5:6]
	s_add_u32 s10, s14, s8
	s_addc_u32 s11, s15, s9
	s_lshl_b64 s[8:9], s[2:3], 2
	s_add_u32 s8, s10, s8
	s_addc_u32 s9, s11, s9
	v_lshlrev_b64 v[4:5], 2, v[4:5]
	v_add_co_u32 v4, vcc_lo, s8, v4
	v_add_co_ci_u32_e64 v5, null, s9, v5, vcc_lo
	v_add_co_u32 v4, vcc_lo, v4, v2
	v_add_co_ci_u32_e64 v5, null, 0, v5, vcc_lo
	global_load_dword v4, v[4:5], off
	v_add_nc_u32_e32 v5, 0x1000, v3
	s_waitcnt vmcnt(0)
	ds_write_b32 v5, v4
.LBB35_5:
	s_or_b32 exec_lo, exec_lo, s6
	v_cmp_eq_u32_e32 vcc_lo, v1, v0
	s_cmpk_eq_i32 s25, 0x84
	s_cselect_b32 s6, -1, 0
	s_and_b32 s8, vcc_lo, s6
	s_and_saveexec_b32 s6, s8
; %bb.6:
	v_mov_b32_e32 v4, 1.0
	ds_write_b32 v3, v4
; %bb.7:
	s_or_b32 exec_lo, exec_lo, s6
	s_cmpk_lg_i32 s24, 0x79
	s_cbranch_scc0 .LBB35_9
; %bb.8:
	v_cmp_lt_u32_e32 vcc_lo, v0, v1
	s_and_b32 s6, vcc_lo, exec_lo
	s_cbranch_execz .LBB35_10
	s_branch .LBB35_11
.LBB35_9:
	s_mov_b32 s6, 0
.LBB35_10:
	v_cmp_gt_u32_e32 vcc_lo, v0, v1
	s_andn2_b32 s6, s6, exec_lo
	s_and_b32 s8, vcc_lo, exec_lo
	s_or_b32 s6, s6, s8
.LBB35_11:
	s_and_saveexec_b32 s8, s6
; %bb.12:
	v_mov_b32_e32 v0, 0
	ds_write_b32 v3, v0
; %bb.13:
	s_or_b32 exec_lo, exec_lo, s8
	s_waitcnt lgkmcnt(0)
	s_barrier
	buffer_gl0_inv
	s_and_saveexec_b32 s6, s0
	s_cbranch_execz .LBB35_15
; %bb.14:
	v_add_nc_u32_e32 v0, 0x1000, v2
	v_lshlrev_b32_e32 v15, 2, v1
	s_load_dwordx2 s[4:5], s[4:5], 0x60
	ds_read2_b32 v[3:4], v0 offset1:32
	ds_read2_b32 v[5:6], v15 offset1:32
	ds_read2_b32 v[7:8], v0 offset0:64 offset1:96
	ds_read2_b32 v[9:10], v15 offset0:64 offset1:96
	;; [unrolled: 1-line block ×4, first 2 shown]
	v_add_nc_u32_e32 v16, 0x400, v15
	v_add_nc_u32_e32 v18, 0xc00, v15
	s_waitcnt lgkmcnt(0)
	v_fma_f32 v17, v3, v5, 0
	s_mul_i32 s0, s5, s7
	s_mul_hi_u32 s5, s4, s7
	s_mul_i32 s4, s4, s7
	s_add_i32 s5, s5, s0
	v_fmac_f32_e32 v17, v4, v6
	ds_read2_b32 v[3:4], v0 offset0:192 offset1:224
	ds_read2_b32 v[5:6], v15 offset0:192 offset1:224
	v_add_nc_u32_e32 v0, 0x1400, v2
	s_lshl_b64 s[4:5], s[4:5], 2
	s_add_u32 s0, s20, s4
	v_fmac_f32_e32 v17, v7, v9
	s_addc_u32 s4, s21, s5
	s_lshl_b64 s[2:3], s[2:3], 2
	s_add_u32 s0, s0, s2
	v_fmac_f32_e32 v17, v8, v10
	ds_read2_b32 v[7:8], v0 offset1:32
	ds_read2_b32 v[9:10], v16 offset1:32
	s_addc_u32 s2, s4, s3
	v_fmac_f32_e32 v17, v11, v13
	v_fmac_f32_e32 v17, v12, v14
	ds_read2_b32 v[11:12], v0 offset0:64 offset1:96
	ds_read2_b32 v[13:14], v16 offset0:64 offset1:96
	s_waitcnt lgkmcnt(4)
	v_fmac_f32_e32 v17, v3, v5
	v_fmac_f32_e32 v17, v4, v6
	ds_read2_b32 v[3:4], v0 offset0:128 offset1:160
	ds_read2_b32 v[5:6], v16 offset0:128 offset1:160
	s_waitcnt lgkmcnt(4)
	v_fmac_f32_e32 v17, v7, v9
	v_fmac_f32_e32 v17, v8, v10
	ds_read2_b32 v[7:8], v0 offset0:192 offset1:224
	ds_read2_b32 v[9:10], v16 offset0:192 offset1:224
	v_add_nc_u32_e32 v0, 0x1800, v2
	v_add_nc_u32_e32 v16, 0x800, v15
	s_waitcnt lgkmcnt(4)
	v_fmac_f32_e32 v17, v11, v13
	v_fmac_f32_e32 v17, v12, v14
	ds_read2_b32 v[11:12], v0 offset1:32
	ds_read2_b32 v[13:14], v16 offset1:32
	s_waitcnt lgkmcnt(4)
	v_fmac_f32_e32 v17, v3, v5
	v_fmac_f32_e32 v17, v4, v6
	ds_read2_b32 v[3:4], v0 offset0:64 offset1:96
	ds_read2_b32 v[5:6], v16 offset0:64 offset1:96
	s_waitcnt lgkmcnt(4)
	v_fmac_f32_e32 v17, v7, v9
	v_fmac_f32_e32 v17, v8, v10
	ds_read2_b32 v[7:8], v0 offset0:128 offset1:160
	ds_read2_b32 v[9:10], v16 offset0:128 offset1:160
	;; [unrolled: 5-line block ×3, first 2 shown]
	v_add_nc_u32_e32 v0, 0x1c00, v2
	s_waitcnt lgkmcnt(4)
	v_fmac_f32_e32 v17, v3, v5
	v_fmac_f32_e32 v17, v4, v6
	ds_read2_b32 v[3:4], v0 offset1:32
	ds_read2_b32 v[5:6], v18 offset1:32
	s_waitcnt lgkmcnt(4)
	v_fmac_f32_e32 v17, v7, v9
	v_fmac_f32_e32 v17, v8, v10
	ds_read2_b32 v[7:8], v0 offset0:64 offset1:96
	ds_read2_b32 v[9:10], v18 offset0:64 offset1:96
	s_waitcnt lgkmcnt(4)
	v_fmac_f32_e32 v17, v11, v13
	v_fmac_f32_e32 v17, v12, v14
	ds_read2_b32 v[13:14], v0 offset0:128 offset1:160
	ds_read2_b32 v[15:16], v18 offset0:128 offset1:160
	v_mad_u64_u32 v[11:12], null, s22, v1, 0
	s_waitcnt lgkmcnt(4)
	v_fmac_f32_e32 v17, v3, v5
	v_fmac_f32_e32 v17, v4, v6
	ds_read2_b32 v[3:4], v0 offset0:192 offset1:224
	v_mov_b32_e32 v0, v12
	ds_read2_b32 v[5:6], v18 offset0:192 offset1:224
	s_waitcnt lgkmcnt(4)
	v_fmac_f32_e32 v17, v7, v9
	v_mad_u64_u32 v[0:1], null, s23, v1, v[0:1]
	v_fmac_f32_e32 v17, v8, v10
	v_mov_b32_e32 v12, v0
	s_waitcnt lgkmcnt(2)
	v_fmac_f32_e32 v17, v13, v15
	v_lshlrev_b64 v[0:1], 2, v[11:12]
	v_fmac_f32_e32 v17, v14, v16
	v_add_co_u32 v0, vcc_lo, s0, v0
	s_waitcnt lgkmcnt(0)
	v_fmac_f32_e32 v17, v3, v5
	v_add_co_ci_u32_e64 v1, null, s2, v1, vcc_lo
	v_add_co_u32 v0, vcc_lo, v0, v2
	v_fmac_f32_e32 v17, v4, v6
	v_add_co_ci_u32_e64 v1, null, 0, v1, vcc_lo
	v_mul_f32_e32 v3, s1, v17
	global_store_dword v[0:1], v3, off
.LBB35_15:
	s_endpgm
	.section	.rodata,"a",@progbits
	.p2align	6, 0x0
	.amdhsa_kernel _ZL23rocblas_trmm_rTx_kernelILi32ELb1EffKffEv13rocblas_fill_17rocblas_diagonal_iiT2_lPT3_llS5_llPT4_lli
		.amdhsa_group_segment_fixed_size 8192
		.amdhsa_private_segment_fixed_size 0
		.amdhsa_kernarg_size 108
		.amdhsa_user_sgpr_count 6
		.amdhsa_user_sgpr_private_segment_buffer 1
		.amdhsa_user_sgpr_dispatch_ptr 0
		.amdhsa_user_sgpr_queue_ptr 0
		.amdhsa_user_sgpr_kernarg_segment_ptr 1
		.amdhsa_user_sgpr_dispatch_id 0
		.amdhsa_user_sgpr_flat_scratch_init 0
		.amdhsa_user_sgpr_private_segment_size 0
		.amdhsa_wavefront_size32 1
		.amdhsa_uses_dynamic_stack 0
		.amdhsa_system_sgpr_private_segment_wavefront_offset 0
		.amdhsa_system_sgpr_workgroup_id_x 1
		.amdhsa_system_sgpr_workgroup_id_y 0
		.amdhsa_system_sgpr_workgroup_id_z 1
		.amdhsa_system_sgpr_workgroup_info 0
		.amdhsa_system_vgpr_workitem_id 1
		.amdhsa_next_free_vgpr 19
		.amdhsa_next_free_sgpr 28
		.amdhsa_reserve_vcc 1
		.amdhsa_reserve_flat_scratch 0
		.amdhsa_float_round_mode_32 0
		.amdhsa_float_round_mode_16_64 0
		.amdhsa_float_denorm_mode_32 3
		.amdhsa_float_denorm_mode_16_64 3
		.amdhsa_dx10_clamp 1
		.amdhsa_ieee_mode 1
		.amdhsa_fp16_overflow 0
		.amdhsa_workgroup_processor_mode 1
		.amdhsa_memory_ordered 1
		.amdhsa_forward_progress 1
		.amdhsa_shared_vgpr_count 0
		.amdhsa_exception_fp_ieee_invalid_op 0
		.amdhsa_exception_fp_denorm_src 0
		.amdhsa_exception_fp_ieee_div_zero 0
		.amdhsa_exception_fp_ieee_overflow 0
		.amdhsa_exception_fp_ieee_underflow 0
		.amdhsa_exception_fp_ieee_inexact 0
		.amdhsa_exception_int_div_zero 0
	.end_amdhsa_kernel
	.section	.text._ZL23rocblas_trmm_rTx_kernelILi32ELb1EffKffEv13rocblas_fill_17rocblas_diagonal_iiT2_lPT3_llS5_llPT4_lli,"axG",@progbits,_ZL23rocblas_trmm_rTx_kernelILi32ELb1EffKffEv13rocblas_fill_17rocblas_diagonal_iiT2_lPT3_llS5_llPT4_lli,comdat
.Lfunc_end35:
	.size	_ZL23rocblas_trmm_rTx_kernelILi32ELb1EffKffEv13rocblas_fill_17rocblas_diagonal_iiT2_lPT3_llS5_llPT4_lli, .Lfunc_end35-_ZL23rocblas_trmm_rTx_kernelILi32ELb1EffKffEv13rocblas_fill_17rocblas_diagonal_iiT2_lPT3_llS5_llPT4_lli
                                        ; -- End function
	.set _ZL23rocblas_trmm_rTx_kernelILi32ELb1EffKffEv13rocblas_fill_17rocblas_diagonal_iiT2_lPT3_llS5_llPT4_lli.num_vgpr, 19
	.set _ZL23rocblas_trmm_rTx_kernelILi32ELb1EffKffEv13rocblas_fill_17rocblas_diagonal_iiT2_lPT3_llS5_llPT4_lli.num_agpr, 0
	.set _ZL23rocblas_trmm_rTx_kernelILi32ELb1EffKffEv13rocblas_fill_17rocblas_diagonal_iiT2_lPT3_llS5_llPT4_lli.numbered_sgpr, 28
	.set _ZL23rocblas_trmm_rTx_kernelILi32ELb1EffKffEv13rocblas_fill_17rocblas_diagonal_iiT2_lPT3_llS5_llPT4_lli.num_named_barrier, 0
	.set _ZL23rocblas_trmm_rTx_kernelILi32ELb1EffKffEv13rocblas_fill_17rocblas_diagonal_iiT2_lPT3_llS5_llPT4_lli.private_seg_size, 0
	.set _ZL23rocblas_trmm_rTx_kernelILi32ELb1EffKffEv13rocblas_fill_17rocblas_diagonal_iiT2_lPT3_llS5_llPT4_lli.uses_vcc, 1
	.set _ZL23rocblas_trmm_rTx_kernelILi32ELb1EffKffEv13rocblas_fill_17rocblas_diagonal_iiT2_lPT3_llS5_llPT4_lli.uses_flat_scratch, 0
	.set _ZL23rocblas_trmm_rTx_kernelILi32ELb1EffKffEv13rocblas_fill_17rocblas_diagonal_iiT2_lPT3_llS5_llPT4_lli.has_dyn_sized_stack, 0
	.set _ZL23rocblas_trmm_rTx_kernelILi32ELb1EffKffEv13rocblas_fill_17rocblas_diagonal_iiT2_lPT3_llS5_llPT4_lli.has_recursion, 0
	.set _ZL23rocblas_trmm_rTx_kernelILi32ELb1EffKffEv13rocblas_fill_17rocblas_diagonal_iiT2_lPT3_llS5_llPT4_lli.has_indirect_call, 0
	.section	.AMDGPU.csdata,"",@progbits
; Kernel info:
; codeLenInByte = 1164
; TotalNumSgprs: 30
; NumVgprs: 19
; ScratchSize: 0
; MemoryBound: 0
; FloatMode: 240
; IeeeMode: 1
; LDSByteSize: 8192 bytes/workgroup (compile time only)
; SGPRBlocks: 0
; VGPRBlocks: 2
; NumSGPRsForWavesPerEU: 30
; NumVGPRsForWavesPerEU: 19
; Occupancy: 16
; WaveLimiterHint : 0
; COMPUTE_PGM_RSRC2:SCRATCH_EN: 0
; COMPUTE_PGM_RSRC2:USER_SGPR: 6
; COMPUTE_PGM_RSRC2:TRAP_HANDLER: 0
; COMPUTE_PGM_RSRC2:TGID_X_EN: 1
; COMPUTE_PGM_RSRC2:TGID_Y_EN: 0
; COMPUTE_PGM_RSRC2:TGID_Z_EN: 1
; COMPUTE_PGM_RSRC2:TIDIG_COMP_CNT: 1
	.section	.text._ZL30rocblas_trmm_outofplace_kernelIdLi32ELi2ELb1ELb0ELb0ELb0EPKdS0_dEv17rocblas_diagonal_iiT6_lPT7_lllS5_lllPT8_llli,"axG",@progbits,_ZL30rocblas_trmm_outofplace_kernelIdLi32ELi2ELb1ELb0ELb0ELb0EPKdS0_dEv17rocblas_diagonal_iiT6_lPT7_lllS5_lllPT8_llli,comdat
	.globl	_ZL30rocblas_trmm_outofplace_kernelIdLi32ELi2ELb1ELb0ELb0ELb0EPKdS0_dEv17rocblas_diagonal_iiT6_lPT7_lllS5_lllPT8_llli ; -- Begin function _ZL30rocblas_trmm_outofplace_kernelIdLi32ELi2ELb1ELb0ELb0ELb0EPKdS0_dEv17rocblas_diagonal_iiT6_lPT7_lllS5_lllPT8_llli
	.p2align	8
	.type	_ZL30rocblas_trmm_outofplace_kernelIdLi32ELi2ELb1ELb0ELb0ELb0EPKdS0_dEv17rocblas_diagonal_iiT6_lPT7_lllS5_lllPT8_llli,@function
_ZL30rocblas_trmm_outofplace_kernelIdLi32ELi2ELb1ELb0ELb0ELb0EPKdS0_dEv17rocblas_diagonal_iiT6_lPT7_lllS5_lllPT8_llli: ; @_ZL30rocblas_trmm_outofplace_kernelIdLi32ELi2ELb1ELb0ELb0ELb0EPKdS0_dEv17rocblas_diagonal_iiT6_lPT7_lllS5_lllPT8_llli
; %bb.0:
	s_load_dwordx16 s[12:27], s[4:5], 0x10
	s_waitcnt lgkmcnt(0)
	s_mul_i32 s0, s15, s8
	s_mul_hi_u32 s1, s14, s8
	s_add_i32 s1, s1, s0
	s_mul_i32 s0, s14, s8
	s_lshl_b64 s[0:1], s[0:1], 3
	s_add_u32 s0, s12, s0
	s_addc_u32 s1, s13, s1
	s_load_dwordx2 s[10:11], s[0:1], 0x0
	s_waitcnt lgkmcnt(0)
	v_cmp_eq_f64_e64 s0, s[10:11], 0
	s_and_b32 vcc_lo, exec_lo, s0
	s_cbranch_vccnz .LBB36_51
; %bb.1:
	s_load_dwordx4 s[12:15], s[4:5], 0x0
	s_waitcnt lgkmcnt(0)
	s_add_i32 s0, s14, -1
	s_ashr_i32 s1, s0, 31
	s_lshr_b32 s1, s1, 27
	s_add_i32 s0, s0, s1
	s_ashr_i32 s15, s0, 5
	s_cmp_gt_i32 s7, s15
	s_cbranch_scc1 .LBB36_51
; %bb.2:
	s_clause 0x1
	s_load_dwordx4 s[28:31], s[4:5], 0x70
	s_load_dwordx8 s[36:43], s[4:5], 0x50
	s_mul_i32 s1, s23, s8
	s_mul_hi_u32 s2, s22, s8
	s_mul_i32 s0, s22, s8
	s_add_i32 s1, s2, s1
	v_mad_u64_u32 v[5:6], null, s20, v1, 0
	s_lshl_b64 s[34:35], s[0:1], 3
	s_load_dword s33, s[4:5], 0x8c
	s_add_u32 s0, s16, s34
	s_addc_u32 s1, s17, s35
	s_lshl_b64 s[46:47], s[18:19], 3
	v_lshl_add_u32 v20, v1, 3, 0x80
	s_add_u32 s2, s0, s46
	s_addc_u32 s3, s1, s47
	v_mov_b32_e32 v2, v6
	v_lshlrev_b32_e32 v48, 3, v0
	s_mov_b32 s18, s13
	v_lshl_add_u32 v22, s7, 5, v1
	s_waitcnt lgkmcnt(0)
	s_mul_i32 s1, s31, s8
	s_mul_hi_u32 s4, s30, s8
	s_mul_i32 s0, s30, s8
	s_add_i32 s1, s4, s1
	v_mad_u64_u32 v[3:4], null, s21, v1, v[2:3]
	s_lshl_b64 s[0:1], s[0:1], 3
	v_mov_b32_e32 v2, 0
	s_add_u32 s4, s40, s0
	s_addc_u32 s5, s41, s1
	s_lshl_b64 s[0:1], s[42:43], 3
	v_mov_b32_e32 v52, 0x3ff00000
	s_add_u32 s40, s4, s0
	s_addc_u32 s41, s5, s1
	s_lshl_b32 s42, s6, 5
	s_cmp_gt_i32 s6, -1
	v_mov_b32_e32 v6, v3
	s_cselect_b32 s43, -1, 0
	s_cmpk_eq_i32 s12, 0x84
	v_add_nc_u32_e32 v4, s42, v0
	s_cselect_b32 s44, -1, 0
	s_ashr_i32 s19, s13, 31
	s_ashr_i32 s45, s14, 31
	s_lshl_b64 s[22:23], s[20:21], 8
	s_add_u32 s30, s13, -16
	s_addc_u32 s31, s19, -1
	s_add_u32 s4, s16, s46
	s_addc_u32 s5, s17, s47
	s_add_u32 s4, s4, s34
	s_addc_u32 s5, s5, s35
	v_lshlrev_b64 v[6:7], 3, v[5:6]
	v_mad_u64_u32 v[12:13], null, s20, v20, s[4:5]
	v_lshlrev_b32_e32 v3, 8, v1
	s_mul_i32 s4, s39, s8
	s_mul_hi_u32 s5, s38, s8
	v_ashrrev_i32_e32 v5, 31, v4
	v_add_co_u32 v6, vcc_lo, s2, v6
	v_add_nc_u32_e32 v49, v48, v3
	v_add_nc_u32_e32 v50, 0x2000, v3
	v_mov_b32_e32 v3, v13
	s_add_i32 s5, s5, s4
	s_mul_i32 s4, s38, s8
	v_add_co_ci_u32_e64 v7, null, s3, v7, vcc_lo
	v_add_co_u32 v8, vcc_lo, v4, 16
	s_lshl_b64 s[4:5], s[4:5], 3
	s_lshl_b64 s[8:9], s[26:27], 3
	v_add_co_ci_u32_e64 v9, null, 0, v5, vcc_lo
	v_add_nc_u32_e32 v23, 16, v4
	v_sub_co_u32 v10, vcc_lo, v4, v1
	s_add_u32 s4, s4, s8
	v_mad_u64_u32 v[20:21], null, s21, v20, v[3:4]
	s_addc_u32 s5, s5, s9
	v_subrev_co_ci_u32_e64 v11, null, 0, v5, vcc_lo
	s_add_u32 s4, s24, s4
	s_addc_u32 s5, s25, s5
	v_add_co_u32 v3, s4, s4, v48
	v_ashrrev_i32_e32 v24, 31, v23
	v_add_co_u32 v14, vcc_lo, v10, 16
	v_add_co_ci_u32_e64 v21, null, s5, 0, s4
	v_add_co_ci_u32_e64 v15, null, 0, v11, vcc_lo
	v_add_co_u32 v16, vcc_lo, v10, -16
	v_add_co_ci_u32_e64 v17, null, -1, v11, vcc_lo
	v_mov_b32_e32 v13, v20
	v_add_co_u32 v20, vcc_lo, 0x80, v3
	v_cmp_le_i64_e64 s1, s[18:19], v[8:9]
	v_lshlrev_b64 v[18:19], 3, v[4:5]
	v_lshlrev_b64 v[24:25], 3, v[23:24]
	v_add_nc_u32_e32 v51, v50, v48
	v_cmp_le_i32_e64 s0, s13, v4
	v_cmp_gt_i32_e64 s2, s13, v4
	v_cmp_gt_i32_e64 s3, s13, v23
	v_add_co_ci_u32_e64 v21, null, 0, v21, vcc_lo
	s_lshl_b64 s[12:13], s[36:37], 3
	s_lshl_b32 s20, s33, 5
	s_branch .LBB36_4
.LBB36_3:                               ;   in Loop: Header=BB36_4 Depth=1
	s_or_b32 exec_lo, exec_lo, s4
	v_add_nc_u32_e32 v22, s20, v22
	s_add_i32 s7, s33, s7
	s_cmp_le_i32 s7, s15
	s_cbranch_scc0 .LBB36_51
.LBB36_4:                               ; =>This Loop Header: Depth=1
                                        ;     Child Loop BB36_7 Depth 2
	v_lshl_add_u32 v53, s7, 5, v1
	v_mov_b32_e32 v40, 0
	v_mov_b32_e32 v38, 0
	;; [unrolled: 1-line block ×8, first 2 shown]
	v_ashrrev_i32_e32 v54, 31, v53
	s_andn2_b32 vcc_lo, exec_lo, s43
	s_cbranch_vccnz .LBB36_43
; %bb.5:                                ;   in Loop: Header=BB36_4 Depth=1
	v_ashrrev_i32_e32 v23, 31, v22
	v_mad_u64_u32 v[26:27], null, s12, v22, v[20:21]
	v_mul_lo_u32 v3, s13, v22
	v_mov_b32_e32 v34, 0
	v_lshlrev_b64 v[28:29], 3, v[22:23]
	v_mul_lo_u32 v23, s12, v23
	v_mov_b32_e32 v31, v7
	v_mov_b32_e32 v36, 0
	;; [unrolled: 1-line block ×4, first 2 shown]
	v_add_co_u32 v28, vcc_lo, 0x80, v28
	v_add_co_ci_u32_e64 v29, null, 0, v29, vcc_lo
	v_sub_co_u32 v32, vcc_lo, s14, v53
	v_mul_lo_u32 v39, s37, v28
	v_mul_lo_u32 v38, s36, v29
	v_mad_u64_u32 v[28:29], null, s36, v28, v[20:21]
	v_sub_co_ci_u32_e64 v33, null, s45, v54, vcc_lo
	v_mov_b32_e32 v30, v6
	v_mov_b32_e32 v37, 0
	v_add3_u32 v27, v3, v27, v23
	v_cmp_lt_i64_e32 vcc_lo, 0, v[32:33]
	v_cmp_lt_i64_e64 s4, 16, v[32:33]
	v_add3_u32 v29, v39, v29, v38
	v_mov_b32_e32 v38, 0
	v_mov_b32_e32 v33, v13
	;; [unrolled: 1-line block ×5, first 2 shown]
	s_mov_b64 s[16:17], 0
	s_branch .LBB36_7
.LBB36_6:                               ;   in Loop: Header=BB36_7 Depth=2
	s_or_b32 exec_lo, exec_lo, s5
	s_waitcnt lgkmcnt(0)
	s_barrier
	buffer_gl0_inv
	ds_read_b128 v[42:45], v50
	ds_read2_b64 v[55:58], v48 offset1:16
	ds_read_b128 v[59:62], v50 offset:4096
	ds_read_b128 v[63:66], v50 offset:16
	ds_read2_b64 v[67:70], v48 offset0:32 offset1:48
	ds_read_b128 v[71:74], v50 offset:4112
	v_add_nc_u32_e32 v3, 0x800, v48
	v_add_co_u32 v32, s5, v32, s22
	v_add_co_ci_u32_e64 v33, null, s23, v33, s5
	v_add_co_u32 v26, s5, 0x100, v26
	v_add_co_ci_u32_e64 v27, null, 0, v27, s5
	;; [unrolled: 2-line block ×3, first 2 shown]
	v_add_co_u32 v28, s5, 0x100, v28
	s_waitcnt lgkmcnt(4)
	v_fma_f64 v[40:41], v[55:56], v[42:43], v[40:41]
	v_fma_f64 v[38:39], v[57:58], v[42:43], v[38:39]
	s_waitcnt lgkmcnt(3)
	v_fma_f64 v[42:43], v[55:56], v[59:60], v[36:37]
	v_fma_f64 v[46:47], v[57:58], v[59:60], v[34:35]
	ds_read2_b64 v[34:37], v48 offset0:64 offset1:80
	s_add_u32 s16, s16, 32
	v_add_co_ci_u32_e64 v29, null, 0, v29, s5
	s_addc_u32 s17, s17, 0
	s_sub_i32 s6, s16, 32
	s_cmp_ge_i32 s6, s42
	s_waitcnt lgkmcnt(2)
	v_fma_f64 v[55:56], v[67:68], v[44:45], v[40:41]
	v_fma_f64 v[44:45], v[69:70], v[44:45], v[38:39]
	;; [unrolled: 1-line block ×4, first 2 shown]
	ds_read2_b64 v[38:41], v48 offset0:96 offset1:112
	s_waitcnt lgkmcnt(1)
	v_fma_f64 v[55:56], v[34:35], v[63:64], v[55:56]
	v_fma_f64 v[57:58], v[36:37], v[63:64], v[44:45]
	;; [unrolled: 1-line block ×4, first 2 shown]
	ds_read_b128 v[34:37], v50 offset:32
	ds_read2_b64 v[42:45], v48 offset0:128 offset1:144
	s_waitcnt lgkmcnt(2)
	v_fma_f64 v[67:68], v[38:39], v[65:66], v[55:56]
	v_fma_f64 v[69:70], v[40:41], v[65:66], v[57:58]
	;; [unrolled: 1-line block ×4, first 2 shown]
	ds_read_b128 v[38:41], v50 offset:4128
	ds_read_b128 v[55:58], v50 offset:48
	ds_read2_b64 v[59:62], v48 offset0:160 offset1:176
	ds_read_b128 v[63:66], v50 offset:4144
	s_waitcnt lgkmcnt(4)
	v_fma_f64 v[67:68], v[42:43], v[34:35], v[67:68]
	v_fma_f64 v[34:35], v[44:45], v[34:35], v[69:70]
	s_waitcnt lgkmcnt(3)
	v_fma_f64 v[69:70], v[42:43], v[38:39], v[71:72]
	v_fma_f64 v[38:39], v[44:45], v[38:39], v[46:47]
	ds_read2_b64 v[42:45], v48 offset0:192 offset1:208
	s_waitcnt lgkmcnt(2)
	v_fma_f64 v[46:47], v[59:60], v[36:37], v[67:68]
	v_fma_f64 v[67:68], v[61:62], v[36:37], v[34:35]
	;; [unrolled: 1-line block ×4, first 2 shown]
	ds_read2_b64 v[34:37], v48 offset0:224 offset1:240
	s_waitcnt lgkmcnt(1)
	v_fma_f64 v[46:47], v[42:43], v[55:56], v[46:47]
	v_fma_f64 v[55:56], v[44:45], v[55:56], v[67:68]
	;; [unrolled: 1-line block ×4, first 2 shown]
	ds_read_b128 v[38:41], v50 offset:64
	ds_read2_b64 v[42:45], v3 offset1:16
	s_waitcnt lgkmcnt(2)
	v_fma_f64 v[46:47], v[34:35], v[57:58], v[46:47]
	v_fma_f64 v[67:68], v[36:37], v[57:58], v[55:56]
	;; [unrolled: 1-line block ×4, first 2 shown]
	ds_read_b128 v[34:37], v50 offset:4160
	ds_read_b128 v[55:58], v50 offset:80
	;; [unrolled: 1-line block ×3, first 2 shown]
	ds_read2_b64 v[63:66], v3 offset0:32 offset1:48
	s_waitcnt lgkmcnt(4)
	v_fma_f64 v[46:47], v[42:43], v[38:39], v[46:47]
	v_fma_f64 v[38:39], v[44:45], v[38:39], v[67:68]
	s_waitcnt lgkmcnt(3)
	v_fma_f64 v[67:68], v[42:43], v[34:35], v[69:70]
	v_fma_f64 v[34:35], v[44:45], v[34:35], v[71:72]
	ds_read2_b64 v[42:45], v3 offset0:64 offset1:80
	s_waitcnt lgkmcnt(1)
	v_fma_f64 v[46:47], v[63:64], v[40:41], v[46:47]
	v_fma_f64 v[38:39], v[65:66], v[40:41], v[38:39]
	;; [unrolled: 1-line block ×4, first 2 shown]
	ds_read2_b64 v[34:37], v3 offset0:96 offset1:112
	s_waitcnt lgkmcnt(1)
	v_fma_f64 v[46:47], v[42:43], v[55:56], v[46:47]
	v_fma_f64 v[55:56], v[44:45], v[55:56], v[38:39]
	;; [unrolled: 1-line block ×4, first 2 shown]
	ds_read_b128 v[38:41], v50 offset:96
	ds_read2_b64 v[42:45], v3 offset0:128 offset1:144
	s_waitcnt lgkmcnt(2)
	v_fma_f64 v[46:47], v[34:35], v[57:58], v[46:47]
	v_fma_f64 v[67:68], v[36:37], v[57:58], v[55:56]
	;; [unrolled: 1-line block ×4, first 2 shown]
	ds_read_b128 v[34:37], v50 offset:4192
	ds_read_b128 v[55:58], v50 offset:112
	;; [unrolled: 1-line block ×3, first 2 shown]
	ds_read2_b64 v[63:66], v3 offset0:160 offset1:176
	s_waitcnt lgkmcnt(4)
	v_fma_f64 v[46:47], v[42:43], v[38:39], v[46:47]
	v_fma_f64 v[38:39], v[44:45], v[38:39], v[67:68]
	s_waitcnt lgkmcnt(3)
	v_fma_f64 v[67:68], v[42:43], v[34:35], v[69:70]
	v_fma_f64 v[34:35], v[44:45], v[34:35], v[71:72]
	ds_read2_b64 v[42:45], v3 offset0:192 offset1:208
	s_waitcnt lgkmcnt(1)
	v_fma_f64 v[46:47], v[63:64], v[40:41], v[46:47]
	v_fma_f64 v[38:39], v[65:66], v[40:41], v[38:39]
	;; [unrolled: 1-line block ×4, first 2 shown]
	ds_read2_b64 v[34:37], v3 offset0:224 offset1:240
	v_add_nc_u32_e32 v3, 0x1000, v48
	s_waitcnt lgkmcnt(1)
	v_fma_f64 v[46:47], v[42:43], v[55:56], v[46:47]
	v_fma_f64 v[55:56], v[44:45], v[55:56], v[38:39]
	;; [unrolled: 1-line block ×4, first 2 shown]
	ds_read_b128 v[38:41], v50 offset:128
	ds_read2_b64 v[42:45], v3 offset1:16
	s_waitcnt lgkmcnt(2)
	v_fma_f64 v[46:47], v[34:35], v[57:58], v[46:47]
	v_fma_f64 v[67:68], v[36:37], v[57:58], v[55:56]
	;; [unrolled: 1-line block ×4, first 2 shown]
	ds_read_b128 v[34:37], v50 offset:4224
	ds_read_b128 v[55:58], v50 offset:144
	ds_read_b128 v[59:62], v50 offset:4240
	ds_read2_b64 v[63:66], v3 offset0:32 offset1:48
	s_waitcnt lgkmcnt(4)
	v_fma_f64 v[46:47], v[42:43], v[38:39], v[46:47]
	v_fma_f64 v[38:39], v[44:45], v[38:39], v[67:68]
	s_waitcnt lgkmcnt(3)
	v_fma_f64 v[67:68], v[42:43], v[34:35], v[69:70]
	v_fma_f64 v[34:35], v[44:45], v[34:35], v[71:72]
	ds_read2_b64 v[42:45], v3 offset0:64 offset1:80
	s_waitcnt lgkmcnt(1)
	v_fma_f64 v[46:47], v[63:64], v[40:41], v[46:47]
	v_fma_f64 v[38:39], v[65:66], v[40:41], v[38:39]
	;; [unrolled: 1-line block ×4, first 2 shown]
	ds_read2_b64 v[34:37], v3 offset0:96 offset1:112
	s_waitcnt lgkmcnt(1)
	v_fma_f64 v[46:47], v[42:43], v[55:56], v[46:47]
	v_fma_f64 v[55:56], v[44:45], v[55:56], v[38:39]
	;; [unrolled: 1-line block ×4, first 2 shown]
	ds_read_b128 v[38:41], v50 offset:160
	ds_read2_b64 v[42:45], v3 offset0:128 offset1:144
	s_waitcnt lgkmcnt(2)
	v_fma_f64 v[46:47], v[34:35], v[57:58], v[46:47]
	v_fma_f64 v[67:68], v[36:37], v[57:58], v[55:56]
	;; [unrolled: 1-line block ×4, first 2 shown]
	ds_read_b128 v[34:37], v50 offset:4256
	ds_read_b128 v[55:58], v50 offset:176
	;; [unrolled: 1-line block ×3, first 2 shown]
	ds_read2_b64 v[63:66], v3 offset0:160 offset1:176
	s_waitcnt lgkmcnt(4)
	v_fma_f64 v[46:47], v[42:43], v[38:39], v[46:47]
	v_fma_f64 v[38:39], v[44:45], v[38:39], v[67:68]
	s_waitcnt lgkmcnt(3)
	v_fma_f64 v[67:68], v[42:43], v[34:35], v[69:70]
	v_fma_f64 v[34:35], v[44:45], v[34:35], v[71:72]
	ds_read2_b64 v[42:45], v3 offset0:192 offset1:208
	s_waitcnt lgkmcnt(1)
	v_fma_f64 v[46:47], v[63:64], v[40:41], v[46:47]
	v_fma_f64 v[38:39], v[65:66], v[40:41], v[38:39]
	;; [unrolled: 1-line block ×4, first 2 shown]
	ds_read2_b64 v[34:37], v3 offset0:224 offset1:240
	v_add_nc_u32_e32 v3, 0x1800, v48
	s_waitcnt lgkmcnt(1)
	v_fma_f64 v[46:47], v[42:43], v[55:56], v[46:47]
	v_fma_f64 v[55:56], v[44:45], v[55:56], v[38:39]
	;; [unrolled: 1-line block ×4, first 2 shown]
	ds_read_b128 v[38:41], v50 offset:192
	ds_read2_b64 v[42:45], v3 offset1:16
	s_waitcnt lgkmcnt(2)
	v_fma_f64 v[46:47], v[34:35], v[57:58], v[46:47]
	v_fma_f64 v[67:68], v[36:37], v[57:58], v[55:56]
	;; [unrolled: 1-line block ×4, first 2 shown]
	ds_read_b128 v[34:37], v50 offset:4288
	ds_read_b128 v[55:58], v50 offset:208
	;; [unrolled: 1-line block ×3, first 2 shown]
	ds_read2_b64 v[63:66], v3 offset0:32 offset1:48
	s_waitcnt lgkmcnt(4)
	v_fma_f64 v[46:47], v[42:43], v[38:39], v[46:47]
	v_fma_f64 v[38:39], v[44:45], v[38:39], v[67:68]
	s_waitcnt lgkmcnt(3)
	v_fma_f64 v[67:68], v[42:43], v[34:35], v[69:70]
	v_fma_f64 v[34:35], v[44:45], v[34:35], v[71:72]
	ds_read2_b64 v[42:45], v3 offset0:64 offset1:80
	s_waitcnt lgkmcnt(1)
	v_fma_f64 v[46:47], v[63:64], v[40:41], v[46:47]
	v_fma_f64 v[38:39], v[65:66], v[40:41], v[38:39]
	;; [unrolled: 1-line block ×4, first 2 shown]
	ds_read2_b64 v[34:37], v3 offset0:96 offset1:112
	s_waitcnt lgkmcnt(1)
	v_fma_f64 v[46:47], v[42:43], v[55:56], v[46:47]
	v_fma_f64 v[55:56], v[44:45], v[55:56], v[38:39]
	;; [unrolled: 1-line block ×4, first 2 shown]
	ds_read_b128 v[38:41], v50 offset:224
	ds_read2_b64 v[42:45], v3 offset0:128 offset1:144
	s_waitcnt lgkmcnt(2)
	v_fma_f64 v[46:47], v[34:35], v[57:58], v[46:47]
	v_fma_f64 v[67:68], v[36:37], v[57:58], v[55:56]
	;; [unrolled: 1-line block ×4, first 2 shown]
	ds_read_b128 v[34:37], v50 offset:4320
	ds_read_b128 v[55:58], v50 offset:240
	;; [unrolled: 1-line block ×3, first 2 shown]
	ds_read2_b64 v[63:66], v3 offset0:160 offset1:176
	s_waitcnt lgkmcnt(4)
	v_fma_f64 v[46:47], v[42:43], v[38:39], v[46:47]
	v_fma_f64 v[38:39], v[44:45], v[38:39], v[67:68]
	s_waitcnt lgkmcnt(3)
	v_fma_f64 v[67:68], v[42:43], v[34:35], v[69:70]
	v_fma_f64 v[34:35], v[44:45], v[34:35], v[71:72]
	ds_read2_b64 v[42:45], v3 offset0:192 offset1:208
	s_waitcnt lgkmcnt(1)
	v_fma_f64 v[46:47], v[63:64], v[40:41], v[46:47]
	v_fma_f64 v[38:39], v[65:66], v[40:41], v[38:39]
	;; [unrolled: 1-line block ×4, first 2 shown]
	ds_read2_b64 v[63:66], v3 offset0:224 offset1:240
	s_waitcnt lgkmcnt(0)
	s_barrier
	buffer_gl0_inv
	v_fma_f64 v[36:37], v[42:43], v[55:56], v[46:47]
	v_fma_f64 v[38:39], v[44:45], v[55:56], v[38:39]
	;; [unrolled: 1-line block ×8, first 2 shown]
	s_cbranch_scc1 .LBB36_43
.LBB36_7:                               ;   Parent Loop BB36_4 Depth=1
                                        ; =>  This Inner Loop Header: Depth=2
	v_add_co_u32 v42, s5, v1, s16
	v_add_co_ci_u32_e64 v43, null, 0, s17, s5
	v_cmp_eq_u64_e64 s8, s[16:17], v[10:11]
                                        ; implicit-def: $vgpr46_vgpr47
	v_cmp_le_i64_e64 s6, s[18:19], v[42:43]
	v_cmp_gt_i64_e64 s5, v[42:43], v[4:5]
	s_and_b32 s21, s44, s8
	v_add_co_u32 v44, s8, v30, v18
	v_add_co_ci_u32_e64 v45, null, v31, v19, s8
	s_or_b32 s9, s6, s5
	s_or_b32 s8, s9, s21
	s_nor_b32 s8, s0, s8
	s_and_saveexec_b32 s9, s8
	s_xor_b32 s8, exec_lo, s9
	s_cbranch_execz .LBB36_9
; %bb.8:                                ;   in Loop: Header=BB36_7 Depth=2
	global_load_dwordx2 v[46:47], v[44:45], off
.LBB36_9:                               ;   in Loop: Header=BB36_7 Depth=2
	s_andn2_saveexec_b32 s8, s8
	s_cbranch_execz .LBB36_11
; %bb.10:                               ;   in Loop: Header=BB36_7 Depth=2
	v_cndmask_b32_e64 v3, 0, 0x3ff00000, s21
	s_waitcnt vmcnt(0)
	v_mov_b32_e32 v47, v3
	v_mov_b32_e32 v46, v2
.LBB36_11:                              ;   in Loop: Header=BB36_7 Depth=2
	s_or_b32 exec_lo, exec_lo, s8
	v_cmp_eq_u64_e64 s8, s[16:17], v[14:15]
	v_cmp_lt_i64_e64 s9, v[8:9], v[42:43]
	s_waitcnt vmcnt(0)
	ds_write_b64 v49, v[46:47]
	s_and_b32 s8, s44, s8
	s_or_b32 s6, s6, s9
	s_or_b32 s6, s6, s8
	s_nor_b32 s6, s1, s6
	s_and_saveexec_b32 s9, s6
	s_xor_b32 s6, exec_lo, s9
	s_cbranch_execz .LBB36_13
; %bb.12:                               ;   in Loop: Header=BB36_7 Depth=2
	global_load_dwordx2 v[44:45], v[44:45], off offset:128
	s_waitcnt vmcnt(0)
	ds_write_b64 v49, v[44:45] offset:128
.LBB36_13:                              ;   in Loop: Header=BB36_7 Depth=2
	s_andn2_saveexec_b32 s6, s6
	s_cbranch_execz .LBB36_19
; %bb.14:                               ;   in Loop: Header=BB36_7 Depth=2
	s_xor_b32 s8, s8, -1
	s_and_saveexec_b32 s9, s8
	s_xor_b32 s8, exec_lo, s9
; %bb.15:                               ;   in Loop: Header=BB36_7 Depth=2
	v_mov_b32_e32 v3, v2
	ds_write_b64 v49, v[2:3] offset:128
; %bb.16:                               ;   in Loop: Header=BB36_7 Depth=2
	s_andn2_saveexec_b32 s8, s8
; %bb.17:                               ;   in Loop: Header=BB36_7 Depth=2
	v_mov_b32_e32 v3, v52
	ds_write_b64 v49, v[2:3] offset:128
; %bb.18:                               ;   in Loop: Header=BB36_7 Depth=2
	s_or_b32 exec_lo, exec_lo, s8
.LBB36_19:                              ;   in Loop: Header=BB36_7 Depth=2
	s_or_b32 exec_lo, exec_lo, s6
	v_add_co_u32 v42, s6, v42, 16
	v_add_co_ci_u32_e64 v43, null, 0, v43, s6
	v_cmp_eq_u64_e64 s8, s[16:17], v[16:17]
                                        ; implicit-def: $vgpr44_vgpr45
	v_cmp_le_i64_e64 s6, s[18:19], v[42:43]
	v_cmp_gt_i64_e64 s9, v[42:43], v[4:5]
	s_and_b32 s24, s44, s8
	v_add_co_u32 v42, s8, v32, v18
	v_add_co_ci_u32_e64 v43, null, v33, v19, s8
	s_or_b32 s9, s6, s9
	s_or_b32 s8, s9, s24
	s_nor_b32 s8, s0, s8
	s_and_saveexec_b32 s9, s8
	s_xor_b32 s8, exec_lo, s9
	s_cbranch_execz .LBB36_21
; %bb.20:                               ;   in Loop: Header=BB36_7 Depth=2
	global_load_dwordx2 v[44:45], v[42:43], off
.LBB36_21:                              ;   in Loop: Header=BB36_7 Depth=2
	s_andn2_saveexec_b32 s8, s8
	s_cbranch_execz .LBB36_23
; %bb.22:                               ;   in Loop: Header=BB36_7 Depth=2
	v_cndmask_b32_e64 v3, 0, 0x3ff00000, s24
	s_waitcnt vmcnt(0)
	v_mov_b32_e32 v45, v3
	v_mov_b32_e32 v44, v2
.LBB36_23:                              ;   in Loop: Header=BB36_7 Depth=2
	s_or_b32 exec_lo, exec_lo, s8
	s_or_b32 s5, s6, s5
	s_waitcnt vmcnt(0)
	ds_write_b64 v49, v[44:45] offset:4096
	s_or_b32 s5, s5, s21
	s_nor_b32 s5, s1, s5
	s_and_saveexec_b32 s6, s5
	s_xor_b32 s5, exec_lo, s6
	s_cbranch_execz .LBB36_25
; %bb.24:                               ;   in Loop: Header=BB36_7 Depth=2
	global_load_dwordx2 v[42:43], v[42:43], off offset:128
	s_waitcnt vmcnt(0)
	ds_write_b64 v49, v[42:43] offset:4224
.LBB36_25:                              ;   in Loop: Header=BB36_7 Depth=2
	s_andn2_saveexec_b32 s5, s5
	s_cbranch_execz .LBB36_31
; %bb.26:                               ;   in Loop: Header=BB36_7 Depth=2
	s_xor_b32 s6, s21, -1
	s_and_saveexec_b32 s8, s6
	s_xor_b32 s6, exec_lo, s8
; %bb.27:                               ;   in Loop: Header=BB36_7 Depth=2
	v_mov_b32_e32 v3, v2
	ds_write_b64 v49, v[2:3] offset:4224
; %bb.28:                               ;   in Loop: Header=BB36_7 Depth=2
	s_andn2_saveexec_b32 s6, s6
; %bb.29:                               ;   in Loop: Header=BB36_7 Depth=2
	v_mov_b32_e32 v3, v52
	ds_write_b64 v49, v[2:3] offset:4224
; %bb.30:                               ;   in Loop: Header=BB36_7 Depth=2
	s_or_b32 exec_lo, exec_lo, s6
.LBB36_31:                              ;   in Loop: Header=BB36_7 Depth=2
	s_or_b32 exec_lo, exec_lo, s5
	v_add_co_u32 v42, s5, v0, s16
	v_add_co_ci_u32_e64 v43, null, 0, s17, s5
	v_mov_b32_e32 v44, 0
	v_mov_b32_e32 v45, 0
	v_cmp_gt_i64_e64 s5, s[18:19], v[42:43]
	s_and_b32 s8, vcc_lo, s5
	s_and_saveexec_b32 s6, s8
	s_cbranch_execz .LBB36_33
; %bb.32:                               ;   in Loop: Header=BB36_7 Depth=2
	global_load_dwordx2 v[44:45], v[26:27], off offset:-128
.LBB36_33:                              ;   in Loop: Header=BB36_7 Depth=2
	s_or_b32 exec_lo, exec_lo, s6
	v_cmp_gt_i64_e64 s6, s[30:31], v[42:43]
	s_waitcnt vmcnt(0)
	ds_write_b64 v51, v[44:45]
	s_and_b32 s8, vcc_lo, s6
	s_xor_b32 s8, s8, -1
	s_and_saveexec_b32 s9, s8
	s_xor_b32 s8, exec_lo, s9
; %bb.34:                               ;   in Loop: Header=BB36_7 Depth=2
	v_mov_b32_e32 v3, v2
	ds_write_b64 v51, v[2:3] offset:128
; %bb.35:                               ;   in Loop: Header=BB36_7 Depth=2
	s_andn2_saveexec_b32 s8, s8
	s_cbranch_execz .LBB36_37
; %bb.36:                               ;   in Loop: Header=BB36_7 Depth=2
	global_load_dwordx2 v[42:43], v[26:27], off
	s_waitcnt vmcnt(0)
	ds_write_b64 v51, v[42:43] offset:128
.LBB36_37:                              ;   in Loop: Header=BB36_7 Depth=2
	s_or_b32 exec_lo, exec_lo, s8
	v_mov_b32_e32 v42, 0
	v_mov_b32_e32 v43, 0
	s_and_b32 s8, s4, s5
	s_and_saveexec_b32 s5, s8
	s_cbranch_execz .LBB36_39
; %bb.38:                               ;   in Loop: Header=BB36_7 Depth=2
	global_load_dwordx2 v[42:43], v[28:29], off offset:-128
.LBB36_39:                              ;   in Loop: Header=BB36_7 Depth=2
	s_or_b32 exec_lo, exec_lo, s5
	s_and_b32 s5, s4, s6
	s_waitcnt vmcnt(0)
	ds_write_b64 v51, v[42:43] offset:4096
	s_xor_b32 s5, s5, -1
	s_and_saveexec_b32 s6, s5
	s_xor_b32 s5, exec_lo, s6
; %bb.40:                               ;   in Loop: Header=BB36_7 Depth=2
	v_mov_b32_e32 v3, v2
	ds_write_b64 v51, v[2:3] offset:4224
; %bb.41:                               ;   in Loop: Header=BB36_7 Depth=2
	s_andn2_saveexec_b32 s5, s5
	s_cbranch_execz .LBB36_6
; %bb.42:                               ;   in Loop: Header=BB36_7 Depth=2
	global_load_dwordx2 v[42:43], v[28:29], off
	s_waitcnt vmcnt(0)
	ds_write_b64 v51, v[42:43] offset:4224
	s_branch .LBB36_6
.LBB36_43:                              ;   in Loop: Header=BB36_4 Depth=1
	v_mul_lo_u32 v3, s29, v53
	v_mul_lo_u32 v23, s28, v54
	v_mad_u64_u32 v[26:27], null, s28, v53, 0
	v_cmp_gt_i32_e32 vcc_lo, s14, v53
	v_add3_u32 v27, v27, v23, v3
	v_lshlrev_b64 v[26:27], 3, v[26:27]
	v_add_co_u32 v3, s4, s40, v26
	v_add_co_ci_u32_e64 v23, null, s41, v27, s4
	s_and_b32 s4, s2, vcc_lo
	s_and_saveexec_b32 s5, s4
	s_cbranch_execz .LBB36_45
; %bb.44:                               ;   in Loop: Header=BB36_4 Depth=1
	v_add_co_u32 v26, s4, v3, v18
	v_add_co_ci_u32_e64 v27, null, v23, v19, s4
	global_load_dwordx2 v[28:29], v[26:27], off
	s_waitcnt vmcnt(0)
	v_fma_f64 v[28:29], s[10:11], v[40:41], v[28:29]
	global_store_dwordx2 v[26:27], v[28:29], off
.LBB36_45:                              ;   in Loop: Header=BB36_4 Depth=1
	s_or_b32 exec_lo, exec_lo, s5
	s_and_b32 s5, s3, vcc_lo
	s_and_saveexec_b32 s4, s5
	s_cbranch_execz .LBB36_47
; %bb.46:                               ;   in Loop: Header=BB36_4 Depth=1
	v_add_co_u32 v26, vcc_lo, v3, v24
	v_add_co_ci_u32_e64 v27, null, v23, v25, vcc_lo
	global_load_dwordx2 v[28:29], v[26:27], off
	s_waitcnt vmcnt(0)
	v_fma_f64 v[28:29], s[10:11], v[38:39], v[28:29]
	global_store_dwordx2 v[26:27], v[28:29], off
.LBB36_47:                              ;   in Loop: Header=BB36_4 Depth=1
	s_or_b32 exec_lo, exec_lo, s4
	v_add_nc_u32_e32 v3, 16, v53
	v_ashrrev_i32_e32 v23, 31, v3
	v_mul_lo_u32 v28, s29, v3
	v_mad_u64_u32 v[26:27], null, s28, v3, 0
	v_cmp_gt_i32_e32 vcc_lo, s14, v3
	v_mul_lo_u32 v23, s28, v23
	v_add3_u32 v27, v27, v23, v28
	v_lshlrev_b64 v[26:27], 3, v[26:27]
	v_add_co_u32 v3, s4, s40, v26
	v_add_co_ci_u32_e64 v23, null, s41, v27, s4
	s_and_b32 s4, s2, vcc_lo
	s_and_saveexec_b32 s5, s4
	s_cbranch_execz .LBB36_49
; %bb.48:                               ;   in Loop: Header=BB36_4 Depth=1
	v_add_co_u32 v26, s4, v3, v18
	v_add_co_ci_u32_e64 v27, null, v23, v19, s4
	global_load_dwordx2 v[28:29], v[26:27], off
	s_waitcnt vmcnt(0)
	v_fma_f64 v[28:29], s[10:11], v[36:37], v[28:29]
	global_store_dwordx2 v[26:27], v[28:29], off
.LBB36_49:                              ;   in Loop: Header=BB36_4 Depth=1
	s_or_b32 exec_lo, exec_lo, s5
	s_and_b32 s5, s3, vcc_lo
	s_and_saveexec_b32 s4, s5
	s_cbranch_execz .LBB36_3
; %bb.50:                               ;   in Loop: Header=BB36_4 Depth=1
	v_add_co_u32 v26, vcc_lo, v3, v24
	v_add_co_ci_u32_e64 v27, null, v23, v25, vcc_lo
	global_load_dwordx2 v[28:29], v[26:27], off
	s_waitcnt vmcnt(0)
	v_fma_f64 v[28:29], s[10:11], v[34:35], v[28:29]
	global_store_dwordx2 v[26:27], v[28:29], off
	s_branch .LBB36_3
.LBB36_51:
	s_endpgm
	.section	.rodata,"a",@progbits
	.p2align	6, 0x0
	.amdhsa_kernel _ZL30rocblas_trmm_outofplace_kernelIdLi32ELi2ELb1ELb0ELb0ELb0EPKdS0_dEv17rocblas_diagonal_iiT6_lPT7_lllS5_lllPT8_llli
		.amdhsa_group_segment_fixed_size 16384
		.amdhsa_private_segment_fixed_size 0
		.amdhsa_kernarg_size 392
		.amdhsa_user_sgpr_count 6
		.amdhsa_user_sgpr_private_segment_buffer 1
		.amdhsa_user_sgpr_dispatch_ptr 0
		.amdhsa_user_sgpr_queue_ptr 0
		.amdhsa_user_sgpr_kernarg_segment_ptr 1
		.amdhsa_user_sgpr_dispatch_id 0
		.amdhsa_user_sgpr_flat_scratch_init 0
		.amdhsa_user_sgpr_private_segment_size 0
		.amdhsa_wavefront_size32 1
		.amdhsa_uses_dynamic_stack 0
		.amdhsa_system_sgpr_private_segment_wavefront_offset 0
		.amdhsa_system_sgpr_workgroup_id_x 1
		.amdhsa_system_sgpr_workgroup_id_y 1
		.amdhsa_system_sgpr_workgroup_id_z 1
		.amdhsa_system_sgpr_workgroup_info 0
		.amdhsa_system_vgpr_workitem_id 1
		.amdhsa_next_free_vgpr 75
		.amdhsa_next_free_sgpr 48
		.amdhsa_reserve_vcc 1
		.amdhsa_reserve_flat_scratch 0
		.amdhsa_float_round_mode_32 0
		.amdhsa_float_round_mode_16_64 0
		.amdhsa_float_denorm_mode_32 3
		.amdhsa_float_denorm_mode_16_64 3
		.amdhsa_dx10_clamp 1
		.amdhsa_ieee_mode 1
		.amdhsa_fp16_overflow 0
		.amdhsa_workgroup_processor_mode 1
		.amdhsa_memory_ordered 1
		.amdhsa_forward_progress 1
		.amdhsa_shared_vgpr_count 0
		.amdhsa_exception_fp_ieee_invalid_op 0
		.amdhsa_exception_fp_denorm_src 0
		.amdhsa_exception_fp_ieee_div_zero 0
		.amdhsa_exception_fp_ieee_overflow 0
		.amdhsa_exception_fp_ieee_underflow 0
		.amdhsa_exception_fp_ieee_inexact 0
		.amdhsa_exception_int_div_zero 0
	.end_amdhsa_kernel
	.section	.text._ZL30rocblas_trmm_outofplace_kernelIdLi32ELi2ELb1ELb0ELb0ELb0EPKdS0_dEv17rocblas_diagonal_iiT6_lPT7_lllS5_lllPT8_llli,"axG",@progbits,_ZL30rocblas_trmm_outofplace_kernelIdLi32ELi2ELb1ELb0ELb0ELb0EPKdS0_dEv17rocblas_diagonal_iiT6_lPT7_lllS5_lllPT8_llli,comdat
.Lfunc_end36:
	.size	_ZL30rocblas_trmm_outofplace_kernelIdLi32ELi2ELb1ELb0ELb0ELb0EPKdS0_dEv17rocblas_diagonal_iiT6_lPT7_lllS5_lllPT8_llli, .Lfunc_end36-_ZL30rocblas_trmm_outofplace_kernelIdLi32ELi2ELb1ELb0ELb0ELb0EPKdS0_dEv17rocblas_diagonal_iiT6_lPT7_lllS5_lllPT8_llli
                                        ; -- End function
	.set _ZL30rocblas_trmm_outofplace_kernelIdLi32ELi2ELb1ELb0ELb0ELb0EPKdS0_dEv17rocblas_diagonal_iiT6_lPT7_lllS5_lllPT8_llli.num_vgpr, 75
	.set _ZL30rocblas_trmm_outofplace_kernelIdLi32ELi2ELb1ELb0ELb0ELb0EPKdS0_dEv17rocblas_diagonal_iiT6_lPT7_lllS5_lllPT8_llli.num_agpr, 0
	.set _ZL30rocblas_trmm_outofplace_kernelIdLi32ELi2ELb1ELb0ELb0ELb0EPKdS0_dEv17rocblas_diagonal_iiT6_lPT7_lllS5_lllPT8_llli.numbered_sgpr, 48
	.set _ZL30rocblas_trmm_outofplace_kernelIdLi32ELi2ELb1ELb0ELb0ELb0EPKdS0_dEv17rocblas_diagonal_iiT6_lPT7_lllS5_lllPT8_llli.num_named_barrier, 0
	.set _ZL30rocblas_trmm_outofplace_kernelIdLi32ELi2ELb1ELb0ELb0ELb0EPKdS0_dEv17rocblas_diagonal_iiT6_lPT7_lllS5_lllPT8_llli.private_seg_size, 0
	.set _ZL30rocblas_trmm_outofplace_kernelIdLi32ELi2ELb1ELb0ELb0ELb0EPKdS0_dEv17rocblas_diagonal_iiT6_lPT7_lllS5_lllPT8_llli.uses_vcc, 1
	.set _ZL30rocblas_trmm_outofplace_kernelIdLi32ELi2ELb1ELb0ELb0ELb0EPKdS0_dEv17rocblas_diagonal_iiT6_lPT7_lllS5_lllPT8_llli.uses_flat_scratch, 0
	.set _ZL30rocblas_trmm_outofplace_kernelIdLi32ELi2ELb1ELb0ELb0ELb0EPKdS0_dEv17rocblas_diagonal_iiT6_lPT7_lllS5_lllPT8_llli.has_dyn_sized_stack, 0
	.set _ZL30rocblas_trmm_outofplace_kernelIdLi32ELi2ELb1ELb0ELb0ELb0EPKdS0_dEv17rocblas_diagonal_iiT6_lPT7_lllS5_lllPT8_llli.has_recursion, 0
	.set _ZL30rocblas_trmm_outofplace_kernelIdLi32ELi2ELb1ELb0ELb0ELb0EPKdS0_dEv17rocblas_diagonal_iiT6_lPT7_lllS5_lllPT8_llli.has_indirect_call, 0
	.section	.AMDGPU.csdata,"",@progbits
; Kernel info:
; codeLenInByte = 3828
; TotalNumSgprs: 50
; NumVgprs: 75
; ScratchSize: 0
; MemoryBound: 0
; FloatMode: 240
; IeeeMode: 1
; LDSByteSize: 16384 bytes/workgroup (compile time only)
; SGPRBlocks: 0
; VGPRBlocks: 9
; NumSGPRsForWavesPerEU: 50
; NumVGPRsForWavesPerEU: 75
; Occupancy: 12
; WaveLimiterHint : 0
; COMPUTE_PGM_RSRC2:SCRATCH_EN: 0
; COMPUTE_PGM_RSRC2:USER_SGPR: 6
; COMPUTE_PGM_RSRC2:TRAP_HANDLER: 0
; COMPUTE_PGM_RSRC2:TGID_X_EN: 1
; COMPUTE_PGM_RSRC2:TGID_Y_EN: 1
; COMPUTE_PGM_RSRC2:TGID_Z_EN: 1
; COMPUTE_PGM_RSRC2:TIDIG_COMP_CNT: 1
	.section	.text._ZL30rocblas_trmm_outofplace_kernelIdLi32ELi2ELb1ELb0ELb0ELb0EdKddEv17rocblas_diagonal_iiT6_lPT7_lllS4_lllPT8_llli,"axG",@progbits,_ZL30rocblas_trmm_outofplace_kernelIdLi32ELi2ELb1ELb0ELb0ELb0EdKddEv17rocblas_diagonal_iiT6_lPT7_lllS4_lllPT8_llli,comdat
	.globl	_ZL30rocblas_trmm_outofplace_kernelIdLi32ELi2ELb1ELb0ELb0ELb0EdKddEv17rocblas_diagonal_iiT6_lPT7_lllS4_lllPT8_llli ; -- Begin function _ZL30rocblas_trmm_outofplace_kernelIdLi32ELi2ELb1ELb0ELb0ELb0EdKddEv17rocblas_diagonal_iiT6_lPT7_lllS4_lllPT8_llli
	.p2align	8
	.type	_ZL30rocblas_trmm_outofplace_kernelIdLi32ELi2ELb1ELb0ELb0ELb0EdKddEv17rocblas_diagonal_iiT6_lPT7_lllS4_lllPT8_llli,@function
_ZL30rocblas_trmm_outofplace_kernelIdLi32ELi2ELb1ELb0ELb0ELb0EdKddEv17rocblas_diagonal_iiT6_lPT7_lllS4_lllPT8_llli: ; @_ZL30rocblas_trmm_outofplace_kernelIdLi32ELi2ELb1ELb0ELb0ELb0EdKddEv17rocblas_diagonal_iiT6_lPT7_lllS4_lllPT8_llli
; %bb.0:
	s_load_dwordx2 s[10:11], s[4:5], 0x10
	s_waitcnt lgkmcnt(0)
	v_cmp_eq_f64_e64 s0, s[10:11], 0
	s_and_b32 vcc_lo, exec_lo, s0
	s_cbranch_vccnz .LBB37_51
; %bb.1:
	s_load_dwordx4 s[28:31], s[4:5], 0x0
	s_waitcnt lgkmcnt(0)
	s_add_i32 s0, s30, -1
	s_ashr_i32 s1, s0, 31
	s_lshr_b32 s1, s1, 27
	s_add_i32 s0, s0, s1
	s_ashr_i32 s31, s0, 5
	s_cmp_gt_i32 s7, s31
	s_cbranch_scc1 .LBB37_51
; %bb.2:
	s_clause 0x1
	s_load_dwordx16 s[12:27], s[4:5], 0x20
	s_load_dwordx8 s[36:43], s[4:5], 0x60
	v_lshlrev_b32_e32 v3, 8, v1
	v_lshlrev_b32_e32 v48, 3, v0
	v_lshl_add_u32 v20, v1, 3, 0x80
	s_mov_b32 s34, s29
	v_mov_b32_e32 v2, 0
	v_add_nc_u32_e32 v50, 0x2000, v3
	v_add_nc_u32_e32 v49, v48, v3
	v_lshl_add_u32 v22, s7, 5, v1
	v_mov_b32_e32 v52, 0x3ff00000
	v_add_nc_u32_e32 v51, v50, v48
	s_waitcnt lgkmcnt(0)
	v_mad_u64_u32 v[6:7], null, s16, v1, 0
	s_mul_i32 s1, s19, s8
	s_mul_hi_u32 s2, s18, s8
	s_mul_i32 s0, s18, s8
	s_add_i32 s1, s2, s1
	s_mul_i32 s3, s43, s8
	s_lshl_b64 s[44:45], s[0:1], 3
	v_mov_b32_e32 v3, v7
	s_add_u32 s1, s12, s44
	s_addc_u32 s9, s13, s45
	s_lshl_b64 s[46:47], s[14:15], 3
	s_mul_hi_u32 s2, s42, s8
	s_add_u32 s14, s1, s46
	s_mul_i32 s0, s42, s8
	s_addc_u32 s9, s9, s47
	s_add_i32 s1, s2, s3
	v_mad_u64_u32 v[3:4], null, s17, v1, v[3:4]
	s_lshl_b64 s[0:1], s[0:1], 3
	s_load_dword s42, s[4:5], 0x8c
	s_add_u32 s2, s36, s0
	s_addc_u32 s3, s37, s1
	s_lshl_b64 s[0:1], s[38:39], 3
	s_add_u32 s33, s2, s0
	s_addc_u32 s36, s3, s1
	s_lshl_b32 s37, s6, 5
	v_mov_b32_e32 v7, v3
	v_add_nc_u32_e32 v4, s37, v0
	s_cmp_gt_i32 s6, -1
	s_cselect_b32 s38, -1, 0
	v_lshlrev_b64 v[8:9], 3, v[6:7]
	v_ashrrev_i32_e32 v5, 31, v4
	s_cmpk_eq_i32 s28, 0x84
	v_add_co_u32 v6, vcc_lo, v4, 16
	s_cselect_b32 s28, -1, 0
	s_ashr_i32 s35, s29, 31
	s_ashr_i32 s39, s30, 31
	v_add_co_ci_u32_e64 v7, null, 0, v5, vcc_lo
	v_add_co_u32 v8, vcc_lo, s14, v8
	s_lshl_b64 s[14:15], s[16:17], 8
	s_add_u32 s18, s29, -16
	s_addc_u32 s19, s35, -1
	s_add_u32 s4, s12, s46
	s_addc_u32 s5, s13, s47
	s_add_u32 s4, s4, s44
	s_addc_u32 s5, s5, s45
	v_add_co_ci_u32_e64 v9, null, s9, v9, vcc_lo
	v_mad_u64_u32 v[12:13], null, s16, v20, s[4:5]
	s_mul_i32 s4, s27, s8
	s_mul_hi_u32 s5, s26, s8
	v_add_nc_u32_e32 v23, 16, v4
	s_add_i32 s5, s5, s4
	s_mul_i32 s4, s26, s8
	s_lshl_b64 s[8:9], s[22:23], 3
	v_mov_b32_e32 v3, v13
	s_lshl_b64 s[4:5], s[4:5], 3
	v_sub_co_u32 v10, vcc_lo, v4, v1
	s_add_u32 s4, s4, s8
	v_mad_u64_u32 v[20:21], null, s17, v20, v[3:4]
	s_addc_u32 s5, s5, s9
	v_subrev_co_ci_u32_e64 v11, null, 0, v5, vcc_lo
	s_add_u32 s4, s20, s4
	s_addc_u32 s5, s21, s5
	v_add_co_u32 v3, s4, s4, v48
	v_ashrrev_i32_e32 v24, 31, v23
	v_add_co_u32 v14, vcc_lo, v10, 16
	v_add_co_ci_u32_e64 v21, null, s5, 0, s4
	v_add_co_ci_u32_e64 v15, null, 0, v11, vcc_lo
	v_add_co_u32 v16, vcc_lo, v10, -16
	v_add_co_ci_u32_e64 v17, null, -1, v11, vcc_lo
	v_mov_b32_e32 v13, v20
	v_add_co_u32 v20, vcc_lo, 0x80, v3
	v_cmp_le_i64_e64 s1, s[34:35], v[6:7]
	v_lshlrev_b64 v[18:19], 3, v[4:5]
	v_lshlrev_b64 v[24:25], 3, v[23:24]
	v_cmp_le_i32_e64 s0, s29, v4
	v_cmp_gt_i32_e64 s2, s29, v4
	v_cmp_gt_i32_e64 s3, s29, v23
	v_add_co_ci_u32_e64 v21, null, 0, v21, vcc_lo
	s_lshl_b64 s[12:13], s[24:25], 3
	s_waitcnt lgkmcnt(0)
	s_lshl_b32 s20, s42, 5
	s_branch .LBB37_4
.LBB37_3:                               ;   in Loop: Header=BB37_4 Depth=1
	s_or_b32 exec_lo, exec_lo, s4
	v_add_nc_u32_e32 v22, s20, v22
	s_add_i32 s7, s42, s7
	s_cmp_le_i32 s7, s31
	s_cbranch_scc0 .LBB37_51
.LBB37_4:                               ; =>This Loop Header: Depth=1
                                        ;     Child Loop BB37_7 Depth 2
	v_lshl_add_u32 v53, s7, 5, v1
	v_mov_b32_e32 v40, 0
	v_mov_b32_e32 v38, 0
	;; [unrolled: 1-line block ×8, first 2 shown]
	v_ashrrev_i32_e32 v54, 31, v53
	s_andn2_b32 vcc_lo, exec_lo, s38
	s_cbranch_vccnz .LBB37_43
; %bb.5:                                ;   in Loop: Header=BB37_4 Depth=1
	v_ashrrev_i32_e32 v23, 31, v22
	v_mad_u64_u32 v[26:27], null, s12, v22, v[20:21]
	v_mul_lo_u32 v3, s13, v22
	v_mov_b32_e32 v34, 0
	v_lshlrev_b64 v[28:29], 3, v[22:23]
	v_mul_lo_u32 v23, s12, v23
	v_mov_b32_e32 v31, v9
	v_mov_b32_e32 v36, 0
	;; [unrolled: 1-line block ×4, first 2 shown]
	v_add_co_u32 v28, vcc_lo, 0x80, v28
	v_add_co_ci_u32_e64 v29, null, 0, v29, vcc_lo
	v_sub_co_u32 v32, vcc_lo, s30, v53
	v_mul_lo_u32 v39, s25, v28
	v_mul_lo_u32 v38, s24, v29
	v_mad_u64_u32 v[28:29], null, s24, v28, v[20:21]
	v_sub_co_ci_u32_e64 v33, null, s39, v54, vcc_lo
	v_mov_b32_e32 v30, v8
	v_mov_b32_e32 v37, 0
	v_add3_u32 v27, v3, v27, v23
	v_cmp_lt_i64_e32 vcc_lo, 0, v[32:33]
	v_cmp_lt_i64_e64 s4, 16, v[32:33]
	v_add3_u32 v29, v39, v29, v38
	v_mov_b32_e32 v38, 0
	v_mov_b32_e32 v33, v13
	;; [unrolled: 1-line block ×5, first 2 shown]
	s_mov_b64 s[16:17], 0
	s_branch .LBB37_7
.LBB37_6:                               ;   in Loop: Header=BB37_7 Depth=2
	s_or_b32 exec_lo, exec_lo, s5
	s_waitcnt lgkmcnt(0)
	s_barrier
	buffer_gl0_inv
	ds_read_b128 v[42:45], v50
	ds_read2_b64 v[55:58], v48 offset1:16
	ds_read_b128 v[59:62], v50 offset:4096
	ds_read_b128 v[63:66], v50 offset:16
	ds_read2_b64 v[67:70], v48 offset0:32 offset1:48
	ds_read_b128 v[71:74], v50 offset:4112
	v_add_nc_u32_e32 v3, 0x800, v48
	v_add_co_u32 v32, s5, v32, s14
	v_add_co_ci_u32_e64 v33, null, s15, v33, s5
	v_add_co_u32 v26, s5, 0x100, v26
	v_add_co_ci_u32_e64 v27, null, 0, v27, s5
	;; [unrolled: 2-line block ×3, first 2 shown]
	v_add_co_u32 v28, s5, 0x100, v28
	s_waitcnt lgkmcnt(4)
	v_fma_f64 v[40:41], v[55:56], v[42:43], v[40:41]
	v_fma_f64 v[38:39], v[57:58], v[42:43], v[38:39]
	s_waitcnt lgkmcnt(3)
	v_fma_f64 v[42:43], v[55:56], v[59:60], v[36:37]
	v_fma_f64 v[46:47], v[57:58], v[59:60], v[34:35]
	ds_read2_b64 v[34:37], v48 offset0:64 offset1:80
	s_add_u32 s16, s16, 32
	v_add_co_ci_u32_e64 v29, null, 0, v29, s5
	s_addc_u32 s17, s17, 0
	s_sub_i32 s6, s16, 32
	s_cmp_ge_i32 s6, s37
	s_waitcnt lgkmcnt(2)
	v_fma_f64 v[55:56], v[67:68], v[44:45], v[40:41]
	v_fma_f64 v[44:45], v[69:70], v[44:45], v[38:39]
	;; [unrolled: 1-line block ×4, first 2 shown]
	ds_read2_b64 v[38:41], v48 offset0:96 offset1:112
	s_waitcnt lgkmcnt(1)
	v_fma_f64 v[55:56], v[34:35], v[63:64], v[55:56]
	v_fma_f64 v[57:58], v[36:37], v[63:64], v[44:45]
	v_fma_f64 v[59:60], v[34:35], v[71:72], v[42:43]
	v_fma_f64 v[46:47], v[36:37], v[71:72], v[46:47]
	ds_read_b128 v[34:37], v50 offset:32
	ds_read2_b64 v[42:45], v48 offset0:128 offset1:144
	s_waitcnt lgkmcnt(2)
	v_fma_f64 v[67:68], v[38:39], v[65:66], v[55:56]
	v_fma_f64 v[69:70], v[40:41], v[65:66], v[57:58]
	;; [unrolled: 1-line block ×4, first 2 shown]
	ds_read_b128 v[38:41], v50 offset:4128
	ds_read_b128 v[55:58], v50 offset:48
	ds_read2_b64 v[59:62], v48 offset0:160 offset1:176
	ds_read_b128 v[63:66], v50 offset:4144
	s_waitcnt lgkmcnt(4)
	v_fma_f64 v[67:68], v[42:43], v[34:35], v[67:68]
	v_fma_f64 v[34:35], v[44:45], v[34:35], v[69:70]
	s_waitcnt lgkmcnt(3)
	v_fma_f64 v[69:70], v[42:43], v[38:39], v[71:72]
	v_fma_f64 v[38:39], v[44:45], v[38:39], v[46:47]
	ds_read2_b64 v[42:45], v48 offset0:192 offset1:208
	s_waitcnt lgkmcnt(2)
	v_fma_f64 v[46:47], v[59:60], v[36:37], v[67:68]
	v_fma_f64 v[67:68], v[61:62], v[36:37], v[34:35]
	;; [unrolled: 1-line block ×4, first 2 shown]
	ds_read2_b64 v[34:37], v48 offset0:224 offset1:240
	s_waitcnt lgkmcnt(1)
	v_fma_f64 v[46:47], v[42:43], v[55:56], v[46:47]
	v_fma_f64 v[55:56], v[44:45], v[55:56], v[67:68]
	;; [unrolled: 1-line block ×4, first 2 shown]
	ds_read_b128 v[38:41], v50 offset:64
	ds_read2_b64 v[42:45], v3 offset1:16
	s_waitcnt lgkmcnt(2)
	v_fma_f64 v[46:47], v[34:35], v[57:58], v[46:47]
	v_fma_f64 v[67:68], v[36:37], v[57:58], v[55:56]
	;; [unrolled: 1-line block ×4, first 2 shown]
	ds_read_b128 v[34:37], v50 offset:4160
	ds_read_b128 v[55:58], v50 offset:80
	;; [unrolled: 1-line block ×3, first 2 shown]
	ds_read2_b64 v[63:66], v3 offset0:32 offset1:48
	s_waitcnt lgkmcnt(4)
	v_fma_f64 v[46:47], v[42:43], v[38:39], v[46:47]
	v_fma_f64 v[38:39], v[44:45], v[38:39], v[67:68]
	s_waitcnt lgkmcnt(3)
	v_fma_f64 v[67:68], v[42:43], v[34:35], v[69:70]
	v_fma_f64 v[34:35], v[44:45], v[34:35], v[71:72]
	ds_read2_b64 v[42:45], v3 offset0:64 offset1:80
	s_waitcnt lgkmcnt(1)
	v_fma_f64 v[46:47], v[63:64], v[40:41], v[46:47]
	v_fma_f64 v[38:39], v[65:66], v[40:41], v[38:39]
	;; [unrolled: 1-line block ×4, first 2 shown]
	ds_read2_b64 v[34:37], v3 offset0:96 offset1:112
	s_waitcnt lgkmcnt(1)
	v_fma_f64 v[46:47], v[42:43], v[55:56], v[46:47]
	v_fma_f64 v[55:56], v[44:45], v[55:56], v[38:39]
	;; [unrolled: 1-line block ×4, first 2 shown]
	ds_read_b128 v[38:41], v50 offset:96
	ds_read2_b64 v[42:45], v3 offset0:128 offset1:144
	s_waitcnt lgkmcnt(2)
	v_fma_f64 v[46:47], v[34:35], v[57:58], v[46:47]
	v_fma_f64 v[67:68], v[36:37], v[57:58], v[55:56]
	;; [unrolled: 1-line block ×4, first 2 shown]
	ds_read_b128 v[34:37], v50 offset:4192
	ds_read_b128 v[55:58], v50 offset:112
	;; [unrolled: 1-line block ×3, first 2 shown]
	ds_read2_b64 v[63:66], v3 offset0:160 offset1:176
	s_waitcnt lgkmcnt(4)
	v_fma_f64 v[46:47], v[42:43], v[38:39], v[46:47]
	v_fma_f64 v[38:39], v[44:45], v[38:39], v[67:68]
	s_waitcnt lgkmcnt(3)
	v_fma_f64 v[67:68], v[42:43], v[34:35], v[69:70]
	v_fma_f64 v[34:35], v[44:45], v[34:35], v[71:72]
	ds_read2_b64 v[42:45], v3 offset0:192 offset1:208
	s_waitcnt lgkmcnt(1)
	v_fma_f64 v[46:47], v[63:64], v[40:41], v[46:47]
	v_fma_f64 v[38:39], v[65:66], v[40:41], v[38:39]
	;; [unrolled: 1-line block ×4, first 2 shown]
	ds_read2_b64 v[34:37], v3 offset0:224 offset1:240
	v_add_nc_u32_e32 v3, 0x1000, v48
	s_waitcnt lgkmcnt(1)
	v_fma_f64 v[46:47], v[42:43], v[55:56], v[46:47]
	v_fma_f64 v[55:56], v[44:45], v[55:56], v[38:39]
	;; [unrolled: 1-line block ×4, first 2 shown]
	ds_read_b128 v[38:41], v50 offset:128
	ds_read2_b64 v[42:45], v3 offset1:16
	s_waitcnt lgkmcnt(2)
	v_fma_f64 v[46:47], v[34:35], v[57:58], v[46:47]
	v_fma_f64 v[67:68], v[36:37], v[57:58], v[55:56]
	;; [unrolled: 1-line block ×4, first 2 shown]
	ds_read_b128 v[34:37], v50 offset:4224
	ds_read_b128 v[55:58], v50 offset:144
	;; [unrolled: 1-line block ×3, first 2 shown]
	ds_read2_b64 v[63:66], v3 offset0:32 offset1:48
	s_waitcnt lgkmcnt(4)
	v_fma_f64 v[46:47], v[42:43], v[38:39], v[46:47]
	v_fma_f64 v[38:39], v[44:45], v[38:39], v[67:68]
	s_waitcnt lgkmcnt(3)
	v_fma_f64 v[67:68], v[42:43], v[34:35], v[69:70]
	v_fma_f64 v[34:35], v[44:45], v[34:35], v[71:72]
	ds_read2_b64 v[42:45], v3 offset0:64 offset1:80
	s_waitcnt lgkmcnt(1)
	v_fma_f64 v[46:47], v[63:64], v[40:41], v[46:47]
	v_fma_f64 v[38:39], v[65:66], v[40:41], v[38:39]
	;; [unrolled: 1-line block ×4, first 2 shown]
	ds_read2_b64 v[34:37], v3 offset0:96 offset1:112
	s_waitcnt lgkmcnt(1)
	v_fma_f64 v[46:47], v[42:43], v[55:56], v[46:47]
	v_fma_f64 v[55:56], v[44:45], v[55:56], v[38:39]
	;; [unrolled: 1-line block ×4, first 2 shown]
	ds_read_b128 v[38:41], v50 offset:160
	ds_read2_b64 v[42:45], v3 offset0:128 offset1:144
	s_waitcnt lgkmcnt(2)
	v_fma_f64 v[46:47], v[34:35], v[57:58], v[46:47]
	v_fma_f64 v[67:68], v[36:37], v[57:58], v[55:56]
	;; [unrolled: 1-line block ×4, first 2 shown]
	ds_read_b128 v[34:37], v50 offset:4256
	ds_read_b128 v[55:58], v50 offset:176
	;; [unrolled: 1-line block ×3, first 2 shown]
	ds_read2_b64 v[63:66], v3 offset0:160 offset1:176
	s_waitcnt lgkmcnt(4)
	v_fma_f64 v[46:47], v[42:43], v[38:39], v[46:47]
	v_fma_f64 v[38:39], v[44:45], v[38:39], v[67:68]
	s_waitcnt lgkmcnt(3)
	v_fma_f64 v[67:68], v[42:43], v[34:35], v[69:70]
	v_fma_f64 v[34:35], v[44:45], v[34:35], v[71:72]
	ds_read2_b64 v[42:45], v3 offset0:192 offset1:208
	s_waitcnt lgkmcnt(1)
	v_fma_f64 v[46:47], v[63:64], v[40:41], v[46:47]
	v_fma_f64 v[38:39], v[65:66], v[40:41], v[38:39]
	;; [unrolled: 1-line block ×4, first 2 shown]
	ds_read2_b64 v[34:37], v3 offset0:224 offset1:240
	v_add_nc_u32_e32 v3, 0x1800, v48
	s_waitcnt lgkmcnt(1)
	v_fma_f64 v[46:47], v[42:43], v[55:56], v[46:47]
	v_fma_f64 v[55:56], v[44:45], v[55:56], v[38:39]
	;; [unrolled: 1-line block ×4, first 2 shown]
	ds_read_b128 v[38:41], v50 offset:192
	ds_read2_b64 v[42:45], v3 offset1:16
	s_waitcnt lgkmcnt(2)
	v_fma_f64 v[46:47], v[34:35], v[57:58], v[46:47]
	v_fma_f64 v[67:68], v[36:37], v[57:58], v[55:56]
	;; [unrolled: 1-line block ×4, first 2 shown]
	ds_read_b128 v[34:37], v50 offset:4288
	ds_read_b128 v[55:58], v50 offset:208
	;; [unrolled: 1-line block ×3, first 2 shown]
	ds_read2_b64 v[63:66], v3 offset0:32 offset1:48
	s_waitcnt lgkmcnt(4)
	v_fma_f64 v[46:47], v[42:43], v[38:39], v[46:47]
	v_fma_f64 v[38:39], v[44:45], v[38:39], v[67:68]
	s_waitcnt lgkmcnt(3)
	v_fma_f64 v[67:68], v[42:43], v[34:35], v[69:70]
	v_fma_f64 v[34:35], v[44:45], v[34:35], v[71:72]
	ds_read2_b64 v[42:45], v3 offset0:64 offset1:80
	s_waitcnt lgkmcnt(1)
	v_fma_f64 v[46:47], v[63:64], v[40:41], v[46:47]
	v_fma_f64 v[38:39], v[65:66], v[40:41], v[38:39]
	;; [unrolled: 1-line block ×4, first 2 shown]
	ds_read2_b64 v[34:37], v3 offset0:96 offset1:112
	s_waitcnt lgkmcnt(1)
	v_fma_f64 v[46:47], v[42:43], v[55:56], v[46:47]
	v_fma_f64 v[55:56], v[44:45], v[55:56], v[38:39]
	;; [unrolled: 1-line block ×4, first 2 shown]
	ds_read_b128 v[38:41], v50 offset:224
	ds_read2_b64 v[42:45], v3 offset0:128 offset1:144
	s_waitcnt lgkmcnt(2)
	v_fma_f64 v[46:47], v[34:35], v[57:58], v[46:47]
	v_fma_f64 v[67:68], v[36:37], v[57:58], v[55:56]
	;; [unrolled: 1-line block ×4, first 2 shown]
	ds_read_b128 v[34:37], v50 offset:4320
	ds_read_b128 v[55:58], v50 offset:240
	;; [unrolled: 1-line block ×3, first 2 shown]
	ds_read2_b64 v[63:66], v3 offset0:160 offset1:176
	s_waitcnt lgkmcnt(4)
	v_fma_f64 v[46:47], v[42:43], v[38:39], v[46:47]
	v_fma_f64 v[38:39], v[44:45], v[38:39], v[67:68]
	s_waitcnt lgkmcnt(3)
	v_fma_f64 v[67:68], v[42:43], v[34:35], v[69:70]
	v_fma_f64 v[34:35], v[44:45], v[34:35], v[71:72]
	ds_read2_b64 v[42:45], v3 offset0:192 offset1:208
	s_waitcnt lgkmcnt(1)
	v_fma_f64 v[46:47], v[63:64], v[40:41], v[46:47]
	v_fma_f64 v[38:39], v[65:66], v[40:41], v[38:39]
	;; [unrolled: 1-line block ×4, first 2 shown]
	ds_read2_b64 v[63:66], v3 offset0:224 offset1:240
	s_waitcnt lgkmcnt(0)
	s_barrier
	buffer_gl0_inv
	v_fma_f64 v[36:37], v[42:43], v[55:56], v[46:47]
	v_fma_f64 v[38:39], v[44:45], v[55:56], v[38:39]
	;; [unrolled: 1-line block ×8, first 2 shown]
	s_cbranch_scc1 .LBB37_43
.LBB37_7:                               ;   Parent Loop BB37_4 Depth=1
                                        ; =>  This Inner Loop Header: Depth=2
	v_add_co_u32 v42, s5, v1, s16
	v_add_co_ci_u32_e64 v43, null, 0, s17, s5
	v_cmp_eq_u64_e64 s8, s[16:17], v[10:11]
                                        ; implicit-def: $vgpr46_vgpr47
	v_cmp_le_i64_e64 s6, s[34:35], v[42:43]
	v_cmp_gt_i64_e64 s5, v[42:43], v[4:5]
	s_and_b32 s21, s28, s8
	v_add_co_u32 v44, s8, v30, v18
	v_add_co_ci_u32_e64 v45, null, v31, v19, s8
	s_or_b32 s9, s6, s5
	s_or_b32 s8, s9, s21
	s_nor_b32 s8, s0, s8
	s_and_saveexec_b32 s9, s8
	s_xor_b32 s8, exec_lo, s9
	s_cbranch_execz .LBB37_9
; %bb.8:                                ;   in Loop: Header=BB37_7 Depth=2
	global_load_dwordx2 v[46:47], v[44:45], off
.LBB37_9:                               ;   in Loop: Header=BB37_7 Depth=2
	s_andn2_saveexec_b32 s8, s8
	s_cbranch_execz .LBB37_11
; %bb.10:                               ;   in Loop: Header=BB37_7 Depth=2
	v_cndmask_b32_e64 v3, 0, 0x3ff00000, s21
	s_waitcnt vmcnt(0)
	v_mov_b32_e32 v47, v3
	v_mov_b32_e32 v46, v2
.LBB37_11:                              ;   in Loop: Header=BB37_7 Depth=2
	s_or_b32 exec_lo, exec_lo, s8
	v_cmp_eq_u64_e64 s8, s[16:17], v[14:15]
	v_cmp_lt_i64_e64 s9, v[6:7], v[42:43]
	s_waitcnt vmcnt(0)
	ds_write_b64 v49, v[46:47]
	s_and_b32 s8, s28, s8
	s_or_b32 s6, s6, s9
	s_or_b32 s6, s6, s8
	s_nor_b32 s6, s1, s6
	s_and_saveexec_b32 s9, s6
	s_xor_b32 s6, exec_lo, s9
	s_cbranch_execz .LBB37_13
; %bb.12:                               ;   in Loop: Header=BB37_7 Depth=2
	global_load_dwordx2 v[44:45], v[44:45], off offset:128
	s_waitcnt vmcnt(0)
	ds_write_b64 v49, v[44:45] offset:128
.LBB37_13:                              ;   in Loop: Header=BB37_7 Depth=2
	s_andn2_saveexec_b32 s6, s6
	s_cbranch_execz .LBB37_19
; %bb.14:                               ;   in Loop: Header=BB37_7 Depth=2
	s_xor_b32 s8, s8, -1
	s_and_saveexec_b32 s9, s8
	s_xor_b32 s8, exec_lo, s9
; %bb.15:                               ;   in Loop: Header=BB37_7 Depth=2
	v_mov_b32_e32 v3, v2
	ds_write_b64 v49, v[2:3] offset:128
; %bb.16:                               ;   in Loop: Header=BB37_7 Depth=2
	s_andn2_saveexec_b32 s8, s8
; %bb.17:                               ;   in Loop: Header=BB37_7 Depth=2
	v_mov_b32_e32 v3, v52
	ds_write_b64 v49, v[2:3] offset:128
; %bb.18:                               ;   in Loop: Header=BB37_7 Depth=2
	s_or_b32 exec_lo, exec_lo, s8
.LBB37_19:                              ;   in Loop: Header=BB37_7 Depth=2
	s_or_b32 exec_lo, exec_lo, s6
	v_add_co_u32 v42, s6, v42, 16
	v_add_co_ci_u32_e64 v43, null, 0, v43, s6
	v_cmp_eq_u64_e64 s8, s[16:17], v[16:17]
                                        ; implicit-def: $vgpr44_vgpr45
	v_cmp_le_i64_e64 s6, s[34:35], v[42:43]
	v_cmp_gt_i64_e64 s9, v[42:43], v[4:5]
	s_and_b32 s22, s28, s8
	v_add_co_u32 v42, s8, v32, v18
	v_add_co_ci_u32_e64 v43, null, v33, v19, s8
	s_or_b32 s9, s6, s9
	s_or_b32 s8, s9, s22
	s_nor_b32 s8, s0, s8
	s_and_saveexec_b32 s9, s8
	s_xor_b32 s8, exec_lo, s9
	s_cbranch_execz .LBB37_21
; %bb.20:                               ;   in Loop: Header=BB37_7 Depth=2
	global_load_dwordx2 v[44:45], v[42:43], off
.LBB37_21:                              ;   in Loop: Header=BB37_7 Depth=2
	s_andn2_saveexec_b32 s8, s8
	s_cbranch_execz .LBB37_23
; %bb.22:                               ;   in Loop: Header=BB37_7 Depth=2
	v_cndmask_b32_e64 v3, 0, 0x3ff00000, s22
	s_waitcnt vmcnt(0)
	v_mov_b32_e32 v45, v3
	v_mov_b32_e32 v44, v2
.LBB37_23:                              ;   in Loop: Header=BB37_7 Depth=2
	s_or_b32 exec_lo, exec_lo, s8
	s_or_b32 s5, s6, s5
	s_waitcnt vmcnt(0)
	ds_write_b64 v49, v[44:45] offset:4096
	s_or_b32 s5, s5, s21
	s_nor_b32 s5, s1, s5
	s_and_saveexec_b32 s6, s5
	s_xor_b32 s5, exec_lo, s6
	s_cbranch_execz .LBB37_25
; %bb.24:                               ;   in Loop: Header=BB37_7 Depth=2
	global_load_dwordx2 v[42:43], v[42:43], off offset:128
	s_waitcnt vmcnt(0)
	ds_write_b64 v49, v[42:43] offset:4224
.LBB37_25:                              ;   in Loop: Header=BB37_7 Depth=2
	s_andn2_saveexec_b32 s5, s5
	s_cbranch_execz .LBB37_31
; %bb.26:                               ;   in Loop: Header=BB37_7 Depth=2
	s_xor_b32 s6, s21, -1
	s_and_saveexec_b32 s8, s6
	s_xor_b32 s6, exec_lo, s8
; %bb.27:                               ;   in Loop: Header=BB37_7 Depth=2
	v_mov_b32_e32 v3, v2
	ds_write_b64 v49, v[2:3] offset:4224
; %bb.28:                               ;   in Loop: Header=BB37_7 Depth=2
	s_andn2_saveexec_b32 s6, s6
; %bb.29:                               ;   in Loop: Header=BB37_7 Depth=2
	v_mov_b32_e32 v3, v52
	ds_write_b64 v49, v[2:3] offset:4224
; %bb.30:                               ;   in Loop: Header=BB37_7 Depth=2
	s_or_b32 exec_lo, exec_lo, s6
.LBB37_31:                              ;   in Loop: Header=BB37_7 Depth=2
	s_or_b32 exec_lo, exec_lo, s5
	v_add_co_u32 v42, s5, v0, s16
	v_add_co_ci_u32_e64 v43, null, 0, s17, s5
	v_mov_b32_e32 v44, 0
	v_mov_b32_e32 v45, 0
	v_cmp_gt_i64_e64 s5, s[34:35], v[42:43]
	s_and_b32 s8, vcc_lo, s5
	s_and_saveexec_b32 s6, s8
	s_cbranch_execz .LBB37_33
; %bb.32:                               ;   in Loop: Header=BB37_7 Depth=2
	global_load_dwordx2 v[44:45], v[26:27], off offset:-128
.LBB37_33:                              ;   in Loop: Header=BB37_7 Depth=2
	s_or_b32 exec_lo, exec_lo, s6
	v_cmp_gt_i64_e64 s6, s[18:19], v[42:43]
	s_waitcnt vmcnt(0)
	ds_write_b64 v51, v[44:45]
	s_and_b32 s8, vcc_lo, s6
	s_xor_b32 s8, s8, -1
	s_and_saveexec_b32 s9, s8
	s_xor_b32 s8, exec_lo, s9
; %bb.34:                               ;   in Loop: Header=BB37_7 Depth=2
	v_mov_b32_e32 v3, v2
	ds_write_b64 v51, v[2:3] offset:128
; %bb.35:                               ;   in Loop: Header=BB37_7 Depth=2
	s_andn2_saveexec_b32 s8, s8
	s_cbranch_execz .LBB37_37
; %bb.36:                               ;   in Loop: Header=BB37_7 Depth=2
	global_load_dwordx2 v[42:43], v[26:27], off
	s_waitcnt vmcnt(0)
	ds_write_b64 v51, v[42:43] offset:128
.LBB37_37:                              ;   in Loop: Header=BB37_7 Depth=2
	s_or_b32 exec_lo, exec_lo, s8
	v_mov_b32_e32 v42, 0
	v_mov_b32_e32 v43, 0
	s_and_b32 s8, s4, s5
	s_and_saveexec_b32 s5, s8
	s_cbranch_execz .LBB37_39
; %bb.38:                               ;   in Loop: Header=BB37_7 Depth=2
	global_load_dwordx2 v[42:43], v[28:29], off offset:-128
.LBB37_39:                              ;   in Loop: Header=BB37_7 Depth=2
	s_or_b32 exec_lo, exec_lo, s5
	s_and_b32 s5, s4, s6
	s_waitcnt vmcnt(0)
	ds_write_b64 v51, v[42:43] offset:4096
	s_xor_b32 s5, s5, -1
	s_and_saveexec_b32 s6, s5
	s_xor_b32 s5, exec_lo, s6
; %bb.40:                               ;   in Loop: Header=BB37_7 Depth=2
	v_mov_b32_e32 v3, v2
	ds_write_b64 v51, v[2:3] offset:4224
; %bb.41:                               ;   in Loop: Header=BB37_7 Depth=2
	s_andn2_saveexec_b32 s5, s5
	s_cbranch_execz .LBB37_6
; %bb.42:                               ;   in Loop: Header=BB37_7 Depth=2
	global_load_dwordx2 v[42:43], v[28:29], off
	s_waitcnt vmcnt(0)
	ds_write_b64 v51, v[42:43] offset:4224
	s_branch .LBB37_6
.LBB37_43:                              ;   in Loop: Header=BB37_4 Depth=1
	v_mul_lo_u32 v3, s41, v53
	v_mul_lo_u32 v23, s40, v54
	v_mad_u64_u32 v[26:27], null, s40, v53, 0
	v_cmp_gt_i32_e32 vcc_lo, s30, v53
	v_add3_u32 v27, v27, v23, v3
	v_lshlrev_b64 v[26:27], 3, v[26:27]
	v_add_co_u32 v3, s4, s33, v26
	v_add_co_ci_u32_e64 v23, null, s36, v27, s4
	s_and_b32 s4, s2, vcc_lo
	s_and_saveexec_b32 s5, s4
	s_cbranch_execz .LBB37_45
; %bb.44:                               ;   in Loop: Header=BB37_4 Depth=1
	v_add_co_u32 v26, s4, v3, v18
	v_add_co_ci_u32_e64 v27, null, v23, v19, s4
	global_load_dwordx2 v[28:29], v[26:27], off
	s_waitcnt vmcnt(0)
	v_fma_f64 v[28:29], s[10:11], v[40:41], v[28:29]
	global_store_dwordx2 v[26:27], v[28:29], off
.LBB37_45:                              ;   in Loop: Header=BB37_4 Depth=1
	s_or_b32 exec_lo, exec_lo, s5
	s_and_b32 s5, s3, vcc_lo
	s_and_saveexec_b32 s4, s5
	s_cbranch_execz .LBB37_47
; %bb.46:                               ;   in Loop: Header=BB37_4 Depth=1
	v_add_co_u32 v26, vcc_lo, v3, v24
	v_add_co_ci_u32_e64 v27, null, v23, v25, vcc_lo
	global_load_dwordx2 v[28:29], v[26:27], off
	s_waitcnt vmcnt(0)
	v_fma_f64 v[28:29], s[10:11], v[38:39], v[28:29]
	global_store_dwordx2 v[26:27], v[28:29], off
.LBB37_47:                              ;   in Loop: Header=BB37_4 Depth=1
	s_or_b32 exec_lo, exec_lo, s4
	v_add_nc_u32_e32 v3, 16, v53
	v_ashrrev_i32_e32 v23, 31, v3
	v_mul_lo_u32 v28, s41, v3
	v_mad_u64_u32 v[26:27], null, s40, v3, 0
	v_cmp_gt_i32_e32 vcc_lo, s30, v3
	v_mul_lo_u32 v23, s40, v23
	v_add3_u32 v27, v27, v23, v28
	v_lshlrev_b64 v[26:27], 3, v[26:27]
	v_add_co_u32 v3, s4, s33, v26
	v_add_co_ci_u32_e64 v23, null, s36, v27, s4
	s_and_b32 s4, s2, vcc_lo
	s_and_saveexec_b32 s5, s4
	s_cbranch_execz .LBB37_49
; %bb.48:                               ;   in Loop: Header=BB37_4 Depth=1
	v_add_co_u32 v26, s4, v3, v18
	v_add_co_ci_u32_e64 v27, null, v23, v19, s4
	global_load_dwordx2 v[28:29], v[26:27], off
	s_waitcnt vmcnt(0)
	v_fma_f64 v[28:29], s[10:11], v[36:37], v[28:29]
	global_store_dwordx2 v[26:27], v[28:29], off
.LBB37_49:                              ;   in Loop: Header=BB37_4 Depth=1
	s_or_b32 exec_lo, exec_lo, s5
	s_and_b32 s5, s3, vcc_lo
	s_and_saveexec_b32 s4, s5
	s_cbranch_execz .LBB37_3
; %bb.50:                               ;   in Loop: Header=BB37_4 Depth=1
	v_add_co_u32 v26, vcc_lo, v3, v24
	v_add_co_ci_u32_e64 v27, null, v23, v25, vcc_lo
	global_load_dwordx2 v[28:29], v[26:27], off
	s_waitcnt vmcnt(0)
	v_fma_f64 v[28:29], s[10:11], v[34:35], v[28:29]
	global_store_dwordx2 v[26:27], v[28:29], off
	s_branch .LBB37_3
.LBB37_51:
	s_endpgm
	.section	.rodata,"a",@progbits
	.p2align	6, 0x0
	.amdhsa_kernel _ZL30rocblas_trmm_outofplace_kernelIdLi32ELi2ELb1ELb0ELb0ELb0EdKddEv17rocblas_diagonal_iiT6_lPT7_lllS4_lllPT8_llli
		.amdhsa_group_segment_fixed_size 16384
		.amdhsa_private_segment_fixed_size 0
		.amdhsa_kernarg_size 392
		.amdhsa_user_sgpr_count 6
		.amdhsa_user_sgpr_private_segment_buffer 1
		.amdhsa_user_sgpr_dispatch_ptr 0
		.amdhsa_user_sgpr_queue_ptr 0
		.amdhsa_user_sgpr_kernarg_segment_ptr 1
		.amdhsa_user_sgpr_dispatch_id 0
		.amdhsa_user_sgpr_flat_scratch_init 0
		.amdhsa_user_sgpr_private_segment_size 0
		.amdhsa_wavefront_size32 1
		.amdhsa_uses_dynamic_stack 0
		.amdhsa_system_sgpr_private_segment_wavefront_offset 0
		.amdhsa_system_sgpr_workgroup_id_x 1
		.amdhsa_system_sgpr_workgroup_id_y 1
		.amdhsa_system_sgpr_workgroup_id_z 1
		.amdhsa_system_sgpr_workgroup_info 0
		.amdhsa_system_vgpr_workitem_id 1
		.amdhsa_next_free_vgpr 75
		.amdhsa_next_free_sgpr 48
		.amdhsa_reserve_vcc 1
		.amdhsa_reserve_flat_scratch 0
		.amdhsa_float_round_mode_32 0
		.amdhsa_float_round_mode_16_64 0
		.amdhsa_float_denorm_mode_32 3
		.amdhsa_float_denorm_mode_16_64 3
		.amdhsa_dx10_clamp 1
		.amdhsa_ieee_mode 1
		.amdhsa_fp16_overflow 0
		.amdhsa_workgroup_processor_mode 1
		.amdhsa_memory_ordered 1
		.amdhsa_forward_progress 1
		.amdhsa_shared_vgpr_count 0
		.amdhsa_exception_fp_ieee_invalid_op 0
		.amdhsa_exception_fp_denorm_src 0
		.amdhsa_exception_fp_ieee_div_zero 0
		.amdhsa_exception_fp_ieee_overflow 0
		.amdhsa_exception_fp_ieee_underflow 0
		.amdhsa_exception_fp_ieee_inexact 0
		.amdhsa_exception_int_div_zero 0
	.end_amdhsa_kernel
	.section	.text._ZL30rocblas_trmm_outofplace_kernelIdLi32ELi2ELb1ELb0ELb0ELb0EdKddEv17rocblas_diagonal_iiT6_lPT7_lllS4_lllPT8_llli,"axG",@progbits,_ZL30rocblas_trmm_outofplace_kernelIdLi32ELi2ELb1ELb0ELb0ELb0EdKddEv17rocblas_diagonal_iiT6_lPT7_lllS4_lllPT8_llli,comdat
.Lfunc_end37:
	.size	_ZL30rocblas_trmm_outofplace_kernelIdLi32ELi2ELb1ELb0ELb0ELb0EdKddEv17rocblas_diagonal_iiT6_lPT7_lllS4_lllPT8_llli, .Lfunc_end37-_ZL30rocblas_trmm_outofplace_kernelIdLi32ELi2ELb1ELb0ELb0ELb0EdKddEv17rocblas_diagonal_iiT6_lPT7_lllS4_lllPT8_llli
                                        ; -- End function
	.set _ZL30rocblas_trmm_outofplace_kernelIdLi32ELi2ELb1ELb0ELb0ELb0EdKddEv17rocblas_diagonal_iiT6_lPT7_lllS4_lllPT8_llli.num_vgpr, 75
	.set _ZL30rocblas_trmm_outofplace_kernelIdLi32ELi2ELb1ELb0ELb0ELb0EdKddEv17rocblas_diagonal_iiT6_lPT7_lllS4_lllPT8_llli.num_agpr, 0
	.set _ZL30rocblas_trmm_outofplace_kernelIdLi32ELi2ELb1ELb0ELb0ELb0EdKddEv17rocblas_diagonal_iiT6_lPT7_lllS4_lllPT8_llli.numbered_sgpr, 48
	.set _ZL30rocblas_trmm_outofplace_kernelIdLi32ELi2ELb1ELb0ELb0ELb0EdKddEv17rocblas_diagonal_iiT6_lPT7_lllS4_lllPT8_llli.num_named_barrier, 0
	.set _ZL30rocblas_trmm_outofplace_kernelIdLi32ELi2ELb1ELb0ELb0ELb0EdKddEv17rocblas_diagonal_iiT6_lPT7_lllS4_lllPT8_llli.private_seg_size, 0
	.set _ZL30rocblas_trmm_outofplace_kernelIdLi32ELi2ELb1ELb0ELb0ELb0EdKddEv17rocblas_diagonal_iiT6_lPT7_lllS4_lllPT8_llli.uses_vcc, 1
	.set _ZL30rocblas_trmm_outofplace_kernelIdLi32ELi2ELb1ELb0ELb0ELb0EdKddEv17rocblas_diagonal_iiT6_lPT7_lllS4_lllPT8_llli.uses_flat_scratch, 0
	.set _ZL30rocblas_trmm_outofplace_kernelIdLi32ELi2ELb1ELb0ELb0ELb0EdKddEv17rocblas_diagonal_iiT6_lPT7_lllS4_lllPT8_llli.has_dyn_sized_stack, 0
	.set _ZL30rocblas_trmm_outofplace_kernelIdLi32ELi2ELb1ELb0ELb0ELb0EdKddEv17rocblas_diagonal_iiT6_lPT7_lllS4_lllPT8_llli.has_recursion, 0
	.set _ZL30rocblas_trmm_outofplace_kernelIdLi32ELi2ELb1ELb0ELb0ELb0EdKddEv17rocblas_diagonal_iiT6_lPT7_lllS4_lllPT8_llli.has_indirect_call, 0
	.section	.AMDGPU.csdata,"",@progbits
; Kernel info:
; codeLenInByte = 3792
; TotalNumSgprs: 50
; NumVgprs: 75
; ScratchSize: 0
; MemoryBound: 0
; FloatMode: 240
; IeeeMode: 1
; LDSByteSize: 16384 bytes/workgroup (compile time only)
; SGPRBlocks: 0
; VGPRBlocks: 9
; NumSGPRsForWavesPerEU: 50
; NumVGPRsForWavesPerEU: 75
; Occupancy: 12
; WaveLimiterHint : 0
; COMPUTE_PGM_RSRC2:SCRATCH_EN: 0
; COMPUTE_PGM_RSRC2:USER_SGPR: 6
; COMPUTE_PGM_RSRC2:TRAP_HANDLER: 0
; COMPUTE_PGM_RSRC2:TGID_X_EN: 1
; COMPUTE_PGM_RSRC2:TGID_Y_EN: 1
; COMPUTE_PGM_RSRC2:TGID_Z_EN: 1
; COMPUTE_PGM_RSRC2:TIDIG_COMP_CNT: 1
	.section	.text._ZL30rocblas_trmm_outofplace_kernelIdLi32ELi2ELb1ELb1ELb0ELb0EPKdS0_dEv17rocblas_diagonal_iiT6_lPT7_lllS5_lllPT8_llli,"axG",@progbits,_ZL30rocblas_trmm_outofplace_kernelIdLi32ELi2ELb1ELb1ELb0ELb0EPKdS0_dEv17rocblas_diagonal_iiT6_lPT7_lllS5_lllPT8_llli,comdat
	.globl	_ZL30rocblas_trmm_outofplace_kernelIdLi32ELi2ELb1ELb1ELb0ELb0EPKdS0_dEv17rocblas_diagonal_iiT6_lPT7_lllS5_lllPT8_llli ; -- Begin function _ZL30rocblas_trmm_outofplace_kernelIdLi32ELi2ELb1ELb1ELb0ELb0EPKdS0_dEv17rocblas_diagonal_iiT6_lPT7_lllS5_lllPT8_llli
	.p2align	8
	.type	_ZL30rocblas_trmm_outofplace_kernelIdLi32ELi2ELb1ELb1ELb0ELb0EPKdS0_dEv17rocblas_diagonal_iiT6_lPT7_lllS5_lllPT8_llli,@function
_ZL30rocblas_trmm_outofplace_kernelIdLi32ELi2ELb1ELb1ELb0ELb0EPKdS0_dEv17rocblas_diagonal_iiT6_lPT7_lllS5_lllPT8_llli: ; @_ZL30rocblas_trmm_outofplace_kernelIdLi32ELi2ELb1ELb1ELb0ELb0EPKdS0_dEv17rocblas_diagonal_iiT6_lPT7_lllS5_lllPT8_llli
; %bb.0:
	s_load_dwordx16 s[12:27], s[4:5], 0x10
	s_waitcnt lgkmcnt(0)
	s_mul_i32 s0, s15, s8
	s_mul_hi_u32 s1, s14, s8
	s_add_i32 s1, s1, s0
	s_mul_i32 s0, s14, s8
	s_lshl_b64 s[0:1], s[0:1], 3
	s_add_u32 s0, s12, s0
	s_addc_u32 s1, s13, s1
	s_load_dwordx2 s[10:11], s[0:1], 0x0
	s_waitcnt lgkmcnt(0)
	v_cmp_eq_f64_e64 s0, s[10:11], 0
	s_and_b32 vcc_lo, exec_lo, s0
	s_cbranch_vccnz .LBB38_52
; %bb.1:
	s_load_dwordx4 s[12:15], s[4:5], 0x0
	s_waitcnt lgkmcnt(0)
	s_add_i32 s0, s14, -1
	s_ashr_i32 s1, s0, 31
	s_lshr_b32 s1, s1, 27
	s_add_i32 s0, s0, s1
	s_ashr_i32 s15, s0, 5
	s_cmp_gt_i32 s7, s15
	s_cbranch_scc1 .LBB38_52
; %bb.2:
	s_clause 0x1
	s_load_dwordx4 s[28:31], s[4:5], 0x70
	s_load_dwordx8 s[36:43], s[4:5], 0x50
	s_mul_i32 s1, s23, s8
	s_mul_hi_u32 s2, s22, s8
	s_mul_i32 s0, s22, s8
	s_add_i32 s1, s2, s1
	s_load_dword s33, s[4:5], 0x8c
	s_lshl_b64 s[34:35], s[0:1], 3
	v_lshlrev_b32_e32 v2, 8, v1
	s_add_u32 s0, s16, s34
	s_addc_u32 s1, s17, s35
	s_lshl_b64 s[46:47], s[18:19], 3
	v_lshlrev_b32_e32 v48, 3, v0
	s_add_u32 s3, s0, s46
	s_addc_u32 s4, s1, s47
	v_add_nc_u32_e32 v49, 0x2000, v2
	s_mov_b32 s22, s13
	v_add_nc_u32_e32 v50, v48, v2
	v_mov_b32_e32 v24, 0
	v_add_nc_u32_e32 v51, v49, v48
	s_waitcnt lgkmcnt(0)
	s_mul_i32 s1, s31, s8
	s_mul_hi_u32 s2, s30, s8
	s_mul_i32 s0, s30, s8
	s_add_i32 s1, s2, s1
	s_lshl_b64 s[0:1], s[0:1], 3
	s_add_u32 s2, s40, s0
	s_addc_u32 s5, s41, s1
	s_lshl_b64 s[0:1], s[42:43], 3
	s_add_u32 s40, s2, s0
	s_addc_u32 s41, s5, s1
	s_lshl_b32 s0, s6, 5
	v_add_nc_u32_e32 v2, s0, v1
	v_add_nc_u32_e32 v4, s0, v0
	s_sub_i32 s42, s13, s0
	s_cmp_gt_i32 s42, 0
	v_ashrrev_i32_e32 v3, 31, v2
	v_mul_lo_u32 v0, s21, v2
	v_mad_u64_u32 v[10:11], null, s20, v2, 0
	v_ashrrev_i32_e32 v5, 31, v4
	v_mul_lo_u32 v7, s20, v3
	v_add_co_u32 v8, vcc_lo, v4, 16
	v_lshlrev_b64 v[16:17], 3, v[2:3]
	v_add_co_ci_u32_e64 v9, null, 0, v5, vcc_lo
	s_cselect_b32 s43, -1, 0
	s_cmpk_eq_i32 s12, 0x84
	v_add3_u32 v11, v11, v7, v0
	s_cselect_b32 s44, -1, 0
	s_ashr_i32 s23, s13, 31
	s_ashr_i32 s45, s14, 31
	s_lshl_b64 s[18:19], s[20:21], 8
	v_lshlrev_b64 v[10:11], 3, v[10:11]
	s_add_u32 s30, s13, -16
	s_addc_u32 s31, s23, -1
	v_add_nc_u32_e32 v6, 16, v4
	v_cmp_le_i64_e64 s2, s[22:23], v[8:9]
	v_lshlrev_b64 v[20:21], 3, v[4:5]
	v_add_co_u32 v10, vcc_lo, s3, v10
	v_add_co_ci_u32_e64 v11, null, s4, v11, vcc_lo
	v_sub_co_u32 v12, vcc_lo, v4, v2
	v_sub_co_ci_u32_e64 v13, null, v5, v3, vcc_lo
	s_add_u32 s4, s16, s46
	v_add_co_u32 v14, vcc_lo, v12, 16
	v_add_co_ci_u32_e64 v15, null, 0, v13, vcc_lo
	v_add_co_u32 v0, vcc_lo, 0x80, v16
	v_add_co_ci_u32_e64 v18, null, 0, v17, vcc_lo
	s_addc_u32 s5, s17, s47
	s_add_u32 s4, s4, s34
	s_addc_u32 s5, s5, s35
	v_mul_lo_u32 v22, s20, v18
	v_mad_u64_u32 v[16:17], null, s20, v0, s[4:5]
	v_mul_lo_u32 v0, s21, v0
	s_mul_i32 s4, s39, s8
	s_mul_hi_u32 s5, s38, s8
	v_add_co_u32 v18, vcc_lo, v12, -16
	s_add_i32 s5, s5, s4
	s_mul_i32 s4, s38, s8
	s_lshl_b64 s[8:9], s[26:27], 3
	s_lshl_b64 s[4:5], s[4:5], 3
	v_cmp_le_i32_e64 s0, s13, v4
	s_add_u32 s4, s4, s8
	s_addc_u32 s5, s5, s9
	v_cmp_gt_i32_e64 s1, s13, v4
	v_cmp_gt_i32_e64 s3, s13, v6
	v_ashrrev_i32_e32 v7, 31, v6
	v_add_co_ci_u32_e64 v19, null, -1, v13, vcc_lo
	v_add3_u32 v17, v0, v17, v22
	s_add_u32 s12, s24, s4
	v_lshl_add_u32 v22, s7, 5, v1
	v_mov_b32_e32 v0, 0x3ff00000
	s_addc_u32 s13, s25, s5
	s_add_u32 s16, s12, 0x80
	s_addc_u32 s17, s13, 0
	s_lshl_b64 s[20:21], s[36:37], 3
	s_lshl_b32 s26, s33, 5
	s_branch .LBB38_4
.LBB38_3:                               ;   in Loop: Header=BB38_4 Depth=1
	s_or_b32 exec_lo, exec_lo, s4
	v_add_nc_u32_e32 v22, s26, v22
	s_add_i32 s7, s33, s7
	s_cmp_le_i32 s7, s15
	s_cbranch_scc0 .LBB38_52
.LBB38_4:                               ; =>This Loop Header: Depth=1
                                        ;     Child Loop BB38_7 Depth 2
	v_lshl_add_u32 v52, s7, 5, v1
	s_andn2_b32 vcc_lo, exec_lo, s43
	v_ashrrev_i32_e32 v53, 31, v52
	s_cbranch_vccnz .LBB38_43
; %bb.5:                                ;   in Loop: Header=BB38_4 Depth=1
	v_ashrrev_i32_e32 v23, 31, v22
	v_mad_u64_u32 v[26:27], null, s20, v22, s[16:17]
	v_mul_lo_u32 v25, s21, v22
	v_mov_b32_e32 v34, 0
	v_lshlrev_b64 v[28:29], 3, v[22:23]
	v_mul_lo_u32 v23, s20, v23
	v_mov_b32_e32 v31, v11
	v_mov_b32_e32 v36, 0
	;; [unrolled: 1-line block ×4, first 2 shown]
	v_add_co_u32 v28, vcc_lo, 0x80, v28
	v_add_co_ci_u32_e64 v29, null, 0, v29, vcc_lo
	v_sub_co_u32 v32, vcc_lo, s14, v52
	v_mul_lo_u32 v39, s37, v28
	v_mul_lo_u32 v38, s36, v29
	v_mad_u64_u32 v[28:29], null, s36, v28, s[12:13]
	v_sub_co_ci_u32_e64 v33, null, s45, v53, vcc_lo
	v_mov_b32_e32 v30, v10
	v_mov_b32_e32 v37, 0
	v_add3_u32 v27, v25, v27, v23
	v_cmp_lt_i64_e32 vcc_lo, 0, v[32:33]
	v_cmp_lt_i64_e64 s4, 16, v[32:33]
	v_add3_u32 v29, v39, v29, v38
	v_mov_b32_e32 v38, 0
	v_mov_b32_e32 v33, v17
	;; [unrolled: 1-line block ×5, first 2 shown]
	s_mov_b64 s[24:25], 0
	s_branch .LBB38_7
.LBB38_6:                               ;   in Loop: Header=BB38_7 Depth=2
	s_or_b32 exec_lo, exec_lo, s5
	s_waitcnt lgkmcnt(0)
	s_barrier
	buffer_gl0_inv
	ds_read_b128 v[42:45], v49
	ds_read2_b64 v[54:57], v48 offset1:16
	ds_read_b128 v[58:61], v49 offset:4096
	ds_read_b128 v[62:65], v49 offset:16
	ds_read2_b64 v[66:69], v48 offset0:32 offset1:48
	ds_read_b128 v[70:73], v49 offset:4112
	v_add_nc_u32_e32 v23, 0x800, v48
	v_add_co_u32 v32, s5, v32, s18
	v_add_co_ci_u32_e64 v33, null, s19, v33, s5
	v_add_co_u32 v26, s5, 0x100, v26
	v_add_co_ci_u32_e64 v27, null, 0, v27, s5
	;; [unrolled: 2-line block ×3, first 2 shown]
	v_add_co_u32 v28, s5, 0x100, v28
	s_waitcnt lgkmcnt(4)
	v_fma_f64 v[40:41], v[54:55], v[42:43], v[40:41]
	v_fma_f64 v[38:39], v[56:57], v[42:43], v[38:39]
	s_waitcnt lgkmcnt(3)
	v_fma_f64 v[42:43], v[54:55], v[58:59], v[36:37]
	v_fma_f64 v[46:47], v[56:57], v[58:59], v[34:35]
	ds_read2_b64 v[34:37], v48 offset0:64 offset1:80
	v_add_co_ci_u32_e64 v29, null, 0, v29, s5
	s_add_u32 s24, s24, 32
	s_addc_u32 s25, s25, 0
	s_cmp_ge_i32 s24, s42
	s_waitcnt lgkmcnt(2)
	v_fma_f64 v[54:55], v[66:67], v[44:45], v[40:41]
	v_fma_f64 v[44:45], v[68:69], v[44:45], v[38:39]
	;; [unrolled: 1-line block ×4, first 2 shown]
	ds_read2_b64 v[38:41], v48 offset0:96 offset1:112
	s_waitcnt lgkmcnt(1)
	v_fma_f64 v[54:55], v[34:35], v[62:63], v[54:55]
	v_fma_f64 v[56:57], v[36:37], v[62:63], v[44:45]
	;; [unrolled: 1-line block ×4, first 2 shown]
	ds_read_b128 v[34:37], v49 offset:32
	ds_read2_b64 v[42:45], v48 offset0:128 offset1:144
	s_waitcnt lgkmcnt(2)
	v_fma_f64 v[66:67], v[38:39], v[64:65], v[54:55]
	v_fma_f64 v[68:69], v[40:41], v[64:65], v[56:57]
	v_fma_f64 v[70:71], v[38:39], v[72:73], v[58:59]
	v_fma_f64 v[46:47], v[40:41], v[72:73], v[46:47]
	ds_read_b128 v[38:41], v49 offset:4128
	ds_read_b128 v[54:57], v49 offset:48
	ds_read2_b64 v[58:61], v48 offset0:160 offset1:176
	ds_read_b128 v[62:65], v49 offset:4144
	s_waitcnt lgkmcnt(4)
	v_fma_f64 v[66:67], v[42:43], v[34:35], v[66:67]
	v_fma_f64 v[34:35], v[44:45], v[34:35], v[68:69]
	s_waitcnt lgkmcnt(3)
	v_fma_f64 v[68:69], v[42:43], v[38:39], v[70:71]
	v_fma_f64 v[38:39], v[44:45], v[38:39], v[46:47]
	ds_read2_b64 v[42:45], v48 offset0:192 offset1:208
	s_waitcnt lgkmcnt(2)
	v_fma_f64 v[46:47], v[58:59], v[36:37], v[66:67]
	v_fma_f64 v[66:67], v[60:61], v[36:37], v[34:35]
	;; [unrolled: 1-line block ×4, first 2 shown]
	ds_read2_b64 v[34:37], v48 offset0:224 offset1:240
	s_waitcnt lgkmcnt(1)
	v_fma_f64 v[46:47], v[42:43], v[54:55], v[46:47]
	v_fma_f64 v[54:55], v[44:45], v[54:55], v[66:67]
	;; [unrolled: 1-line block ×4, first 2 shown]
	ds_read_b128 v[38:41], v49 offset:64
	ds_read2_b64 v[42:45], v23 offset1:16
	s_waitcnt lgkmcnt(2)
	v_fma_f64 v[46:47], v[34:35], v[56:57], v[46:47]
	v_fma_f64 v[66:67], v[36:37], v[56:57], v[54:55]
	;; [unrolled: 1-line block ×4, first 2 shown]
	ds_read_b128 v[34:37], v49 offset:4160
	ds_read_b128 v[54:57], v49 offset:80
	;; [unrolled: 1-line block ×3, first 2 shown]
	ds_read2_b64 v[62:65], v23 offset0:32 offset1:48
	s_waitcnt lgkmcnt(4)
	v_fma_f64 v[46:47], v[42:43], v[38:39], v[46:47]
	v_fma_f64 v[38:39], v[44:45], v[38:39], v[66:67]
	s_waitcnt lgkmcnt(3)
	v_fma_f64 v[66:67], v[42:43], v[34:35], v[68:69]
	v_fma_f64 v[34:35], v[44:45], v[34:35], v[70:71]
	ds_read2_b64 v[42:45], v23 offset0:64 offset1:80
	s_waitcnt lgkmcnt(1)
	v_fma_f64 v[46:47], v[62:63], v[40:41], v[46:47]
	v_fma_f64 v[38:39], v[64:65], v[40:41], v[38:39]
	;; [unrolled: 1-line block ×4, first 2 shown]
	ds_read2_b64 v[34:37], v23 offset0:96 offset1:112
	s_waitcnt lgkmcnt(1)
	v_fma_f64 v[46:47], v[42:43], v[54:55], v[46:47]
	v_fma_f64 v[54:55], v[44:45], v[54:55], v[38:39]
	;; [unrolled: 1-line block ×4, first 2 shown]
	ds_read_b128 v[38:41], v49 offset:96
	ds_read2_b64 v[42:45], v23 offset0:128 offset1:144
	s_waitcnt lgkmcnt(2)
	v_fma_f64 v[46:47], v[34:35], v[56:57], v[46:47]
	v_fma_f64 v[66:67], v[36:37], v[56:57], v[54:55]
	;; [unrolled: 1-line block ×4, first 2 shown]
	ds_read_b128 v[34:37], v49 offset:4192
	ds_read_b128 v[54:57], v49 offset:112
	;; [unrolled: 1-line block ×3, first 2 shown]
	ds_read2_b64 v[62:65], v23 offset0:160 offset1:176
	s_waitcnt lgkmcnt(4)
	v_fma_f64 v[46:47], v[42:43], v[38:39], v[46:47]
	v_fma_f64 v[38:39], v[44:45], v[38:39], v[66:67]
	s_waitcnt lgkmcnt(3)
	v_fma_f64 v[66:67], v[42:43], v[34:35], v[68:69]
	v_fma_f64 v[34:35], v[44:45], v[34:35], v[70:71]
	ds_read2_b64 v[42:45], v23 offset0:192 offset1:208
	s_waitcnt lgkmcnt(1)
	v_fma_f64 v[46:47], v[62:63], v[40:41], v[46:47]
	v_fma_f64 v[38:39], v[64:65], v[40:41], v[38:39]
	;; [unrolled: 1-line block ×4, first 2 shown]
	ds_read2_b64 v[34:37], v23 offset0:224 offset1:240
	v_add_nc_u32_e32 v23, 0x1000, v48
	s_waitcnt lgkmcnt(1)
	v_fma_f64 v[46:47], v[42:43], v[54:55], v[46:47]
	v_fma_f64 v[54:55], v[44:45], v[54:55], v[38:39]
	;; [unrolled: 1-line block ×4, first 2 shown]
	ds_read_b128 v[38:41], v49 offset:128
	ds_read2_b64 v[42:45], v23 offset1:16
	s_waitcnt lgkmcnt(2)
	v_fma_f64 v[46:47], v[34:35], v[56:57], v[46:47]
	v_fma_f64 v[66:67], v[36:37], v[56:57], v[54:55]
	;; [unrolled: 1-line block ×4, first 2 shown]
	ds_read_b128 v[34:37], v49 offset:4224
	ds_read_b128 v[54:57], v49 offset:144
	;; [unrolled: 1-line block ×3, first 2 shown]
	ds_read2_b64 v[62:65], v23 offset0:32 offset1:48
	s_waitcnt lgkmcnt(4)
	v_fma_f64 v[46:47], v[42:43], v[38:39], v[46:47]
	v_fma_f64 v[38:39], v[44:45], v[38:39], v[66:67]
	s_waitcnt lgkmcnt(3)
	v_fma_f64 v[66:67], v[42:43], v[34:35], v[68:69]
	v_fma_f64 v[34:35], v[44:45], v[34:35], v[70:71]
	ds_read2_b64 v[42:45], v23 offset0:64 offset1:80
	s_waitcnt lgkmcnt(1)
	v_fma_f64 v[46:47], v[62:63], v[40:41], v[46:47]
	v_fma_f64 v[38:39], v[64:65], v[40:41], v[38:39]
	;; [unrolled: 1-line block ×4, first 2 shown]
	ds_read2_b64 v[34:37], v23 offset0:96 offset1:112
	s_waitcnt lgkmcnt(1)
	v_fma_f64 v[46:47], v[42:43], v[54:55], v[46:47]
	v_fma_f64 v[54:55], v[44:45], v[54:55], v[38:39]
	;; [unrolled: 1-line block ×4, first 2 shown]
	ds_read_b128 v[38:41], v49 offset:160
	ds_read2_b64 v[42:45], v23 offset0:128 offset1:144
	s_waitcnt lgkmcnt(2)
	v_fma_f64 v[46:47], v[34:35], v[56:57], v[46:47]
	v_fma_f64 v[66:67], v[36:37], v[56:57], v[54:55]
	;; [unrolled: 1-line block ×4, first 2 shown]
	ds_read_b128 v[34:37], v49 offset:4256
	ds_read_b128 v[54:57], v49 offset:176
	;; [unrolled: 1-line block ×3, first 2 shown]
	ds_read2_b64 v[62:65], v23 offset0:160 offset1:176
	s_waitcnt lgkmcnt(4)
	v_fma_f64 v[46:47], v[42:43], v[38:39], v[46:47]
	v_fma_f64 v[38:39], v[44:45], v[38:39], v[66:67]
	s_waitcnt lgkmcnt(3)
	v_fma_f64 v[66:67], v[42:43], v[34:35], v[68:69]
	v_fma_f64 v[34:35], v[44:45], v[34:35], v[70:71]
	ds_read2_b64 v[42:45], v23 offset0:192 offset1:208
	s_waitcnt lgkmcnt(1)
	v_fma_f64 v[46:47], v[62:63], v[40:41], v[46:47]
	v_fma_f64 v[38:39], v[64:65], v[40:41], v[38:39]
	;; [unrolled: 1-line block ×4, first 2 shown]
	ds_read2_b64 v[34:37], v23 offset0:224 offset1:240
	v_add_nc_u32_e32 v23, 0x1800, v48
	s_waitcnt lgkmcnt(1)
	v_fma_f64 v[46:47], v[42:43], v[54:55], v[46:47]
	v_fma_f64 v[54:55], v[44:45], v[54:55], v[38:39]
	;; [unrolled: 1-line block ×4, first 2 shown]
	ds_read_b128 v[38:41], v49 offset:192
	ds_read2_b64 v[42:45], v23 offset1:16
	s_waitcnt lgkmcnt(2)
	v_fma_f64 v[46:47], v[34:35], v[56:57], v[46:47]
	v_fma_f64 v[66:67], v[36:37], v[56:57], v[54:55]
	;; [unrolled: 1-line block ×4, first 2 shown]
	ds_read_b128 v[34:37], v49 offset:4288
	ds_read_b128 v[54:57], v49 offset:208
	;; [unrolled: 1-line block ×3, first 2 shown]
	ds_read2_b64 v[62:65], v23 offset0:32 offset1:48
	s_waitcnt lgkmcnt(4)
	v_fma_f64 v[46:47], v[42:43], v[38:39], v[46:47]
	v_fma_f64 v[38:39], v[44:45], v[38:39], v[66:67]
	s_waitcnt lgkmcnt(3)
	v_fma_f64 v[66:67], v[42:43], v[34:35], v[68:69]
	v_fma_f64 v[34:35], v[44:45], v[34:35], v[70:71]
	ds_read2_b64 v[42:45], v23 offset0:64 offset1:80
	s_waitcnt lgkmcnt(1)
	v_fma_f64 v[46:47], v[62:63], v[40:41], v[46:47]
	v_fma_f64 v[38:39], v[64:65], v[40:41], v[38:39]
	;; [unrolled: 1-line block ×4, first 2 shown]
	ds_read2_b64 v[34:37], v23 offset0:96 offset1:112
	s_waitcnt lgkmcnt(1)
	v_fma_f64 v[46:47], v[42:43], v[54:55], v[46:47]
	v_fma_f64 v[54:55], v[44:45], v[54:55], v[38:39]
	;; [unrolled: 1-line block ×4, first 2 shown]
	ds_read_b128 v[38:41], v49 offset:224
	ds_read2_b64 v[42:45], v23 offset0:128 offset1:144
	s_waitcnt lgkmcnt(2)
	v_fma_f64 v[46:47], v[34:35], v[56:57], v[46:47]
	v_fma_f64 v[66:67], v[36:37], v[56:57], v[54:55]
	;; [unrolled: 1-line block ×4, first 2 shown]
	ds_read_b128 v[34:37], v49 offset:4320
	ds_read_b128 v[54:57], v49 offset:240
	;; [unrolled: 1-line block ×3, first 2 shown]
	ds_read2_b64 v[62:65], v23 offset0:160 offset1:176
	s_waitcnt lgkmcnt(4)
	v_fma_f64 v[46:47], v[42:43], v[38:39], v[46:47]
	v_fma_f64 v[38:39], v[44:45], v[38:39], v[66:67]
	s_waitcnt lgkmcnt(3)
	v_fma_f64 v[66:67], v[42:43], v[34:35], v[68:69]
	v_fma_f64 v[34:35], v[44:45], v[34:35], v[70:71]
	ds_read2_b64 v[42:45], v23 offset0:192 offset1:208
	s_waitcnt lgkmcnt(1)
	v_fma_f64 v[46:47], v[62:63], v[40:41], v[46:47]
	v_fma_f64 v[38:39], v[64:65], v[40:41], v[38:39]
	;; [unrolled: 1-line block ×4, first 2 shown]
	ds_read2_b64 v[62:65], v23 offset0:224 offset1:240
	s_waitcnt lgkmcnt(0)
	s_barrier
	buffer_gl0_inv
	v_fma_f64 v[36:37], v[42:43], v[54:55], v[46:47]
	v_fma_f64 v[38:39], v[44:45], v[54:55], v[38:39]
	;; [unrolled: 1-line block ×8, first 2 shown]
	s_cbranch_scc1 .LBB38_44
.LBB38_7:                               ;   Parent Loop BB38_4 Depth=1
                                        ; =>  This Inner Loop Header: Depth=2
	v_add_co_u32 v42, s5, v2, s24
	v_add_co_ci_u32_e64 v43, null, s25, v3, s5
	v_cmp_eq_u64_e64 s8, s[24:25], v[12:13]
                                        ; implicit-def: $vgpr46_vgpr47
	v_cmp_le_i64_e64 s6, s[22:23], v[42:43]
	v_cmp_lt_i64_e64 s5, v[42:43], v[4:5]
	s_and_b32 s27, s44, s8
	v_add_co_u32 v44, s8, v30, v20
	v_add_co_ci_u32_e64 v45, null, v31, v21, s8
	s_or_b32 s9, s6, s5
	s_or_b32 s8, s9, s27
	s_nor_b32 s8, s0, s8
	s_and_saveexec_b32 s9, s8
	s_xor_b32 s8, exec_lo, s9
	s_cbranch_execz .LBB38_9
; %bb.8:                                ;   in Loop: Header=BB38_7 Depth=2
	global_load_dwordx2 v[46:47], v[44:45], off
.LBB38_9:                               ;   in Loop: Header=BB38_7 Depth=2
	s_andn2_saveexec_b32 s8, s8
	s_cbranch_execz .LBB38_11
; %bb.10:                               ;   in Loop: Header=BB38_7 Depth=2
	v_cndmask_b32_e64 v25, 0, 0x3ff00000, s27
	s_waitcnt vmcnt(0)
	v_mov_b32_e32 v47, v25
	v_mov_b32_e32 v46, v24
.LBB38_11:                              ;   in Loop: Header=BB38_7 Depth=2
	s_or_b32 exec_lo, exec_lo, s8
	v_cmp_eq_u64_e64 s8, s[24:25], v[14:15]
	v_cmp_gt_i64_e64 s9, v[8:9], v[42:43]
	s_waitcnt vmcnt(0)
	ds_write_b64 v50, v[46:47]
	s_and_b32 s8, s44, s8
	s_or_b32 s6, s6, s9
	s_or_b32 s6, s6, s8
	s_nor_b32 s6, s2, s6
	s_and_saveexec_b32 s9, s6
	s_xor_b32 s6, exec_lo, s9
	s_cbranch_execz .LBB38_13
; %bb.12:                               ;   in Loop: Header=BB38_7 Depth=2
	global_load_dwordx2 v[44:45], v[44:45], off offset:128
	s_waitcnt vmcnt(0)
	ds_write_b64 v50, v[44:45] offset:128
.LBB38_13:                              ;   in Loop: Header=BB38_7 Depth=2
	s_andn2_saveexec_b32 s6, s6
	s_cbranch_execz .LBB38_19
; %bb.14:                               ;   in Loop: Header=BB38_7 Depth=2
	s_xor_b32 s8, s8, -1
	s_and_saveexec_b32 s9, s8
	s_xor_b32 s8, exec_lo, s9
; %bb.15:                               ;   in Loop: Header=BB38_7 Depth=2
	v_mov_b32_e32 v25, v24
	ds_write_b64 v50, v[24:25] offset:128
; %bb.16:                               ;   in Loop: Header=BB38_7 Depth=2
	s_andn2_saveexec_b32 s8, s8
; %bb.17:                               ;   in Loop: Header=BB38_7 Depth=2
	v_mov_b32_e32 v25, v0
	ds_write_b64 v50, v[24:25] offset:128
; %bb.18:                               ;   in Loop: Header=BB38_7 Depth=2
	s_or_b32 exec_lo, exec_lo, s8
.LBB38_19:                              ;   in Loop: Header=BB38_7 Depth=2
	s_or_b32 exec_lo, exec_lo, s6
	v_add_co_u32 v42, s6, v42, 16
	v_add_co_ci_u32_e64 v43, null, 0, v43, s6
	v_cmp_eq_u64_e64 s8, s[24:25], v[18:19]
                                        ; implicit-def: $vgpr44_vgpr45
	v_cmp_le_i64_e64 s6, s[22:23], v[42:43]
	v_cmp_lt_i64_e64 s9, v[42:43], v[4:5]
	s_and_b32 s34, s44, s8
	v_add_co_u32 v42, s8, v32, v20
	v_add_co_ci_u32_e64 v43, null, v33, v21, s8
	s_or_b32 s9, s6, s9
	s_or_b32 s8, s9, s34
	s_nor_b32 s8, s0, s8
	s_and_saveexec_b32 s9, s8
	s_xor_b32 s8, exec_lo, s9
	s_cbranch_execz .LBB38_21
; %bb.20:                               ;   in Loop: Header=BB38_7 Depth=2
	global_load_dwordx2 v[44:45], v[42:43], off
.LBB38_21:                              ;   in Loop: Header=BB38_7 Depth=2
	s_andn2_saveexec_b32 s8, s8
	s_cbranch_execz .LBB38_23
; %bb.22:                               ;   in Loop: Header=BB38_7 Depth=2
	v_cndmask_b32_e64 v25, 0, 0x3ff00000, s34
	s_waitcnt vmcnt(0)
	v_mov_b32_e32 v45, v25
	v_mov_b32_e32 v44, v24
.LBB38_23:                              ;   in Loop: Header=BB38_7 Depth=2
	s_or_b32 exec_lo, exec_lo, s8
	s_or_b32 s5, s6, s5
	s_waitcnt vmcnt(0)
	ds_write_b64 v50, v[44:45] offset:4096
	s_or_b32 s5, s5, s27
	s_nor_b32 s5, s2, s5
	s_and_saveexec_b32 s6, s5
	s_xor_b32 s5, exec_lo, s6
	s_cbranch_execz .LBB38_25
; %bb.24:                               ;   in Loop: Header=BB38_7 Depth=2
	global_load_dwordx2 v[42:43], v[42:43], off offset:128
	s_waitcnt vmcnt(0)
	ds_write_b64 v50, v[42:43] offset:4224
.LBB38_25:                              ;   in Loop: Header=BB38_7 Depth=2
	s_andn2_saveexec_b32 s5, s5
	s_cbranch_execz .LBB38_31
; %bb.26:                               ;   in Loop: Header=BB38_7 Depth=2
	s_xor_b32 s6, s27, -1
	s_and_saveexec_b32 s8, s6
	s_xor_b32 s6, exec_lo, s8
; %bb.27:                               ;   in Loop: Header=BB38_7 Depth=2
	v_mov_b32_e32 v25, v24
	ds_write_b64 v50, v[24:25] offset:4224
; %bb.28:                               ;   in Loop: Header=BB38_7 Depth=2
	s_andn2_saveexec_b32 s6, s6
; %bb.29:                               ;   in Loop: Header=BB38_7 Depth=2
	v_mov_b32_e32 v25, v0
	ds_write_b64 v50, v[24:25] offset:4224
; %bb.30:                               ;   in Loop: Header=BB38_7 Depth=2
	s_or_b32 exec_lo, exec_lo, s6
.LBB38_31:                              ;   in Loop: Header=BB38_7 Depth=2
	s_or_b32 exec_lo, exec_lo, s5
	v_add_co_u32 v44, s5, v4, s24
	v_add_co_ci_u32_e64 v45, null, s25, v5, s5
	v_add_co_u32 v42, s6, v26, v20
	v_mov_b32_e32 v46, 0
	v_cmp_gt_i64_e64 s5, s[22:23], v[44:45]
	v_mov_b32_e32 v47, 0
	v_add_co_ci_u32_e64 v43, null, v27, v21, s6
	s_and_b32 s8, vcc_lo, s5
	s_and_saveexec_b32 s6, s8
	s_cbranch_execz .LBB38_33
; %bb.32:                               ;   in Loop: Header=BB38_7 Depth=2
	global_load_dwordx2 v[46:47], v[42:43], off offset:-128
.LBB38_33:                              ;   in Loop: Header=BB38_7 Depth=2
	s_or_b32 exec_lo, exec_lo, s6
	v_cmp_gt_i64_e64 s6, s[30:31], v[44:45]
	s_waitcnt vmcnt(0)
	ds_write_b64 v51, v[46:47]
	s_and_b32 s8, vcc_lo, s6
	s_xor_b32 s8, s8, -1
	s_and_saveexec_b32 s9, s8
	s_xor_b32 s8, exec_lo, s9
; %bb.34:                               ;   in Loop: Header=BB38_7 Depth=2
	v_mov_b32_e32 v25, v24
                                        ; implicit-def: $vgpr42_vgpr43
	ds_write_b64 v51, v[24:25] offset:128
; %bb.35:                               ;   in Loop: Header=BB38_7 Depth=2
	s_andn2_saveexec_b32 s8, s8
	s_cbranch_execz .LBB38_37
; %bb.36:                               ;   in Loop: Header=BB38_7 Depth=2
	global_load_dwordx2 v[42:43], v[42:43], off
	s_waitcnt vmcnt(0)
	ds_write_b64 v51, v[42:43] offset:128
.LBB38_37:                              ;   in Loop: Header=BB38_7 Depth=2
	s_or_b32 exec_lo, exec_lo, s8
	v_add_co_u32 v42, s8, v28, v20
	v_mov_b32_e32 v44, 0
	v_mov_b32_e32 v45, 0
	v_add_co_ci_u32_e64 v43, null, v29, v21, s8
	s_and_b32 s8, s4, s5
	s_and_saveexec_b32 s5, s8
	s_cbranch_execz .LBB38_39
; %bb.38:                               ;   in Loop: Header=BB38_7 Depth=2
	global_load_dwordx2 v[44:45], v[42:43], off
.LBB38_39:                              ;   in Loop: Header=BB38_7 Depth=2
	s_or_b32 exec_lo, exec_lo, s5
	s_and_b32 s5, s4, s6
	s_waitcnt vmcnt(0)
	ds_write_b64 v51, v[44:45] offset:4096
	s_xor_b32 s5, s5, -1
	s_and_saveexec_b32 s6, s5
	s_xor_b32 s5, exec_lo, s6
; %bb.40:                               ;   in Loop: Header=BB38_7 Depth=2
	v_mov_b32_e32 v25, v24
                                        ; implicit-def: $vgpr42_vgpr43
	ds_write_b64 v51, v[24:25] offset:4224
; %bb.41:                               ;   in Loop: Header=BB38_7 Depth=2
	s_andn2_saveexec_b32 s5, s5
	s_cbranch_execz .LBB38_6
; %bb.42:                               ;   in Loop: Header=BB38_7 Depth=2
	global_load_dwordx2 v[42:43], v[42:43], off offset:128
	s_waitcnt vmcnt(0)
	ds_write_b64 v51, v[42:43] offset:4224
	s_branch .LBB38_6
.LBB38_43:                              ;   in Loop: Header=BB38_4 Depth=1
	v_mov_b32_e32 v40, 0
	v_mov_b32_e32 v38, 0
	;; [unrolled: 1-line block ×8, first 2 shown]
.LBB38_44:                              ;   in Loop: Header=BB38_4 Depth=1
	v_mul_lo_u32 v23, s29, v52
	v_mul_lo_u32 v27, s28, v53
	v_mad_u64_u32 v[25:26], null, s28, v52, 0
	v_cmp_gt_i32_e32 vcc_lo, s14, v52
	v_add3_u32 v26, v26, v27, v23
	v_lshlrev_b64 v[25:26], 3, v[25:26]
	v_add_co_u32 v23, s4, s40, v25
	v_add_co_ci_u32_e64 v25, null, s41, v26, s4
	s_and_b32 s4, s1, vcc_lo
	s_and_saveexec_b32 s5, s4
	s_cbranch_execz .LBB38_46
; %bb.45:                               ;   in Loop: Header=BB38_4 Depth=1
	v_add_co_u32 v26, s4, v23, v20
	v_add_co_ci_u32_e64 v27, null, v25, v21, s4
	global_load_dwordx2 v[28:29], v[26:27], off
	s_waitcnt vmcnt(0)
	v_fma_f64 v[28:29], s[10:11], v[40:41], v[28:29]
	global_store_dwordx2 v[26:27], v[28:29], off
.LBB38_46:                              ;   in Loop: Header=BB38_4 Depth=1
	s_or_b32 exec_lo, exec_lo, s5
	s_and_b32 s5, s3, vcc_lo
	s_and_saveexec_b32 s4, s5
	s_cbranch_execz .LBB38_48
; %bb.47:                               ;   in Loop: Header=BB38_4 Depth=1
	v_lshlrev_b64 v[26:27], 3, v[6:7]
	v_add_co_u32 v26, vcc_lo, v23, v26
	v_add_co_ci_u32_e64 v27, null, v25, v27, vcc_lo
	global_load_dwordx2 v[28:29], v[26:27], off
	s_waitcnt vmcnt(0)
	v_fma_f64 v[28:29], s[10:11], v[38:39], v[28:29]
	global_store_dwordx2 v[26:27], v[28:29], off
.LBB38_48:                              ;   in Loop: Header=BB38_4 Depth=1
	s_or_b32 exec_lo, exec_lo, s4
	v_add_nc_u32_e32 v23, 16, v52
	v_ashrrev_i32_e32 v27, 31, v23
	v_mul_lo_u32 v28, s29, v23
	v_mad_u64_u32 v[25:26], null, s28, v23, 0
	v_cmp_gt_i32_e32 vcc_lo, s14, v23
	v_mul_lo_u32 v27, s28, v27
	v_add3_u32 v26, v26, v27, v28
	v_lshlrev_b64 v[25:26], 3, v[25:26]
	v_add_co_u32 v23, s4, s40, v25
	v_add_co_ci_u32_e64 v25, null, s41, v26, s4
	s_and_b32 s4, s1, vcc_lo
	s_and_saveexec_b32 s5, s4
	s_cbranch_execz .LBB38_50
; %bb.49:                               ;   in Loop: Header=BB38_4 Depth=1
	v_add_co_u32 v26, s4, v23, v20
	v_add_co_ci_u32_e64 v27, null, v25, v21, s4
	global_load_dwordx2 v[28:29], v[26:27], off
	s_waitcnt vmcnt(0)
	v_fma_f64 v[28:29], s[10:11], v[36:37], v[28:29]
	global_store_dwordx2 v[26:27], v[28:29], off
.LBB38_50:                              ;   in Loop: Header=BB38_4 Depth=1
	s_or_b32 exec_lo, exec_lo, s5
	s_and_b32 s5, s3, vcc_lo
	s_and_saveexec_b32 s4, s5
	s_cbranch_execz .LBB38_3
; %bb.51:                               ;   in Loop: Header=BB38_4 Depth=1
	v_lshlrev_b64 v[26:27], 3, v[6:7]
	v_add_co_u32 v26, vcc_lo, v23, v26
	v_add_co_ci_u32_e64 v27, null, v25, v27, vcc_lo
	global_load_dwordx2 v[28:29], v[26:27], off
	s_waitcnt vmcnt(0)
	v_fma_f64 v[28:29], s[10:11], v[34:35], v[28:29]
	global_store_dwordx2 v[26:27], v[28:29], off
	s_branch .LBB38_3
.LBB38_52:
	s_endpgm
	.section	.rodata,"a",@progbits
	.p2align	6, 0x0
	.amdhsa_kernel _ZL30rocblas_trmm_outofplace_kernelIdLi32ELi2ELb1ELb1ELb0ELb0EPKdS0_dEv17rocblas_diagonal_iiT6_lPT7_lllS5_lllPT8_llli
		.amdhsa_group_segment_fixed_size 16384
		.amdhsa_private_segment_fixed_size 0
		.amdhsa_kernarg_size 392
		.amdhsa_user_sgpr_count 6
		.amdhsa_user_sgpr_private_segment_buffer 1
		.amdhsa_user_sgpr_dispatch_ptr 0
		.amdhsa_user_sgpr_queue_ptr 0
		.amdhsa_user_sgpr_kernarg_segment_ptr 1
		.amdhsa_user_sgpr_dispatch_id 0
		.amdhsa_user_sgpr_flat_scratch_init 0
		.amdhsa_user_sgpr_private_segment_size 0
		.amdhsa_wavefront_size32 1
		.amdhsa_uses_dynamic_stack 0
		.amdhsa_system_sgpr_private_segment_wavefront_offset 0
		.amdhsa_system_sgpr_workgroup_id_x 1
		.amdhsa_system_sgpr_workgroup_id_y 1
		.amdhsa_system_sgpr_workgroup_id_z 1
		.amdhsa_system_sgpr_workgroup_info 0
		.amdhsa_system_vgpr_workitem_id 1
		.amdhsa_next_free_vgpr 74
		.amdhsa_next_free_sgpr 48
		.amdhsa_reserve_vcc 1
		.amdhsa_reserve_flat_scratch 0
		.amdhsa_float_round_mode_32 0
		.amdhsa_float_round_mode_16_64 0
		.amdhsa_float_denorm_mode_32 3
		.amdhsa_float_denorm_mode_16_64 3
		.amdhsa_dx10_clamp 1
		.amdhsa_ieee_mode 1
		.amdhsa_fp16_overflow 0
		.amdhsa_workgroup_processor_mode 1
		.amdhsa_memory_ordered 1
		.amdhsa_forward_progress 1
		.amdhsa_shared_vgpr_count 0
		.amdhsa_exception_fp_ieee_invalid_op 0
		.amdhsa_exception_fp_denorm_src 0
		.amdhsa_exception_fp_ieee_div_zero 0
		.amdhsa_exception_fp_ieee_overflow 0
		.amdhsa_exception_fp_ieee_underflow 0
		.amdhsa_exception_fp_ieee_inexact 0
		.amdhsa_exception_int_div_zero 0
	.end_amdhsa_kernel
	.section	.text._ZL30rocblas_trmm_outofplace_kernelIdLi32ELi2ELb1ELb1ELb0ELb0EPKdS0_dEv17rocblas_diagonal_iiT6_lPT7_lllS5_lllPT8_llli,"axG",@progbits,_ZL30rocblas_trmm_outofplace_kernelIdLi32ELi2ELb1ELb1ELb0ELb0EPKdS0_dEv17rocblas_diagonal_iiT6_lPT7_lllS5_lllPT8_llli,comdat
.Lfunc_end38:
	.size	_ZL30rocblas_trmm_outofplace_kernelIdLi32ELi2ELb1ELb1ELb0ELb0EPKdS0_dEv17rocblas_diagonal_iiT6_lPT7_lllS5_lllPT8_llli, .Lfunc_end38-_ZL30rocblas_trmm_outofplace_kernelIdLi32ELi2ELb1ELb1ELb0ELb0EPKdS0_dEv17rocblas_diagonal_iiT6_lPT7_lllS5_lllPT8_llli
                                        ; -- End function
	.set _ZL30rocblas_trmm_outofplace_kernelIdLi32ELi2ELb1ELb1ELb0ELb0EPKdS0_dEv17rocblas_diagonal_iiT6_lPT7_lllS5_lllPT8_llli.num_vgpr, 74
	.set _ZL30rocblas_trmm_outofplace_kernelIdLi32ELi2ELb1ELb1ELb0ELb0EPKdS0_dEv17rocblas_diagonal_iiT6_lPT7_lllS5_lllPT8_llli.num_agpr, 0
	.set _ZL30rocblas_trmm_outofplace_kernelIdLi32ELi2ELb1ELb1ELb0ELb0EPKdS0_dEv17rocblas_diagonal_iiT6_lPT7_lllS5_lllPT8_llli.numbered_sgpr, 48
	.set _ZL30rocblas_trmm_outofplace_kernelIdLi32ELi2ELb1ELb1ELb0ELb0EPKdS0_dEv17rocblas_diagonal_iiT6_lPT7_lllS5_lllPT8_llli.num_named_barrier, 0
	.set _ZL30rocblas_trmm_outofplace_kernelIdLi32ELi2ELb1ELb1ELb0ELb0EPKdS0_dEv17rocblas_diagonal_iiT6_lPT7_lllS5_lllPT8_llli.private_seg_size, 0
	.set _ZL30rocblas_trmm_outofplace_kernelIdLi32ELi2ELb1ELb1ELb0ELb0EPKdS0_dEv17rocblas_diagonal_iiT6_lPT7_lllS5_lllPT8_llli.uses_vcc, 1
	.set _ZL30rocblas_trmm_outofplace_kernelIdLi32ELi2ELb1ELb1ELb0ELb0EPKdS0_dEv17rocblas_diagonal_iiT6_lPT7_lllS5_lllPT8_llli.uses_flat_scratch, 0
	.set _ZL30rocblas_trmm_outofplace_kernelIdLi32ELi2ELb1ELb1ELb0ELb0EPKdS0_dEv17rocblas_diagonal_iiT6_lPT7_lllS5_lllPT8_llli.has_dyn_sized_stack, 0
	.set _ZL30rocblas_trmm_outofplace_kernelIdLi32ELi2ELb1ELb1ELb0ELb0EPKdS0_dEv17rocblas_diagonal_iiT6_lPT7_lllS5_lllPT8_llli.has_recursion, 0
	.set _ZL30rocblas_trmm_outofplace_kernelIdLi32ELi2ELb1ELb1ELb0ELb0EPKdS0_dEv17rocblas_diagonal_iiT6_lPT7_lllS5_lllPT8_llli.has_indirect_call, 0
	.section	.AMDGPU.csdata,"",@progbits
; Kernel info:
; codeLenInByte = 3884
; TotalNumSgprs: 50
; NumVgprs: 74
; ScratchSize: 0
; MemoryBound: 0
; FloatMode: 240
; IeeeMode: 1
; LDSByteSize: 16384 bytes/workgroup (compile time only)
; SGPRBlocks: 0
; VGPRBlocks: 9
; NumSGPRsForWavesPerEU: 50
; NumVGPRsForWavesPerEU: 74
; Occupancy: 12
; WaveLimiterHint : 0
; COMPUTE_PGM_RSRC2:SCRATCH_EN: 0
; COMPUTE_PGM_RSRC2:USER_SGPR: 6
; COMPUTE_PGM_RSRC2:TRAP_HANDLER: 0
; COMPUTE_PGM_RSRC2:TGID_X_EN: 1
; COMPUTE_PGM_RSRC2:TGID_Y_EN: 1
; COMPUTE_PGM_RSRC2:TGID_Z_EN: 1
; COMPUTE_PGM_RSRC2:TIDIG_COMP_CNT: 1
	.section	.text._ZL30rocblas_trmm_outofplace_kernelIdLi32ELi2ELb1ELb1ELb0ELb0EdKddEv17rocblas_diagonal_iiT6_lPT7_lllS4_lllPT8_llli,"axG",@progbits,_ZL30rocblas_trmm_outofplace_kernelIdLi32ELi2ELb1ELb1ELb0ELb0EdKddEv17rocblas_diagonal_iiT6_lPT7_lllS4_lllPT8_llli,comdat
	.globl	_ZL30rocblas_trmm_outofplace_kernelIdLi32ELi2ELb1ELb1ELb0ELb0EdKddEv17rocblas_diagonal_iiT6_lPT7_lllS4_lllPT8_llli ; -- Begin function _ZL30rocblas_trmm_outofplace_kernelIdLi32ELi2ELb1ELb1ELb0ELb0EdKddEv17rocblas_diagonal_iiT6_lPT7_lllS4_lllPT8_llli
	.p2align	8
	.type	_ZL30rocblas_trmm_outofplace_kernelIdLi32ELi2ELb1ELb1ELb0ELb0EdKddEv17rocblas_diagonal_iiT6_lPT7_lllS4_lllPT8_llli,@function
_ZL30rocblas_trmm_outofplace_kernelIdLi32ELi2ELb1ELb1ELb0ELb0EdKddEv17rocblas_diagonal_iiT6_lPT7_lllS4_lllPT8_llli: ; @_ZL30rocblas_trmm_outofplace_kernelIdLi32ELi2ELb1ELb1ELb0ELb0EdKddEv17rocblas_diagonal_iiT6_lPT7_lllS4_lllPT8_llli
; %bb.0:
	s_load_dwordx2 s[10:11], s[4:5], 0x10
	s_waitcnt lgkmcnt(0)
	v_cmp_eq_f64_e64 s0, s[10:11], 0
	s_and_b32 vcc_lo, exec_lo, s0
	s_cbranch_vccnz .LBB39_52
; %bb.1:
	s_load_dwordx4 s[28:31], s[4:5], 0x0
	s_waitcnt lgkmcnt(0)
	s_add_i32 s0, s30, -1
	s_ashr_i32 s1, s0, 31
	s_lshr_b32 s1, s1, 27
	s_add_i32 s0, s0, s1
	s_ashr_i32 s31, s0, 5
	s_cmp_gt_i32 s7, s31
	s_cbranch_scc1 .LBB39_52
; %bb.2:
	s_clause 0x1
	s_load_dwordx16 s[12:27], s[4:5], 0x20
	s_load_dwordx8 s[36:43], s[4:5], 0x60
	v_lshlrev_b32_e32 v2, 8, v1
	v_lshlrev_b32_e32 v48, 3, v0
	s_load_dword s33, s[4:5], 0x8c
	s_mov_b32 s34, s29
	v_mov_b32_e32 v24, 0
	v_add_nc_u32_e32 v50, 0x2000, v2
	v_add_nc_u32_e32 v49, v48, v2
	v_mov_b32_e32 v51, 0x3ff00000
	s_waitcnt lgkmcnt(0)
	s_mul_i32 s1, s19, s8
	s_mul_hi_u32 s2, s18, s8
	s_mul_i32 s0, s18, s8
	s_add_i32 s1, s2, s1
	s_mul_i32 s2, s43, s8
	s_lshl_b64 s[44:45], s[0:1], 3
	s_mul_hi_u32 s1, s42, s8
	s_add_u32 s3, s12, s44
	s_addc_u32 s9, s13, s45
	s_lshl_b64 s[46:47], s[14:15], 3
	s_mul_i32 s0, s42, s8
	s_add_u32 s43, s3, s46
	s_addc_u32 s9, s9, s47
	s_add_i32 s1, s1, s2
	s_lshl_b64 s[0:1], s[0:1], 3
	s_add_u32 s2, s36, s0
	s_addc_u32 s3, s37, s1
	s_lshl_b64 s[0:1], s[38:39], 3
	s_add_u32 s36, s2, s0
	s_addc_u32 s37, s3, s1
	s_lshl_b32 s0, s6, 5
	v_add_nc_u32_e32 v2, s0, v1
	v_add_nc_u32_e32 v4, s0, v0
	s_sub_i32 s38, s29, s0
	v_add_nc_u32_e32 v0, v50, v48
	s_cmp_gt_i32 s38, 0
	v_ashrrev_i32_e32 v3, 31, v2
	v_mul_lo_u32 v7, s17, v2
	v_mad_u64_u32 v[10:11], null, s16, v2, 0
	v_ashrrev_i32_e32 v5, 31, v4
	v_mul_lo_u32 v8, s16, v3
	v_lshlrev_b64 v[16:17], 3, v[2:3]
	s_cselect_b32 s39, -1, 0
	s_cmpk_eq_i32 s28, 0x84
	v_add_nc_u32_e32 v6, 16, v4
	s_cselect_b32 s28, -1, 0
	s_ashr_i32 s35, s29, 31
	s_ashr_i32 s42, s30, 31
	v_add3_u32 v11, v11, v8, v7
	v_add_co_u32 v8, vcc_lo, v4, 16
	v_add_co_ci_u32_e64 v9, null, 0, v5, vcc_lo
	v_lshlrev_b64 v[12:13], 3, v[10:11]
	v_sub_co_u32 v10, vcc_lo, v4, v2
	v_sub_co_ci_u32_e64 v11, null, v5, v3, vcc_lo
	s_lshl_b64 s[14:15], s[16:17], 8
	v_add_co_u32 v12, vcc_lo, s43, v12
	v_add_co_ci_u32_e64 v13, null, s9, v13, vcc_lo
	v_add_co_u32 v14, vcc_lo, v10, 16
	s_add_u32 s18, s29, -16
	v_add_co_ci_u32_e64 v15, null, 0, v11, vcc_lo
	v_add_co_u32 v18, vcc_lo, 0x80, v16
	s_addc_u32 s19, s35, -1
	v_add_co_ci_u32_e64 v19, null, 0, v17, vcc_lo
	s_add_u32 s4, s12, s46
	s_addc_u32 s5, s13, s47
	s_add_u32 s4, s4, s44
	s_addc_u32 s5, s5, s45
	v_mul_lo_u32 v22, s16, v19
	v_mad_u64_u32 v[16:17], null, s16, v18, s[4:5]
	v_mul_lo_u32 v23, s17, v18
	s_mul_i32 s4, s27, s8
	s_mul_hi_u32 s5, s26, s8
	v_add_co_u32 v18, vcc_lo, v10, -16
	s_add_i32 s5, s5, s4
	s_mul_i32 s4, s26, s8
	s_lshl_b64 s[8:9], s[22:23], 3
	s_lshl_b64 s[4:5], s[4:5], 3
	v_cmp_le_i64_e64 s3, s[34:35], v[8:9]
	s_add_u32 s4, s4, s8
	v_lshlrev_b64 v[20:21], 3, v[4:5]
	s_addc_u32 s5, s5, s9
	v_cmp_le_i32_e64 s0, s29, v4
	v_cmp_gt_i32_e64 s1, s29, v4
	v_cmp_gt_i32_e64 s2, s29, v6
	v_ashrrev_i32_e32 v7, 31, v6
	v_add_co_ci_u32_e64 v19, null, -1, v11, vcc_lo
	v_add3_u32 v17, v23, v17, v22
	s_add_u32 s12, s20, s4
	v_lshl_add_u32 v22, s7, 5, v1
	s_addc_u32 s13, s21, s5
	s_add_u32 s16, s12, 0x80
	s_addc_u32 s17, s13, 0
	s_lshl_b64 s[20:21], s[24:25], 3
	s_lshl_b32 s26, s33, 5
	s_branch .LBB39_4
.LBB39_3:                               ;   in Loop: Header=BB39_4 Depth=1
	s_or_b32 exec_lo, exec_lo, s4
	v_add_nc_u32_e32 v22, s26, v22
	s_add_i32 s7, s33, s7
	s_cmp_le_i32 s7, s31
	s_cbranch_scc0 .LBB39_52
.LBB39_4:                               ; =>This Loop Header: Depth=1
                                        ;     Child Loop BB39_7 Depth 2
	v_lshl_add_u32 v52, s7, 5, v1
	s_andn2_b32 vcc_lo, exec_lo, s39
	v_ashrrev_i32_e32 v53, 31, v52
	s_cbranch_vccnz .LBB39_43
; %bb.5:                                ;   in Loop: Header=BB39_4 Depth=1
	v_ashrrev_i32_e32 v23, 31, v22
	v_mad_u64_u32 v[26:27], null, s20, v22, s[16:17]
	v_mul_lo_u32 v25, s21, v22
	v_mov_b32_e32 v34, 0
	v_lshlrev_b64 v[28:29], 3, v[22:23]
	v_mul_lo_u32 v23, s20, v23
	v_mov_b32_e32 v31, v13
	v_mov_b32_e32 v36, 0
	;; [unrolled: 1-line block ×4, first 2 shown]
	v_add_co_u32 v28, vcc_lo, 0x80, v28
	v_add_co_ci_u32_e64 v29, null, 0, v29, vcc_lo
	v_sub_co_u32 v32, vcc_lo, s30, v52
	v_mul_lo_u32 v39, s25, v28
	v_mul_lo_u32 v38, s24, v29
	v_mad_u64_u32 v[28:29], null, s24, v28, s[12:13]
	v_sub_co_ci_u32_e64 v33, null, s42, v53, vcc_lo
	v_mov_b32_e32 v30, v12
	v_mov_b32_e32 v37, 0
	v_add3_u32 v27, v25, v27, v23
	v_cmp_lt_i64_e32 vcc_lo, 0, v[32:33]
	v_cmp_lt_i64_e64 s4, 16, v[32:33]
	v_add3_u32 v29, v39, v29, v38
	v_mov_b32_e32 v38, 0
	v_mov_b32_e32 v33, v17
	;; [unrolled: 1-line block ×5, first 2 shown]
	s_mov_b64 s[22:23], 0
	s_branch .LBB39_7
.LBB39_6:                               ;   in Loop: Header=BB39_7 Depth=2
	s_or_b32 exec_lo, exec_lo, s5
	s_waitcnt lgkmcnt(0)
	s_barrier
	buffer_gl0_inv
	ds_read_b128 v[42:45], v50
	ds_read2_b64 v[54:57], v48 offset1:16
	ds_read_b128 v[58:61], v50 offset:4096
	ds_read_b128 v[62:65], v50 offset:16
	ds_read2_b64 v[66:69], v48 offset0:32 offset1:48
	ds_read_b128 v[70:73], v50 offset:4112
	v_add_nc_u32_e32 v23, 0x800, v48
	v_add_co_u32 v32, s5, v32, s14
	v_add_co_ci_u32_e64 v33, null, s15, v33, s5
	v_add_co_u32 v26, s5, 0x100, v26
	v_add_co_ci_u32_e64 v27, null, 0, v27, s5
	;; [unrolled: 2-line block ×3, first 2 shown]
	v_add_co_u32 v28, s5, 0x100, v28
	s_waitcnt lgkmcnt(4)
	v_fma_f64 v[40:41], v[54:55], v[42:43], v[40:41]
	v_fma_f64 v[38:39], v[56:57], v[42:43], v[38:39]
	s_waitcnt lgkmcnt(3)
	v_fma_f64 v[42:43], v[54:55], v[58:59], v[36:37]
	v_fma_f64 v[46:47], v[56:57], v[58:59], v[34:35]
	ds_read2_b64 v[34:37], v48 offset0:64 offset1:80
	v_add_co_ci_u32_e64 v29, null, 0, v29, s5
	s_add_u32 s22, s22, 32
	s_addc_u32 s23, s23, 0
	s_cmp_ge_i32 s22, s38
	s_waitcnt lgkmcnt(2)
	v_fma_f64 v[54:55], v[66:67], v[44:45], v[40:41]
	v_fma_f64 v[44:45], v[68:69], v[44:45], v[38:39]
	;; [unrolled: 1-line block ×4, first 2 shown]
	ds_read2_b64 v[38:41], v48 offset0:96 offset1:112
	s_waitcnt lgkmcnt(1)
	v_fma_f64 v[54:55], v[34:35], v[62:63], v[54:55]
	v_fma_f64 v[56:57], v[36:37], v[62:63], v[44:45]
	;; [unrolled: 1-line block ×4, first 2 shown]
	ds_read_b128 v[34:37], v50 offset:32
	ds_read2_b64 v[42:45], v48 offset0:128 offset1:144
	s_waitcnt lgkmcnt(2)
	v_fma_f64 v[66:67], v[38:39], v[64:65], v[54:55]
	v_fma_f64 v[68:69], v[40:41], v[64:65], v[56:57]
	;; [unrolled: 1-line block ×4, first 2 shown]
	ds_read_b128 v[38:41], v50 offset:4128
	ds_read_b128 v[54:57], v50 offset:48
	ds_read2_b64 v[58:61], v48 offset0:160 offset1:176
	ds_read_b128 v[62:65], v50 offset:4144
	s_waitcnt lgkmcnt(4)
	v_fma_f64 v[66:67], v[42:43], v[34:35], v[66:67]
	v_fma_f64 v[34:35], v[44:45], v[34:35], v[68:69]
	s_waitcnt lgkmcnt(3)
	v_fma_f64 v[68:69], v[42:43], v[38:39], v[70:71]
	v_fma_f64 v[38:39], v[44:45], v[38:39], v[46:47]
	ds_read2_b64 v[42:45], v48 offset0:192 offset1:208
	s_waitcnt lgkmcnt(2)
	v_fma_f64 v[46:47], v[58:59], v[36:37], v[66:67]
	v_fma_f64 v[66:67], v[60:61], v[36:37], v[34:35]
	;; [unrolled: 1-line block ×4, first 2 shown]
	ds_read2_b64 v[34:37], v48 offset0:224 offset1:240
	s_waitcnt lgkmcnt(1)
	v_fma_f64 v[46:47], v[42:43], v[54:55], v[46:47]
	v_fma_f64 v[54:55], v[44:45], v[54:55], v[66:67]
	;; [unrolled: 1-line block ×4, first 2 shown]
	ds_read_b128 v[38:41], v50 offset:64
	ds_read2_b64 v[42:45], v23 offset1:16
	s_waitcnt lgkmcnt(2)
	v_fma_f64 v[46:47], v[34:35], v[56:57], v[46:47]
	v_fma_f64 v[66:67], v[36:37], v[56:57], v[54:55]
	v_fma_f64 v[68:69], v[34:35], v[64:65], v[58:59]
	v_fma_f64 v[70:71], v[36:37], v[64:65], v[60:61]
	ds_read_b128 v[34:37], v50 offset:4160
	ds_read_b128 v[54:57], v50 offset:80
	;; [unrolled: 1-line block ×3, first 2 shown]
	ds_read2_b64 v[62:65], v23 offset0:32 offset1:48
	s_waitcnt lgkmcnt(4)
	v_fma_f64 v[46:47], v[42:43], v[38:39], v[46:47]
	v_fma_f64 v[38:39], v[44:45], v[38:39], v[66:67]
	s_waitcnt lgkmcnt(3)
	v_fma_f64 v[66:67], v[42:43], v[34:35], v[68:69]
	v_fma_f64 v[34:35], v[44:45], v[34:35], v[70:71]
	ds_read2_b64 v[42:45], v23 offset0:64 offset1:80
	s_waitcnt lgkmcnt(1)
	v_fma_f64 v[46:47], v[62:63], v[40:41], v[46:47]
	v_fma_f64 v[38:39], v[64:65], v[40:41], v[38:39]
	;; [unrolled: 1-line block ×4, first 2 shown]
	ds_read2_b64 v[34:37], v23 offset0:96 offset1:112
	s_waitcnt lgkmcnt(1)
	v_fma_f64 v[46:47], v[42:43], v[54:55], v[46:47]
	v_fma_f64 v[54:55], v[44:45], v[54:55], v[38:39]
	;; [unrolled: 1-line block ×4, first 2 shown]
	ds_read_b128 v[38:41], v50 offset:96
	ds_read2_b64 v[42:45], v23 offset0:128 offset1:144
	s_waitcnt lgkmcnt(2)
	v_fma_f64 v[46:47], v[34:35], v[56:57], v[46:47]
	v_fma_f64 v[66:67], v[36:37], v[56:57], v[54:55]
	;; [unrolled: 1-line block ×4, first 2 shown]
	ds_read_b128 v[34:37], v50 offset:4192
	ds_read_b128 v[54:57], v50 offset:112
	;; [unrolled: 1-line block ×3, first 2 shown]
	ds_read2_b64 v[62:65], v23 offset0:160 offset1:176
	s_waitcnt lgkmcnt(4)
	v_fma_f64 v[46:47], v[42:43], v[38:39], v[46:47]
	v_fma_f64 v[38:39], v[44:45], v[38:39], v[66:67]
	s_waitcnt lgkmcnt(3)
	v_fma_f64 v[66:67], v[42:43], v[34:35], v[68:69]
	v_fma_f64 v[34:35], v[44:45], v[34:35], v[70:71]
	ds_read2_b64 v[42:45], v23 offset0:192 offset1:208
	s_waitcnt lgkmcnt(1)
	v_fma_f64 v[46:47], v[62:63], v[40:41], v[46:47]
	v_fma_f64 v[38:39], v[64:65], v[40:41], v[38:39]
	;; [unrolled: 1-line block ×4, first 2 shown]
	ds_read2_b64 v[34:37], v23 offset0:224 offset1:240
	v_add_nc_u32_e32 v23, 0x1000, v48
	s_waitcnt lgkmcnt(1)
	v_fma_f64 v[46:47], v[42:43], v[54:55], v[46:47]
	v_fma_f64 v[54:55], v[44:45], v[54:55], v[38:39]
	;; [unrolled: 1-line block ×4, first 2 shown]
	ds_read_b128 v[38:41], v50 offset:128
	ds_read2_b64 v[42:45], v23 offset1:16
	s_waitcnt lgkmcnt(2)
	v_fma_f64 v[46:47], v[34:35], v[56:57], v[46:47]
	v_fma_f64 v[66:67], v[36:37], v[56:57], v[54:55]
	;; [unrolled: 1-line block ×4, first 2 shown]
	ds_read_b128 v[34:37], v50 offset:4224
	ds_read_b128 v[54:57], v50 offset:144
	;; [unrolled: 1-line block ×3, first 2 shown]
	ds_read2_b64 v[62:65], v23 offset0:32 offset1:48
	s_waitcnt lgkmcnt(4)
	v_fma_f64 v[46:47], v[42:43], v[38:39], v[46:47]
	v_fma_f64 v[38:39], v[44:45], v[38:39], v[66:67]
	s_waitcnt lgkmcnt(3)
	v_fma_f64 v[66:67], v[42:43], v[34:35], v[68:69]
	v_fma_f64 v[34:35], v[44:45], v[34:35], v[70:71]
	ds_read2_b64 v[42:45], v23 offset0:64 offset1:80
	s_waitcnt lgkmcnt(1)
	v_fma_f64 v[46:47], v[62:63], v[40:41], v[46:47]
	v_fma_f64 v[38:39], v[64:65], v[40:41], v[38:39]
	;; [unrolled: 1-line block ×4, first 2 shown]
	ds_read2_b64 v[34:37], v23 offset0:96 offset1:112
	s_waitcnt lgkmcnt(1)
	v_fma_f64 v[46:47], v[42:43], v[54:55], v[46:47]
	v_fma_f64 v[54:55], v[44:45], v[54:55], v[38:39]
	;; [unrolled: 1-line block ×4, first 2 shown]
	ds_read_b128 v[38:41], v50 offset:160
	ds_read2_b64 v[42:45], v23 offset0:128 offset1:144
	s_waitcnt lgkmcnt(2)
	v_fma_f64 v[46:47], v[34:35], v[56:57], v[46:47]
	v_fma_f64 v[66:67], v[36:37], v[56:57], v[54:55]
	;; [unrolled: 1-line block ×4, first 2 shown]
	ds_read_b128 v[34:37], v50 offset:4256
	ds_read_b128 v[54:57], v50 offset:176
	ds_read_b128 v[58:61], v50 offset:4272
	ds_read2_b64 v[62:65], v23 offset0:160 offset1:176
	s_waitcnt lgkmcnt(4)
	v_fma_f64 v[46:47], v[42:43], v[38:39], v[46:47]
	v_fma_f64 v[38:39], v[44:45], v[38:39], v[66:67]
	s_waitcnt lgkmcnt(3)
	v_fma_f64 v[66:67], v[42:43], v[34:35], v[68:69]
	v_fma_f64 v[34:35], v[44:45], v[34:35], v[70:71]
	ds_read2_b64 v[42:45], v23 offset0:192 offset1:208
	s_waitcnt lgkmcnt(1)
	v_fma_f64 v[46:47], v[62:63], v[40:41], v[46:47]
	v_fma_f64 v[38:39], v[64:65], v[40:41], v[38:39]
	v_fma_f64 v[40:41], v[62:63], v[36:37], v[66:67]
	v_fma_f64 v[62:63], v[64:65], v[36:37], v[34:35]
	ds_read2_b64 v[34:37], v23 offset0:224 offset1:240
	v_add_nc_u32_e32 v23, 0x1800, v48
	s_waitcnt lgkmcnt(1)
	v_fma_f64 v[46:47], v[42:43], v[54:55], v[46:47]
	v_fma_f64 v[54:55], v[44:45], v[54:55], v[38:39]
	;; [unrolled: 1-line block ×4, first 2 shown]
	ds_read_b128 v[38:41], v50 offset:192
	ds_read2_b64 v[42:45], v23 offset1:16
	s_waitcnt lgkmcnt(2)
	v_fma_f64 v[46:47], v[34:35], v[56:57], v[46:47]
	v_fma_f64 v[66:67], v[36:37], v[56:57], v[54:55]
	;; [unrolled: 1-line block ×4, first 2 shown]
	ds_read_b128 v[34:37], v50 offset:4288
	ds_read_b128 v[54:57], v50 offset:208
	;; [unrolled: 1-line block ×3, first 2 shown]
	ds_read2_b64 v[62:65], v23 offset0:32 offset1:48
	s_waitcnt lgkmcnt(4)
	v_fma_f64 v[46:47], v[42:43], v[38:39], v[46:47]
	v_fma_f64 v[38:39], v[44:45], v[38:39], v[66:67]
	s_waitcnt lgkmcnt(3)
	v_fma_f64 v[66:67], v[42:43], v[34:35], v[68:69]
	v_fma_f64 v[34:35], v[44:45], v[34:35], v[70:71]
	ds_read2_b64 v[42:45], v23 offset0:64 offset1:80
	s_waitcnt lgkmcnt(1)
	v_fma_f64 v[46:47], v[62:63], v[40:41], v[46:47]
	v_fma_f64 v[38:39], v[64:65], v[40:41], v[38:39]
	;; [unrolled: 1-line block ×4, first 2 shown]
	ds_read2_b64 v[34:37], v23 offset0:96 offset1:112
	s_waitcnt lgkmcnt(1)
	v_fma_f64 v[46:47], v[42:43], v[54:55], v[46:47]
	v_fma_f64 v[54:55], v[44:45], v[54:55], v[38:39]
	;; [unrolled: 1-line block ×4, first 2 shown]
	ds_read_b128 v[38:41], v50 offset:224
	ds_read2_b64 v[42:45], v23 offset0:128 offset1:144
	s_waitcnt lgkmcnt(2)
	v_fma_f64 v[46:47], v[34:35], v[56:57], v[46:47]
	v_fma_f64 v[66:67], v[36:37], v[56:57], v[54:55]
	;; [unrolled: 1-line block ×4, first 2 shown]
	ds_read_b128 v[34:37], v50 offset:4320
	ds_read_b128 v[54:57], v50 offset:240
	;; [unrolled: 1-line block ×3, first 2 shown]
	ds_read2_b64 v[62:65], v23 offset0:160 offset1:176
	s_waitcnt lgkmcnt(4)
	v_fma_f64 v[46:47], v[42:43], v[38:39], v[46:47]
	v_fma_f64 v[38:39], v[44:45], v[38:39], v[66:67]
	s_waitcnt lgkmcnt(3)
	v_fma_f64 v[66:67], v[42:43], v[34:35], v[68:69]
	v_fma_f64 v[34:35], v[44:45], v[34:35], v[70:71]
	ds_read2_b64 v[42:45], v23 offset0:192 offset1:208
	s_waitcnt lgkmcnt(1)
	v_fma_f64 v[46:47], v[62:63], v[40:41], v[46:47]
	v_fma_f64 v[38:39], v[64:65], v[40:41], v[38:39]
	;; [unrolled: 1-line block ×4, first 2 shown]
	ds_read2_b64 v[62:65], v23 offset0:224 offset1:240
	s_waitcnt lgkmcnt(0)
	s_barrier
	buffer_gl0_inv
	v_fma_f64 v[36:37], v[42:43], v[54:55], v[46:47]
	v_fma_f64 v[38:39], v[44:45], v[54:55], v[38:39]
	;; [unrolled: 1-line block ×8, first 2 shown]
	s_cbranch_scc1 .LBB39_44
.LBB39_7:                               ;   Parent Loop BB39_4 Depth=1
                                        ; =>  This Inner Loop Header: Depth=2
	v_add_co_u32 v42, s5, v2, s22
	v_add_co_ci_u32_e64 v43, null, s23, v3, s5
	v_cmp_eq_u64_e64 s8, s[22:23], v[10:11]
                                        ; implicit-def: $vgpr46_vgpr47
	v_cmp_le_i64_e64 s6, s[34:35], v[42:43]
	v_cmp_lt_i64_e64 s5, v[42:43], v[4:5]
	s_and_b32 s27, s28, s8
	v_add_co_u32 v44, s8, v30, v20
	v_add_co_ci_u32_e64 v45, null, v31, v21, s8
	s_or_b32 s9, s6, s5
	s_or_b32 s8, s9, s27
	s_nor_b32 s8, s0, s8
	s_and_saveexec_b32 s9, s8
	s_xor_b32 s8, exec_lo, s9
	s_cbranch_execz .LBB39_9
; %bb.8:                                ;   in Loop: Header=BB39_7 Depth=2
	global_load_dwordx2 v[46:47], v[44:45], off
.LBB39_9:                               ;   in Loop: Header=BB39_7 Depth=2
	s_andn2_saveexec_b32 s8, s8
	s_cbranch_execz .LBB39_11
; %bb.10:                               ;   in Loop: Header=BB39_7 Depth=2
	v_cndmask_b32_e64 v25, 0, 0x3ff00000, s27
	s_waitcnt vmcnt(0)
	v_mov_b32_e32 v47, v25
	v_mov_b32_e32 v46, v24
.LBB39_11:                              ;   in Loop: Header=BB39_7 Depth=2
	s_or_b32 exec_lo, exec_lo, s8
	v_cmp_eq_u64_e64 s8, s[22:23], v[14:15]
	v_cmp_gt_i64_e64 s9, v[8:9], v[42:43]
	s_waitcnt vmcnt(0)
	ds_write_b64 v49, v[46:47]
	s_and_b32 s8, s28, s8
	s_or_b32 s6, s6, s9
	s_or_b32 s6, s6, s8
	s_nor_b32 s6, s3, s6
	s_and_saveexec_b32 s9, s6
	s_xor_b32 s6, exec_lo, s9
	s_cbranch_execz .LBB39_13
; %bb.12:                               ;   in Loop: Header=BB39_7 Depth=2
	global_load_dwordx2 v[44:45], v[44:45], off offset:128
	s_waitcnt vmcnt(0)
	ds_write_b64 v49, v[44:45] offset:128
.LBB39_13:                              ;   in Loop: Header=BB39_7 Depth=2
	s_andn2_saveexec_b32 s6, s6
	s_cbranch_execz .LBB39_19
; %bb.14:                               ;   in Loop: Header=BB39_7 Depth=2
	s_xor_b32 s8, s8, -1
	s_and_saveexec_b32 s9, s8
	s_xor_b32 s8, exec_lo, s9
; %bb.15:                               ;   in Loop: Header=BB39_7 Depth=2
	v_mov_b32_e32 v25, v24
	ds_write_b64 v49, v[24:25] offset:128
; %bb.16:                               ;   in Loop: Header=BB39_7 Depth=2
	s_andn2_saveexec_b32 s8, s8
; %bb.17:                               ;   in Loop: Header=BB39_7 Depth=2
	v_mov_b32_e32 v25, v51
	ds_write_b64 v49, v[24:25] offset:128
; %bb.18:                               ;   in Loop: Header=BB39_7 Depth=2
	s_or_b32 exec_lo, exec_lo, s8
.LBB39_19:                              ;   in Loop: Header=BB39_7 Depth=2
	s_or_b32 exec_lo, exec_lo, s6
	v_add_co_u32 v42, s6, v42, 16
	v_add_co_ci_u32_e64 v43, null, 0, v43, s6
	v_cmp_eq_u64_e64 s8, s[22:23], v[18:19]
                                        ; implicit-def: $vgpr44_vgpr45
	v_cmp_le_i64_e64 s6, s[34:35], v[42:43]
	v_cmp_lt_i64_e64 s9, v[42:43], v[4:5]
	s_and_b32 s29, s28, s8
	v_add_co_u32 v42, s8, v32, v20
	v_add_co_ci_u32_e64 v43, null, v33, v21, s8
	s_or_b32 s9, s6, s9
	s_or_b32 s8, s9, s29
	s_nor_b32 s8, s0, s8
	s_and_saveexec_b32 s9, s8
	s_xor_b32 s8, exec_lo, s9
	s_cbranch_execz .LBB39_21
; %bb.20:                               ;   in Loop: Header=BB39_7 Depth=2
	global_load_dwordx2 v[44:45], v[42:43], off
.LBB39_21:                              ;   in Loop: Header=BB39_7 Depth=2
	s_andn2_saveexec_b32 s8, s8
	s_cbranch_execz .LBB39_23
; %bb.22:                               ;   in Loop: Header=BB39_7 Depth=2
	v_cndmask_b32_e64 v25, 0, 0x3ff00000, s29
	s_waitcnt vmcnt(0)
	v_mov_b32_e32 v45, v25
	v_mov_b32_e32 v44, v24
.LBB39_23:                              ;   in Loop: Header=BB39_7 Depth=2
	s_or_b32 exec_lo, exec_lo, s8
	s_or_b32 s5, s6, s5
	s_waitcnt vmcnt(0)
	ds_write_b64 v49, v[44:45] offset:4096
	s_or_b32 s5, s5, s27
	s_nor_b32 s5, s3, s5
	s_and_saveexec_b32 s6, s5
	s_xor_b32 s5, exec_lo, s6
	s_cbranch_execz .LBB39_25
; %bb.24:                               ;   in Loop: Header=BB39_7 Depth=2
	global_load_dwordx2 v[42:43], v[42:43], off offset:128
	s_waitcnt vmcnt(0)
	ds_write_b64 v49, v[42:43] offset:4224
.LBB39_25:                              ;   in Loop: Header=BB39_7 Depth=2
	s_andn2_saveexec_b32 s5, s5
	s_cbranch_execz .LBB39_31
; %bb.26:                               ;   in Loop: Header=BB39_7 Depth=2
	s_xor_b32 s6, s27, -1
	s_and_saveexec_b32 s8, s6
	s_xor_b32 s6, exec_lo, s8
; %bb.27:                               ;   in Loop: Header=BB39_7 Depth=2
	v_mov_b32_e32 v25, v24
	ds_write_b64 v49, v[24:25] offset:4224
; %bb.28:                               ;   in Loop: Header=BB39_7 Depth=2
	s_andn2_saveexec_b32 s6, s6
; %bb.29:                               ;   in Loop: Header=BB39_7 Depth=2
	v_mov_b32_e32 v25, v51
	ds_write_b64 v49, v[24:25] offset:4224
; %bb.30:                               ;   in Loop: Header=BB39_7 Depth=2
	s_or_b32 exec_lo, exec_lo, s6
.LBB39_31:                              ;   in Loop: Header=BB39_7 Depth=2
	s_or_b32 exec_lo, exec_lo, s5
	v_add_co_u32 v44, s5, v4, s22
	v_add_co_ci_u32_e64 v45, null, s23, v5, s5
	v_add_co_u32 v42, s6, v26, v20
	v_mov_b32_e32 v46, 0
	v_cmp_gt_i64_e64 s5, s[34:35], v[44:45]
	v_mov_b32_e32 v47, 0
	v_add_co_ci_u32_e64 v43, null, v27, v21, s6
	s_and_b32 s8, vcc_lo, s5
	s_and_saveexec_b32 s6, s8
	s_cbranch_execz .LBB39_33
; %bb.32:                               ;   in Loop: Header=BB39_7 Depth=2
	global_load_dwordx2 v[46:47], v[42:43], off offset:-128
.LBB39_33:                              ;   in Loop: Header=BB39_7 Depth=2
	s_or_b32 exec_lo, exec_lo, s6
	v_cmp_gt_i64_e64 s6, s[18:19], v[44:45]
	s_waitcnt vmcnt(0)
	ds_write_b64 v0, v[46:47]
	s_and_b32 s8, vcc_lo, s6
	s_xor_b32 s8, s8, -1
	s_and_saveexec_b32 s9, s8
	s_xor_b32 s8, exec_lo, s9
; %bb.34:                               ;   in Loop: Header=BB39_7 Depth=2
	v_mov_b32_e32 v25, v24
                                        ; implicit-def: $vgpr42_vgpr43
	ds_write_b64 v0, v[24:25] offset:128
; %bb.35:                               ;   in Loop: Header=BB39_7 Depth=2
	s_andn2_saveexec_b32 s8, s8
	s_cbranch_execz .LBB39_37
; %bb.36:                               ;   in Loop: Header=BB39_7 Depth=2
	global_load_dwordx2 v[42:43], v[42:43], off
	s_waitcnt vmcnt(0)
	ds_write_b64 v0, v[42:43] offset:128
.LBB39_37:                              ;   in Loop: Header=BB39_7 Depth=2
	s_or_b32 exec_lo, exec_lo, s8
	v_add_co_u32 v42, s8, v28, v20
	v_mov_b32_e32 v44, 0
	v_mov_b32_e32 v45, 0
	v_add_co_ci_u32_e64 v43, null, v29, v21, s8
	s_and_b32 s8, s4, s5
	s_and_saveexec_b32 s5, s8
	s_cbranch_execz .LBB39_39
; %bb.38:                               ;   in Loop: Header=BB39_7 Depth=2
	global_load_dwordx2 v[44:45], v[42:43], off
.LBB39_39:                              ;   in Loop: Header=BB39_7 Depth=2
	s_or_b32 exec_lo, exec_lo, s5
	s_and_b32 s5, s4, s6
	s_waitcnt vmcnt(0)
	ds_write_b64 v0, v[44:45] offset:4096
	s_xor_b32 s5, s5, -1
	s_and_saveexec_b32 s6, s5
	s_xor_b32 s5, exec_lo, s6
; %bb.40:                               ;   in Loop: Header=BB39_7 Depth=2
	v_mov_b32_e32 v25, v24
                                        ; implicit-def: $vgpr42_vgpr43
	ds_write_b64 v0, v[24:25] offset:4224
; %bb.41:                               ;   in Loop: Header=BB39_7 Depth=2
	s_andn2_saveexec_b32 s5, s5
	s_cbranch_execz .LBB39_6
; %bb.42:                               ;   in Loop: Header=BB39_7 Depth=2
	global_load_dwordx2 v[42:43], v[42:43], off offset:128
	s_waitcnt vmcnt(0)
	ds_write_b64 v0, v[42:43] offset:4224
	s_branch .LBB39_6
.LBB39_43:                              ;   in Loop: Header=BB39_4 Depth=1
	v_mov_b32_e32 v40, 0
	v_mov_b32_e32 v38, 0
	;; [unrolled: 1-line block ×8, first 2 shown]
.LBB39_44:                              ;   in Loop: Header=BB39_4 Depth=1
	v_mul_lo_u32 v23, s41, v52
	v_mul_lo_u32 v27, s40, v53
	v_mad_u64_u32 v[25:26], null, s40, v52, 0
	v_cmp_gt_i32_e32 vcc_lo, s30, v52
	v_add3_u32 v26, v26, v27, v23
	v_lshlrev_b64 v[25:26], 3, v[25:26]
	v_add_co_u32 v23, s4, s36, v25
	v_add_co_ci_u32_e64 v25, null, s37, v26, s4
	s_and_b32 s4, s1, vcc_lo
	s_and_saveexec_b32 s5, s4
	s_cbranch_execz .LBB39_46
; %bb.45:                               ;   in Loop: Header=BB39_4 Depth=1
	v_add_co_u32 v26, s4, v23, v20
	v_add_co_ci_u32_e64 v27, null, v25, v21, s4
	global_load_dwordx2 v[28:29], v[26:27], off
	s_waitcnt vmcnt(0)
	v_fma_f64 v[28:29], s[10:11], v[40:41], v[28:29]
	global_store_dwordx2 v[26:27], v[28:29], off
.LBB39_46:                              ;   in Loop: Header=BB39_4 Depth=1
	s_or_b32 exec_lo, exec_lo, s5
	s_and_b32 s5, s2, vcc_lo
	s_and_saveexec_b32 s4, s5
	s_cbranch_execz .LBB39_48
; %bb.47:                               ;   in Loop: Header=BB39_4 Depth=1
	v_lshlrev_b64 v[26:27], 3, v[6:7]
	v_add_co_u32 v26, vcc_lo, v23, v26
	v_add_co_ci_u32_e64 v27, null, v25, v27, vcc_lo
	global_load_dwordx2 v[28:29], v[26:27], off
	s_waitcnt vmcnt(0)
	v_fma_f64 v[28:29], s[10:11], v[38:39], v[28:29]
	global_store_dwordx2 v[26:27], v[28:29], off
.LBB39_48:                              ;   in Loop: Header=BB39_4 Depth=1
	s_or_b32 exec_lo, exec_lo, s4
	v_add_nc_u32_e32 v23, 16, v52
	v_ashrrev_i32_e32 v27, 31, v23
	v_mul_lo_u32 v28, s41, v23
	v_mad_u64_u32 v[25:26], null, s40, v23, 0
	v_cmp_gt_i32_e32 vcc_lo, s30, v23
	v_mul_lo_u32 v27, s40, v27
	v_add3_u32 v26, v26, v27, v28
	v_lshlrev_b64 v[25:26], 3, v[25:26]
	v_add_co_u32 v23, s4, s36, v25
	v_add_co_ci_u32_e64 v25, null, s37, v26, s4
	s_and_b32 s4, s1, vcc_lo
	s_and_saveexec_b32 s5, s4
	s_cbranch_execz .LBB39_50
; %bb.49:                               ;   in Loop: Header=BB39_4 Depth=1
	v_add_co_u32 v26, s4, v23, v20
	v_add_co_ci_u32_e64 v27, null, v25, v21, s4
	global_load_dwordx2 v[28:29], v[26:27], off
	s_waitcnt vmcnt(0)
	v_fma_f64 v[28:29], s[10:11], v[36:37], v[28:29]
	global_store_dwordx2 v[26:27], v[28:29], off
.LBB39_50:                              ;   in Loop: Header=BB39_4 Depth=1
	s_or_b32 exec_lo, exec_lo, s5
	s_and_b32 s5, s2, vcc_lo
	s_and_saveexec_b32 s4, s5
	s_cbranch_execz .LBB39_3
; %bb.51:                               ;   in Loop: Header=BB39_4 Depth=1
	v_lshlrev_b64 v[26:27], 3, v[6:7]
	v_add_co_u32 v26, vcc_lo, v23, v26
	v_add_co_ci_u32_e64 v27, null, v25, v27, vcc_lo
	global_load_dwordx2 v[28:29], v[26:27], off
	s_waitcnt vmcnt(0)
	v_fma_f64 v[28:29], s[10:11], v[34:35], v[28:29]
	global_store_dwordx2 v[26:27], v[28:29], off
	s_branch .LBB39_3
.LBB39_52:
	s_endpgm
	.section	.rodata,"a",@progbits
	.p2align	6, 0x0
	.amdhsa_kernel _ZL30rocblas_trmm_outofplace_kernelIdLi32ELi2ELb1ELb1ELb0ELb0EdKddEv17rocblas_diagonal_iiT6_lPT7_lllS4_lllPT8_llli
		.amdhsa_group_segment_fixed_size 16384
		.amdhsa_private_segment_fixed_size 0
		.amdhsa_kernarg_size 392
		.amdhsa_user_sgpr_count 6
		.amdhsa_user_sgpr_private_segment_buffer 1
		.amdhsa_user_sgpr_dispatch_ptr 0
		.amdhsa_user_sgpr_queue_ptr 0
		.amdhsa_user_sgpr_kernarg_segment_ptr 1
		.amdhsa_user_sgpr_dispatch_id 0
		.amdhsa_user_sgpr_flat_scratch_init 0
		.amdhsa_user_sgpr_private_segment_size 0
		.amdhsa_wavefront_size32 1
		.amdhsa_uses_dynamic_stack 0
		.amdhsa_system_sgpr_private_segment_wavefront_offset 0
		.amdhsa_system_sgpr_workgroup_id_x 1
		.amdhsa_system_sgpr_workgroup_id_y 1
		.amdhsa_system_sgpr_workgroup_id_z 1
		.amdhsa_system_sgpr_workgroup_info 0
		.amdhsa_system_vgpr_workitem_id 1
		.amdhsa_next_free_vgpr 74
		.amdhsa_next_free_sgpr 48
		.amdhsa_reserve_vcc 1
		.amdhsa_reserve_flat_scratch 0
		.amdhsa_float_round_mode_32 0
		.amdhsa_float_round_mode_16_64 0
		.amdhsa_float_denorm_mode_32 3
		.amdhsa_float_denorm_mode_16_64 3
		.amdhsa_dx10_clamp 1
		.amdhsa_ieee_mode 1
		.amdhsa_fp16_overflow 0
		.amdhsa_workgroup_processor_mode 1
		.amdhsa_memory_ordered 1
		.amdhsa_forward_progress 1
		.amdhsa_shared_vgpr_count 0
		.amdhsa_exception_fp_ieee_invalid_op 0
		.amdhsa_exception_fp_denorm_src 0
		.amdhsa_exception_fp_ieee_div_zero 0
		.amdhsa_exception_fp_ieee_overflow 0
		.amdhsa_exception_fp_ieee_underflow 0
		.amdhsa_exception_fp_ieee_inexact 0
		.amdhsa_exception_int_div_zero 0
	.end_amdhsa_kernel
	.section	.text._ZL30rocblas_trmm_outofplace_kernelIdLi32ELi2ELb1ELb1ELb0ELb0EdKddEv17rocblas_diagonal_iiT6_lPT7_lllS4_lllPT8_llli,"axG",@progbits,_ZL30rocblas_trmm_outofplace_kernelIdLi32ELi2ELb1ELb1ELb0ELb0EdKddEv17rocblas_diagonal_iiT6_lPT7_lllS4_lllPT8_llli,comdat
.Lfunc_end39:
	.size	_ZL30rocblas_trmm_outofplace_kernelIdLi32ELi2ELb1ELb1ELb0ELb0EdKddEv17rocblas_diagonal_iiT6_lPT7_lllS4_lllPT8_llli, .Lfunc_end39-_ZL30rocblas_trmm_outofplace_kernelIdLi32ELi2ELb1ELb1ELb0ELb0EdKddEv17rocblas_diagonal_iiT6_lPT7_lllS4_lllPT8_llli
                                        ; -- End function
	.set _ZL30rocblas_trmm_outofplace_kernelIdLi32ELi2ELb1ELb1ELb0ELb0EdKddEv17rocblas_diagonal_iiT6_lPT7_lllS4_lllPT8_llli.num_vgpr, 74
	.set _ZL30rocblas_trmm_outofplace_kernelIdLi32ELi2ELb1ELb1ELb0ELb0EdKddEv17rocblas_diagonal_iiT6_lPT7_lllS4_lllPT8_llli.num_agpr, 0
	.set _ZL30rocblas_trmm_outofplace_kernelIdLi32ELi2ELb1ELb1ELb0ELb0EdKddEv17rocblas_diagonal_iiT6_lPT7_lllS4_lllPT8_llli.numbered_sgpr, 48
	.set _ZL30rocblas_trmm_outofplace_kernelIdLi32ELi2ELb1ELb1ELb0ELb0EdKddEv17rocblas_diagonal_iiT6_lPT7_lllS4_lllPT8_llli.num_named_barrier, 0
	.set _ZL30rocblas_trmm_outofplace_kernelIdLi32ELi2ELb1ELb1ELb0ELb0EdKddEv17rocblas_diagonal_iiT6_lPT7_lllS4_lllPT8_llli.private_seg_size, 0
	.set _ZL30rocblas_trmm_outofplace_kernelIdLi32ELi2ELb1ELb1ELb0ELb0EdKddEv17rocblas_diagonal_iiT6_lPT7_lllS4_lllPT8_llli.uses_vcc, 1
	.set _ZL30rocblas_trmm_outofplace_kernelIdLi32ELi2ELb1ELb1ELb0ELb0EdKddEv17rocblas_diagonal_iiT6_lPT7_lllS4_lllPT8_llli.uses_flat_scratch, 0
	.set _ZL30rocblas_trmm_outofplace_kernelIdLi32ELi2ELb1ELb1ELb0ELb0EdKddEv17rocblas_diagonal_iiT6_lPT7_lllS4_lllPT8_llli.has_dyn_sized_stack, 0
	.set _ZL30rocblas_trmm_outofplace_kernelIdLi32ELi2ELb1ELb1ELb0ELb0EdKddEv17rocblas_diagonal_iiT6_lPT7_lllS4_lllPT8_llli.has_recursion, 0
	.set _ZL30rocblas_trmm_outofplace_kernelIdLi32ELi2ELb1ELb1ELb0ELb0EdKddEv17rocblas_diagonal_iiT6_lPT7_lllS4_lllPT8_llli.has_indirect_call, 0
	.section	.AMDGPU.csdata,"",@progbits
; Kernel info:
; codeLenInByte = 3844
; TotalNumSgprs: 50
; NumVgprs: 74
; ScratchSize: 0
; MemoryBound: 0
; FloatMode: 240
; IeeeMode: 1
; LDSByteSize: 16384 bytes/workgroup (compile time only)
; SGPRBlocks: 0
; VGPRBlocks: 9
; NumSGPRsForWavesPerEU: 50
; NumVGPRsForWavesPerEU: 74
; Occupancy: 12
; WaveLimiterHint : 0
; COMPUTE_PGM_RSRC2:SCRATCH_EN: 0
; COMPUTE_PGM_RSRC2:USER_SGPR: 6
; COMPUTE_PGM_RSRC2:TRAP_HANDLER: 0
; COMPUTE_PGM_RSRC2:TGID_X_EN: 1
; COMPUTE_PGM_RSRC2:TGID_Y_EN: 1
; COMPUTE_PGM_RSRC2:TGID_Z_EN: 1
; COMPUTE_PGM_RSRC2:TIDIG_COMP_CNT: 1
	.section	.text._ZL30rocblas_trmm_outofplace_kernelIdLi32ELi2ELb1ELb0ELb1ELb0EPKdS0_dEv17rocblas_diagonal_iiT6_lPT7_lllS5_lllPT8_llli,"axG",@progbits,_ZL30rocblas_trmm_outofplace_kernelIdLi32ELi2ELb1ELb0ELb1ELb0EPKdS0_dEv17rocblas_diagonal_iiT6_lPT7_lllS5_lllPT8_llli,comdat
	.globl	_ZL30rocblas_trmm_outofplace_kernelIdLi32ELi2ELb1ELb0ELb1ELb0EPKdS0_dEv17rocblas_diagonal_iiT6_lPT7_lllS5_lllPT8_llli ; -- Begin function _ZL30rocblas_trmm_outofplace_kernelIdLi32ELi2ELb1ELb0ELb1ELb0EPKdS0_dEv17rocblas_diagonal_iiT6_lPT7_lllS5_lllPT8_llli
	.p2align	8
	.type	_ZL30rocblas_trmm_outofplace_kernelIdLi32ELi2ELb1ELb0ELb1ELb0EPKdS0_dEv17rocblas_diagonal_iiT6_lPT7_lllS5_lllPT8_llli,@function
_ZL30rocblas_trmm_outofplace_kernelIdLi32ELi2ELb1ELb0ELb1ELb0EPKdS0_dEv17rocblas_diagonal_iiT6_lPT7_lllS5_lllPT8_llli: ; @_ZL30rocblas_trmm_outofplace_kernelIdLi32ELi2ELb1ELb0ELb1ELb0EPKdS0_dEv17rocblas_diagonal_iiT6_lPT7_lllS5_lllPT8_llli
; %bb.0:
	s_load_dwordx16 s[12:27], s[4:5], 0x10
	s_waitcnt lgkmcnt(0)
	s_mul_i32 s0, s15, s8
	s_mul_hi_u32 s1, s14, s8
	s_add_i32 s1, s1, s0
	s_mul_i32 s0, s14, s8
	s_lshl_b64 s[0:1], s[0:1], 3
	s_add_u32 s0, s12, s0
	s_addc_u32 s1, s13, s1
	s_load_dwordx2 s[10:11], s[0:1], 0x0
	s_waitcnt lgkmcnt(0)
	v_cmp_eq_f64_e64 s0, s[10:11], 0
	s_and_b32 vcc_lo, exec_lo, s0
	s_cbranch_vccnz .LBB40_52
; %bb.1:
	s_load_dwordx4 s[12:15], s[4:5], 0x0
	s_waitcnt lgkmcnt(0)
	s_add_i32 s0, s14, -1
	s_ashr_i32 s1, s0, 31
	s_lshr_b32 s1, s1, 27
	s_add_i32 s0, s0, s1
	s_ashr_i32 s15, s0, 5
	s_cmp_gt_i32 s7, s15
	s_cbranch_scc1 .LBB40_52
; %bb.2:
	s_clause 0x1
	s_load_dwordx4 s[28:31], s[4:5], 0x70
	s_load_dwordx8 s[36:43], s[4:5], 0x50
	s_mul_i32 s1, s23, s8
	s_mul_hi_u32 s2, s22, s8
	s_mul_i32 s0, s22, s8
	s_add_i32 s1, s2, s1
	s_load_dword s33, s[4:5], 0x8c
	s_lshl_b64 s[34:35], s[0:1], 3
	v_lshlrev_b32_e32 v2, 8, v1
	s_add_u32 s0, s16, s34
	s_addc_u32 s1, s17, s35
	s_lshl_b64 s[44:45], s[18:19], 3
	v_lshlrev_b32_e32 v44, 3, v0
	s_add_u32 s3, s0, s44
	s_addc_u32 s4, s1, s45
	v_add_nc_u32_e32 v45, 0x2000, v2
	s_mov_b32 s22, s13
	v_add_nc_u32_e32 v46, v44, v2
	v_mov_b32_e32 v51, 0x3ff00000
	v_add_nc_u32_e32 v52, 0x800, v44
	s_waitcnt lgkmcnt(0)
	s_mul_i32 s1, s31, s8
	s_mul_hi_u32 s2, s30, s8
	s_mul_i32 s0, s30, s8
	s_add_i32 s1, s2, s1
	v_add_nc_u32_e32 v53, 0x1000, v44
	s_lshl_b64 s[0:1], s[0:1], 3
	v_add_nc_u32_e32 v54, 0x1800, v44
	s_add_u32 s2, s40, s0
	s_addc_u32 s5, s41, s1
	s_lshl_b64 s[0:1], s[42:43], 3
	s_add_u32 s30, s2, s0
	s_addc_u32 s31, s5, s1
	s_lshl_b32 s0, s6, 5
	s_mul_hi_u32 s5, s38, s8
	v_add_nc_u32_e32 v2, s0, v0
	v_add_nc_u32_e32 v4, s0, v1
	s_sub_i32 s40, s13, s0
	v_add_nc_u32_e32 v0, v45, v44
	s_cmp_gt_i32 s40, 0
	v_ashrrev_i32_e32 v3, 31, v2
	v_mul_lo_u32 v9, s21, v2
	v_mad_u64_u32 v[7:8], null, s20, v2, 0
	v_ashrrev_i32_e32 v5, 31, v4
	v_mul_lo_u32 v10, s20, v3
	s_cselect_b32 s41, -1, 0
	s_cmpk_eq_i32 s12, 0x84
	v_lshlrev_b64 v[14:15], 3, v[2:3]
	v_lshlrev_b64 v[22:23], 3, v[4:5]
	s_cselect_b32 s42, -1, 0
	s_ashr_i32 s23, s13, 31
	s_ashr_i32 s43, s14, 31
	v_add3_u32 v8, v8, v10, v9
	s_add_u32 s18, s13, -16
	s_addc_u32 s19, s23, -1
	v_add_nc_u32_e32 v6, 16, v2
	v_cmp_le_i32_e64 s0, s13, v2
	v_lshlrev_b64 v[10:11], 3, v[7:8]
	v_add_co_u32 v8, vcc_lo, v2, 16
	v_add_co_ci_u32_e64 v9, null, 0, v3, vcc_lo
	v_cmp_gt_i32_e64 s1, s13, v2
	v_add_co_u32 v7, vcc_lo, s3, v10
	v_add_co_ci_u32_e64 v10, null, s4, v11, vcc_lo
	s_mul_i32 s4, s39, s8
	v_add_co_u32 v47, vcc_lo, v7, v22
	v_add_co_ci_u32_e64 v48, null, v10, v23, vcc_lo
	v_sub_co_u32 v10, vcc_lo, v2, v4
	v_sub_co_ci_u32_e64 v11, null, v3, v5, vcc_lo
	s_add_i32 s5, s5, s4
	s_mul_i32 s4, s38, s8
	s_lshl_b64 s[8:9], s[26:27], 3
	s_lshl_b64 s[4:5], s[4:5], 3
	v_add_co_u32 v12, vcc_lo, v10, 16
	v_add_co_ci_u32_e64 v13, null, 0, v11, vcc_lo
	s_add_u32 s4, s4, s8
	v_add_co_u32 v16, vcc_lo, 0x80, v14
	s_addc_u32 s5, s5, s9
	s_add_u32 s6, s24, s4
	v_add_co_ci_u32_e64 v17, null, 0, v15, vcc_lo
	v_cmp_gt_i32_e64 s2, s13, v6
	s_addc_u32 s8, s25, s5
	s_lshl_b64 s[12:13], s[36:37], 3
	s_lshl_b32 s24, s33, 5
	s_add_u32 s4, s44, s34
	s_addc_u32 s5, s45, s35
	v_mul_lo_u32 v20, s20, v17
	v_mad_u64_u32 v[24:25], null, s20, v16, s[4:5]
	v_mul_lo_u32 v21, s21, v16
	v_add_co_u32 v16, vcc_lo, v10, -16
	v_add_co_ci_u32_e64 v17, null, -1, v11, vcc_lo
	v_add_co_u32 v18, vcc_lo, s6, v14
	v_add_co_ci_u32_e64 v19, null, s8, v15, vcc_lo
	v_add3_u32 v25, v21, v25, v20
	v_add_co_u32 v20, vcc_lo, 0x80, v18
	v_add_co_ci_u32_e64 v21, null, 0, v19, vcc_lo
	v_add_co_u32 v24, vcc_lo, v24, v22
	v_add_co_ci_u32_e64 v23, null, v25, v23, vcc_lo
	v_cmp_le_i64_e64 s3, s[22:23], v[8:9]
	v_add_co_u32 v49, vcc_lo, s16, v24
	v_ashrrev_i32_e32 v7, 31, v6
	v_lshl_add_u32 v22, s7, 5, v1
	v_add_co_ci_u32_e64 v50, null, s17, v23, vcc_lo
	v_mov_b32_e32 v24, 0
	s_branch .LBB40_4
.LBB40_3:                               ;   in Loop: Header=BB40_4 Depth=1
	s_or_b32 exec_lo, exec_lo, s4
	v_add_nc_u32_e32 v22, s24, v22
	s_add_i32 s7, s33, s7
	s_cmp_le_i32 s7, s15
	s_cbranch_scc0 .LBB40_52
.LBB40_4:                               ; =>This Loop Header: Depth=1
                                        ;     Child Loop BB40_7 Depth 2
	v_lshl_add_u32 v55, s7, 5, v1
	s_andn2_b32 vcc_lo, exec_lo, s41
	v_ashrrev_i32_e32 v56, 31, v55
	s_cbranch_vccnz .LBB40_43
; %bb.5:                                ;   in Loop: Header=BB40_4 Depth=1
	v_ashrrev_i32_e32 v23, 31, v22
	v_mad_u64_u32 v[26:27], null, s12, v22, v[20:21]
	v_mul_lo_u32 v25, s13, v22
	v_mov_b32_e32 v32, 0
	v_lshlrev_b64 v[28:29], 3, v[22:23]
	v_mul_lo_u32 v23, s12, v23
	v_mov_b32_e32 v34, 0
	v_mov_b32_e32 v36, 0
	v_mov_b32_e32 v33, 0
	v_mov_b32_e32 v35, 0
	v_add_co_u32 v28, vcc_lo, 0x80, v28
	v_add_co_ci_u32_e64 v29, null, 0, v29, vcc_lo
	v_sub_co_u32 v30, vcc_lo, s14, v55
	v_mul_lo_u32 v39, s37, v28
	v_mul_lo_u32 v38, s36, v29
	v_mad_u64_u32 v[28:29], null, s36, v28, v[18:19]
	v_sub_co_ci_u32_e64 v31, null, s43, v56, vcc_lo
	v_add3_u32 v27, v25, v27, v23
	v_mov_b32_e32 v37, 0
	s_mov_b64 s[16:17], 0
	v_cmp_lt_i64_e32 vcc_lo, 0, v[30:31]
	v_cmp_lt_i64_e64 s4, 16, v[30:31]
	v_mov_b32_e32 v30, 0
	v_mov_b32_e32 v31, 0
	v_add3_u32 v29, v39, v29, v38
	s_mov_b64 s[20:21], 0
	s_branch .LBB40_7
.LBB40_6:                               ;   in Loop: Header=BB40_7 Depth=2
	s_or_b32 exec_lo, exec_lo, s5
	s_waitcnt lgkmcnt(0)
	s_barrier
	buffer_gl0_inv
	ds_read_b128 v[38:41], v45
	ds_read2_b64 v[57:60], v44 offset1:16
	ds_read_b128 v[61:64], v45 offset:4096
	ds_read_b128 v[65:68], v45 offset:16
	ds_read2_b64 v[69:72], v44 offset0:32 offset1:48
	ds_read_b128 v[73:76], v45 offset:4112
	s_add_u32 s20, s20, 32
	s_addc_u32 s21, s21, 0
	s_add_u32 s16, s16, 0x100
	s_addc_u32 s17, s17, 0
	s_cmp_ge_i32 s20, s40
	s_waitcnt lgkmcnt(4)
	v_fma_f64 v[36:37], v[57:58], v[38:39], v[36:37]
	v_fma_f64 v[34:35], v[59:60], v[38:39], v[34:35]
	s_waitcnt lgkmcnt(3)
	v_fma_f64 v[38:39], v[57:58], v[61:62], v[32:33]
	v_fma_f64 v[42:43], v[59:60], v[61:62], v[30:31]
	ds_read2_b64 v[30:33], v44 offset0:64 offset1:80
	s_waitcnt lgkmcnt(2)
	v_fma_f64 v[57:58], v[69:70], v[40:41], v[36:37]
	v_fma_f64 v[40:41], v[71:72], v[40:41], v[34:35]
	;; [unrolled: 1-line block ×4, first 2 shown]
	ds_read2_b64 v[34:37], v44 offset0:96 offset1:112
	s_waitcnt lgkmcnt(1)
	v_fma_f64 v[57:58], v[30:31], v[65:66], v[57:58]
	v_fma_f64 v[59:60], v[32:33], v[65:66], v[40:41]
	;; [unrolled: 1-line block ×4, first 2 shown]
	ds_read_b128 v[30:33], v45 offset:32
	ds_read2_b64 v[38:41], v44 offset0:128 offset1:144
	s_waitcnt lgkmcnt(2)
	v_fma_f64 v[69:70], v[34:35], v[67:68], v[57:58]
	v_fma_f64 v[71:72], v[36:37], v[67:68], v[59:60]
	;; [unrolled: 1-line block ×4, first 2 shown]
	ds_read_b128 v[34:37], v45 offset:4128
	ds_read_b128 v[57:60], v45 offset:48
	ds_read2_b64 v[61:64], v44 offset0:160 offset1:176
	ds_read_b128 v[65:68], v45 offset:4144
	s_waitcnt lgkmcnt(4)
	v_fma_f64 v[69:70], v[38:39], v[30:31], v[69:70]
	v_fma_f64 v[30:31], v[40:41], v[30:31], v[71:72]
	s_waitcnt lgkmcnt(3)
	v_fma_f64 v[71:72], v[38:39], v[34:35], v[73:74]
	v_fma_f64 v[34:35], v[40:41], v[34:35], v[42:43]
	ds_read2_b64 v[38:41], v44 offset0:192 offset1:208
	s_waitcnt lgkmcnt(2)
	v_fma_f64 v[42:43], v[61:62], v[32:33], v[69:70]
	v_fma_f64 v[69:70], v[63:64], v[32:33], v[30:31]
	v_fma_f64 v[61:62], v[61:62], v[36:37], v[71:72]
	v_fma_f64 v[34:35], v[63:64], v[36:37], v[34:35]
	ds_read2_b64 v[30:33], v44 offset0:224 offset1:240
	s_waitcnt lgkmcnt(1)
	v_fma_f64 v[42:43], v[38:39], v[57:58], v[42:43]
	v_fma_f64 v[57:58], v[40:41], v[57:58], v[69:70]
	v_fma_f64 v[61:62], v[38:39], v[65:66], v[61:62]
	v_fma_f64 v[63:64], v[40:41], v[65:66], v[34:35]
	ds_read_b128 v[34:37], v45 offset:64
	ds_read2_b64 v[38:41], v52 offset1:16
	s_waitcnt lgkmcnt(2)
	v_fma_f64 v[42:43], v[30:31], v[59:60], v[42:43]
	v_fma_f64 v[69:70], v[32:33], v[59:60], v[57:58]
	v_fma_f64 v[71:72], v[30:31], v[67:68], v[61:62]
	v_fma_f64 v[73:74], v[32:33], v[67:68], v[63:64]
	ds_read_b128 v[30:33], v45 offset:4160
	ds_read2_b64 v[57:60], v52 offset0:32 offset1:48
	ds_read_b128 v[61:64], v45 offset:80
	ds_read_b128 v[65:68], v45 offset:4176
	s_waitcnt lgkmcnt(4)
	v_fma_f64 v[42:43], v[38:39], v[34:35], v[42:43]
	v_fma_f64 v[34:35], v[40:41], v[34:35], v[69:70]
	s_waitcnt lgkmcnt(3)
	v_fma_f64 v[69:70], v[38:39], v[30:31], v[71:72]
	v_fma_f64 v[30:31], v[40:41], v[30:31], v[73:74]
	ds_read2_b64 v[38:41], v52 offset0:64 offset1:80
	s_waitcnt lgkmcnt(3)
	v_fma_f64 v[42:43], v[57:58], v[36:37], v[42:43]
	v_fma_f64 v[34:35], v[59:60], v[36:37], v[34:35]
	v_fma_f64 v[36:37], v[57:58], v[32:33], v[69:70]
	v_fma_f64 v[57:58], v[59:60], v[32:33], v[30:31]
	ds_read2_b64 v[30:33], v52 offset0:96 offset1:112
	s_waitcnt lgkmcnt(1)
	v_fma_f64 v[42:43], v[38:39], v[61:62], v[42:43]
	v_fma_f64 v[59:60], v[40:41], v[61:62], v[34:35]
	v_fma_f64 v[61:62], v[38:39], v[65:66], v[36:37]
	v_fma_f64 v[57:58], v[40:41], v[65:66], v[57:58]
	ds_read_b128 v[34:37], v45 offset:96
	ds_read2_b64 v[38:41], v52 offset0:128 offset1:144
	s_waitcnt lgkmcnt(2)
	v_fma_f64 v[42:43], v[30:31], v[63:64], v[42:43]
	v_fma_f64 v[69:70], v[32:33], v[63:64], v[59:60]
	v_fma_f64 v[71:72], v[30:31], v[67:68], v[61:62]
	v_fma_f64 v[73:74], v[32:33], v[67:68], v[57:58]
	ds_read_b128 v[30:33], v45 offset:4192
	ds_read2_b64 v[57:60], v52 offset0:160 offset1:176
	ds_read_b128 v[61:64], v45 offset:112
	ds_read_b128 v[65:68], v45 offset:4208
	s_waitcnt lgkmcnt(4)
	v_fma_f64 v[42:43], v[38:39], v[34:35], v[42:43]
	v_fma_f64 v[34:35], v[40:41], v[34:35], v[69:70]
	s_waitcnt lgkmcnt(3)
	v_fma_f64 v[69:70], v[38:39], v[30:31], v[71:72]
	v_fma_f64 v[30:31], v[40:41], v[30:31], v[73:74]
	ds_read2_b64 v[38:41], v52 offset0:192 offset1:208
	s_waitcnt lgkmcnt(3)
	v_fma_f64 v[42:43], v[57:58], v[36:37], v[42:43]
	v_fma_f64 v[34:35], v[59:60], v[36:37], v[34:35]
	v_fma_f64 v[36:37], v[57:58], v[32:33], v[69:70]
	v_fma_f64 v[57:58], v[59:60], v[32:33], v[30:31]
	ds_read2_b64 v[30:33], v52 offset0:224 offset1:240
	s_waitcnt lgkmcnt(1)
	v_fma_f64 v[42:43], v[38:39], v[61:62], v[42:43]
	v_fma_f64 v[59:60], v[40:41], v[61:62], v[34:35]
	v_fma_f64 v[61:62], v[38:39], v[65:66], v[36:37]
	v_fma_f64 v[57:58], v[40:41], v[65:66], v[57:58]
	ds_read_b128 v[34:37], v45 offset:128
	ds_read2_b64 v[38:41], v53 offset1:16
	s_waitcnt lgkmcnt(2)
	v_fma_f64 v[42:43], v[30:31], v[63:64], v[42:43]
	v_fma_f64 v[69:70], v[32:33], v[63:64], v[59:60]
	v_fma_f64 v[71:72], v[30:31], v[67:68], v[61:62]
	v_fma_f64 v[73:74], v[32:33], v[67:68], v[57:58]
	ds_read_b128 v[30:33], v45 offset:4224
	ds_read2_b64 v[57:60], v53 offset0:32 offset1:48
	ds_read_b128 v[61:64], v45 offset:144
	ds_read_b128 v[65:68], v45 offset:4240
	s_waitcnt lgkmcnt(4)
	v_fma_f64 v[42:43], v[38:39], v[34:35], v[42:43]
	v_fma_f64 v[34:35], v[40:41], v[34:35], v[69:70]
	s_waitcnt lgkmcnt(3)
	v_fma_f64 v[69:70], v[38:39], v[30:31], v[71:72]
	v_fma_f64 v[30:31], v[40:41], v[30:31], v[73:74]
	ds_read2_b64 v[38:41], v53 offset0:64 offset1:80
	s_waitcnt lgkmcnt(3)
	v_fma_f64 v[42:43], v[57:58], v[36:37], v[42:43]
	v_fma_f64 v[34:35], v[59:60], v[36:37], v[34:35]
	v_fma_f64 v[36:37], v[57:58], v[32:33], v[69:70]
	v_fma_f64 v[57:58], v[59:60], v[32:33], v[30:31]
	ds_read2_b64 v[30:33], v53 offset0:96 offset1:112
	s_waitcnt lgkmcnt(1)
	v_fma_f64 v[42:43], v[38:39], v[61:62], v[42:43]
	v_fma_f64 v[59:60], v[40:41], v[61:62], v[34:35]
	v_fma_f64 v[61:62], v[38:39], v[65:66], v[36:37]
	v_fma_f64 v[57:58], v[40:41], v[65:66], v[57:58]
	ds_read_b128 v[34:37], v45 offset:160
	ds_read2_b64 v[38:41], v53 offset0:128 offset1:144
	s_waitcnt lgkmcnt(2)
	v_fma_f64 v[42:43], v[30:31], v[63:64], v[42:43]
	v_fma_f64 v[69:70], v[32:33], v[63:64], v[59:60]
	v_fma_f64 v[71:72], v[30:31], v[67:68], v[61:62]
	v_fma_f64 v[73:74], v[32:33], v[67:68], v[57:58]
	ds_read_b128 v[30:33], v45 offset:4256
	ds_read2_b64 v[57:60], v53 offset0:160 offset1:176
	ds_read_b128 v[61:64], v45 offset:176
	;; [unrolled: 58-line block ×3, first 2 shown]
	ds_read_b128 v[65:68], v45 offset:4336
	s_waitcnt lgkmcnt(4)
	v_fma_f64 v[42:43], v[38:39], v[34:35], v[42:43]
	v_fma_f64 v[34:35], v[40:41], v[34:35], v[69:70]
	s_waitcnt lgkmcnt(3)
	v_fma_f64 v[69:70], v[38:39], v[30:31], v[71:72]
	v_fma_f64 v[30:31], v[40:41], v[30:31], v[73:74]
	ds_read2_b64 v[38:41], v54 offset0:192 offset1:208
	s_waitcnt lgkmcnt(3)
	v_fma_f64 v[42:43], v[57:58], v[36:37], v[42:43]
	v_fma_f64 v[34:35], v[59:60], v[36:37], v[34:35]
	;; [unrolled: 1-line block ×4, first 2 shown]
	ds_read2_b64 v[57:60], v54 offset0:224 offset1:240
	s_waitcnt lgkmcnt(0)
	s_barrier
	buffer_gl0_inv
	v_fma_f64 v[32:33], v[38:39], v[61:62], v[42:43]
	v_fma_f64 v[34:35], v[40:41], v[61:62], v[34:35]
	;; [unrolled: 1-line block ×8, first 2 shown]
	s_cbranch_scc1 .LBB40_44
.LBB40_7:                               ;   Parent Loop BB40_4 Depth=1
                                        ; =>  This Inner Loop Header: Depth=2
	v_add_co_u32 v40, s5, v4, s20
	v_add_co_ci_u32_e64 v41, null, s21, v5, s5
	v_cmp_eq_u64_e64 s8, s[20:21], v[10:11]
                                        ; implicit-def: $vgpr42_vgpr43
	v_cmp_le_i64_e64 s6, s[22:23], v[40:41]
	v_cmp_lt_i64_e64 s5, v[40:41], v[2:3]
	s_and_b32 s25, s42, s8
	v_add_co_u32 v38, s8, v47, s16
	v_add_co_ci_u32_e64 v39, null, s17, v48, s8
	s_or_b32 s9, s6, s5
	s_or_b32 s8, s9, s25
	s_nor_b32 s8, s0, s8
	s_and_saveexec_b32 s9, s8
	s_xor_b32 s8, exec_lo, s9
	s_cbranch_execz .LBB40_9
; %bb.8:                                ;   in Loop: Header=BB40_7 Depth=2
	global_load_dwordx2 v[42:43], v[38:39], off
.LBB40_9:                               ;   in Loop: Header=BB40_7 Depth=2
	s_andn2_saveexec_b32 s8, s8
	s_cbranch_execz .LBB40_11
; %bb.10:                               ;   in Loop: Header=BB40_7 Depth=2
	v_cndmask_b32_e64 v25, 0, 0x3ff00000, s25
	s_waitcnt vmcnt(0)
	v_mov_b32_e32 v43, v25
	v_mov_b32_e32 v42, v24
.LBB40_11:                              ;   in Loop: Header=BB40_7 Depth=2
	s_or_b32 exec_lo, exec_lo, s8
	v_cmp_eq_u64_e64 s8, s[20:21], v[12:13]
	v_cmp_gt_i64_e64 s9, v[8:9], v[40:41]
	s_waitcnt vmcnt(0)
	ds_write_b64 v46, v[42:43]
	s_and_b32 s8, s42, s8
	s_or_b32 s6, s6, s9
	s_or_b32 s6, s6, s8
	s_nor_b32 s6, s3, s6
	s_and_saveexec_b32 s9, s6
	s_xor_b32 s9, exec_lo, s9
	s_cbranch_execz .LBB40_13
; %bb.12:                               ;   in Loop: Header=BB40_7 Depth=2
	v_add_co_u32 v42, s6, v49, s16
	v_add_co_ci_u32_e64 v43, null, s17, v50, s6
	global_load_dwordx2 v[42:43], v[42:43], off
	s_waitcnt vmcnt(0)
	ds_write_b64 v46, v[42:43] offset:128
.LBB40_13:                              ;   in Loop: Header=BB40_7 Depth=2
	s_andn2_saveexec_b32 s6, s9
	s_cbranch_execz .LBB40_19
; %bb.14:                               ;   in Loop: Header=BB40_7 Depth=2
	s_xor_b32 s8, s8, -1
	s_and_saveexec_b32 s9, s8
	s_xor_b32 s8, exec_lo, s9
; %bb.15:                               ;   in Loop: Header=BB40_7 Depth=2
	v_mov_b32_e32 v25, v24
	ds_write_b64 v46, v[24:25] offset:128
; %bb.16:                               ;   in Loop: Header=BB40_7 Depth=2
	s_andn2_saveexec_b32 s8, s8
; %bb.17:                               ;   in Loop: Header=BB40_7 Depth=2
	v_mov_b32_e32 v25, v51
	ds_write_b64 v46, v[24:25] offset:128
; %bb.18:                               ;   in Loop: Header=BB40_7 Depth=2
	s_or_b32 exec_lo, exec_lo, s8
.LBB40_19:                              ;   in Loop: Header=BB40_7 Depth=2
	s_or_b32 exec_lo, exec_lo, s6
	v_add_co_u32 v40, s6, v40, 16
	v_add_co_ci_u32_e64 v41, null, 0, v41, s6
	v_cmp_eq_u64_e64 s8, s[20:21], v[16:17]
	v_cmp_le_i64_e64 s6, s[22:23], v[40:41]
	v_cmp_lt_i64_e64 s9, v[40:41], v[2:3]
                                        ; implicit-def: $vgpr40_vgpr41
	s_and_b32 s8, s42, s8
	s_or_b32 s9, s6, s9
	s_or_b32 s9, s9, s8
	s_nor_b32 s9, s0, s9
	s_and_saveexec_b32 s26, s9
	s_xor_b32 s9, exec_lo, s26
	s_cbranch_execz .LBB40_21
; %bb.20:                               ;   in Loop: Header=BB40_7 Depth=2
	global_load_dwordx2 v[40:41], v[38:39], off offset:128
.LBB40_21:                              ;   in Loop: Header=BB40_7 Depth=2
	s_andn2_saveexec_b32 s9, s9
	s_cbranch_execz .LBB40_23
; %bb.22:                               ;   in Loop: Header=BB40_7 Depth=2
	v_cndmask_b32_e64 v25, 0, 0x3ff00000, s8
	s_waitcnt vmcnt(0)
	v_mov_b32_e32 v41, v25
	v_mov_b32_e32 v40, v24
.LBB40_23:                              ;   in Loop: Header=BB40_7 Depth=2
	s_or_b32 exec_lo, exec_lo, s9
	s_or_b32 s5, s6, s5
	s_waitcnt vmcnt(0)
	ds_write_b64 v46, v[40:41] offset:4096
	s_or_b32 s5, s5, s25
	s_nor_b32 s5, s3, s5
	s_and_saveexec_b32 s6, s5
	s_xor_b32 s6, exec_lo, s6
	s_cbranch_execz .LBB40_25
; %bb.24:                               ;   in Loop: Header=BB40_7 Depth=2
	v_add_co_u32 v38, s5, v49, s16
	v_add_co_ci_u32_e64 v39, null, s17, v50, s5
	global_load_dwordx2 v[38:39], v[38:39], off offset:128
	s_waitcnt vmcnt(0)
	ds_write_b64 v46, v[38:39] offset:4224
.LBB40_25:                              ;   in Loop: Header=BB40_7 Depth=2
	s_andn2_saveexec_b32 s5, s6
	s_cbranch_execz .LBB40_31
; %bb.26:                               ;   in Loop: Header=BB40_7 Depth=2
	s_xor_b32 s6, s25, -1
	s_and_saveexec_b32 s8, s6
	s_xor_b32 s6, exec_lo, s8
; %bb.27:                               ;   in Loop: Header=BB40_7 Depth=2
	v_mov_b32_e32 v25, v24
	ds_write_b64 v46, v[24:25] offset:4224
; %bb.28:                               ;   in Loop: Header=BB40_7 Depth=2
	s_andn2_saveexec_b32 s6, s6
; %bb.29:                               ;   in Loop: Header=BB40_7 Depth=2
	v_mov_b32_e32 v25, v51
	ds_write_b64 v46, v[24:25] offset:4224
; %bb.30:                               ;   in Loop: Header=BB40_7 Depth=2
	s_or_b32 exec_lo, exec_lo, s6
.LBB40_31:                              ;   in Loop: Header=BB40_7 Depth=2
	s_or_b32 exec_lo, exec_lo, s5
	v_add_co_u32 v40, s5, v2, s20
	v_add_co_ci_u32_e64 v41, null, s21, v3, s5
	v_add_co_u32 v38, s6, v26, s16
	v_mov_b32_e32 v42, 0
	v_cmp_gt_i64_e64 s5, s[22:23], v[40:41]
	v_mov_b32_e32 v43, 0
	v_add_co_ci_u32_e64 v39, null, s17, v27, s6
	s_and_b32 s8, vcc_lo, s5
	s_and_saveexec_b32 s6, s8
	s_cbranch_execz .LBB40_33
; %bb.32:                               ;   in Loop: Header=BB40_7 Depth=2
	global_load_dwordx2 v[42:43], v[38:39], off offset:-128
.LBB40_33:                              ;   in Loop: Header=BB40_7 Depth=2
	s_or_b32 exec_lo, exec_lo, s6
	v_cmp_gt_i64_e64 s6, s[18:19], v[40:41]
	s_waitcnt vmcnt(0)
	ds_write_b64 v0, v[42:43]
	s_and_b32 s8, vcc_lo, s6
	s_xor_b32 s8, s8, -1
	s_and_saveexec_b32 s9, s8
	s_xor_b32 s8, exec_lo, s9
; %bb.34:                               ;   in Loop: Header=BB40_7 Depth=2
	v_mov_b32_e32 v25, v24
                                        ; implicit-def: $vgpr38_vgpr39
	ds_write_b64 v0, v[24:25] offset:128
; %bb.35:                               ;   in Loop: Header=BB40_7 Depth=2
	s_andn2_saveexec_b32 s8, s8
	s_cbranch_execz .LBB40_37
; %bb.36:                               ;   in Loop: Header=BB40_7 Depth=2
	global_load_dwordx2 v[38:39], v[38:39], off
	s_waitcnt vmcnt(0)
	ds_write_b64 v0, v[38:39] offset:128
.LBB40_37:                              ;   in Loop: Header=BB40_7 Depth=2
	s_or_b32 exec_lo, exec_lo, s8
	v_add_co_u32 v38, s8, v28, s16
	v_mov_b32_e32 v40, 0
	v_mov_b32_e32 v41, 0
	v_add_co_ci_u32_e64 v39, null, s17, v29, s8
	s_and_b32 s8, s4, s5
	s_and_saveexec_b32 s5, s8
	s_cbranch_execz .LBB40_39
; %bb.38:                               ;   in Loop: Header=BB40_7 Depth=2
	global_load_dwordx2 v[40:41], v[38:39], off
.LBB40_39:                              ;   in Loop: Header=BB40_7 Depth=2
	s_or_b32 exec_lo, exec_lo, s5
	s_and_b32 s5, s4, s6
	s_waitcnt vmcnt(0)
	ds_write_b64 v0, v[40:41] offset:4096
	s_xor_b32 s5, s5, -1
	s_and_saveexec_b32 s6, s5
	s_xor_b32 s5, exec_lo, s6
; %bb.40:                               ;   in Loop: Header=BB40_7 Depth=2
	v_mov_b32_e32 v25, v24
                                        ; implicit-def: $vgpr38_vgpr39
	ds_write_b64 v0, v[24:25] offset:4224
; %bb.41:                               ;   in Loop: Header=BB40_7 Depth=2
	s_andn2_saveexec_b32 s5, s5
	s_cbranch_execz .LBB40_6
; %bb.42:                               ;   in Loop: Header=BB40_7 Depth=2
	global_load_dwordx2 v[38:39], v[38:39], off offset:128
	s_waitcnt vmcnt(0)
	ds_write_b64 v0, v[38:39] offset:4224
	s_branch .LBB40_6
.LBB40_43:                              ;   in Loop: Header=BB40_4 Depth=1
	v_mov_b32_e32 v36, 0
	v_mov_b32_e32 v34, 0
	;; [unrolled: 1-line block ×8, first 2 shown]
.LBB40_44:                              ;   in Loop: Header=BB40_4 Depth=1
	v_mul_lo_u32 v23, s29, v55
	v_mul_lo_u32 v27, s28, v56
	v_mad_u64_u32 v[25:26], null, s28, v55, 0
	v_cmp_gt_i32_e32 vcc_lo, s14, v55
	v_add3_u32 v26, v26, v27, v23
	v_lshlrev_b64 v[25:26], 3, v[25:26]
	v_add_co_u32 v23, s4, s30, v25
	v_add_co_ci_u32_e64 v25, null, s31, v26, s4
	s_and_b32 s4, s1, vcc_lo
	s_and_saveexec_b32 s5, s4
	s_cbranch_execz .LBB40_46
; %bb.45:                               ;   in Loop: Header=BB40_4 Depth=1
	v_add_co_u32 v26, s4, v23, v14
	v_add_co_ci_u32_e64 v27, null, v25, v15, s4
	global_load_dwordx2 v[28:29], v[26:27], off
	s_waitcnt vmcnt(0)
	v_fma_f64 v[28:29], s[10:11], v[36:37], v[28:29]
	global_store_dwordx2 v[26:27], v[28:29], off
.LBB40_46:                              ;   in Loop: Header=BB40_4 Depth=1
	s_or_b32 exec_lo, exec_lo, s5
	s_and_b32 s5, s2, vcc_lo
	s_and_saveexec_b32 s4, s5
	s_cbranch_execz .LBB40_48
; %bb.47:                               ;   in Loop: Header=BB40_4 Depth=1
	v_lshlrev_b64 v[26:27], 3, v[6:7]
	v_add_co_u32 v26, vcc_lo, v23, v26
	v_add_co_ci_u32_e64 v27, null, v25, v27, vcc_lo
	global_load_dwordx2 v[28:29], v[26:27], off
	s_waitcnt vmcnt(0)
	v_fma_f64 v[28:29], s[10:11], v[34:35], v[28:29]
	global_store_dwordx2 v[26:27], v[28:29], off
.LBB40_48:                              ;   in Loop: Header=BB40_4 Depth=1
	s_or_b32 exec_lo, exec_lo, s4
	v_add_nc_u32_e32 v23, 16, v55
	v_ashrrev_i32_e32 v27, 31, v23
	v_mul_lo_u32 v28, s29, v23
	v_mad_u64_u32 v[25:26], null, s28, v23, 0
	v_cmp_gt_i32_e32 vcc_lo, s14, v23
	v_mul_lo_u32 v27, s28, v27
	v_add3_u32 v26, v26, v27, v28
	v_lshlrev_b64 v[25:26], 3, v[25:26]
	v_add_co_u32 v23, s4, s30, v25
	v_add_co_ci_u32_e64 v25, null, s31, v26, s4
	s_and_b32 s4, s1, vcc_lo
	s_and_saveexec_b32 s5, s4
	s_cbranch_execz .LBB40_50
; %bb.49:                               ;   in Loop: Header=BB40_4 Depth=1
	v_add_co_u32 v26, s4, v23, v14
	v_add_co_ci_u32_e64 v27, null, v25, v15, s4
	global_load_dwordx2 v[28:29], v[26:27], off
	s_waitcnt vmcnt(0)
	v_fma_f64 v[28:29], s[10:11], v[32:33], v[28:29]
	global_store_dwordx2 v[26:27], v[28:29], off
.LBB40_50:                              ;   in Loop: Header=BB40_4 Depth=1
	s_or_b32 exec_lo, exec_lo, s5
	s_and_b32 s5, s2, vcc_lo
	s_and_saveexec_b32 s4, s5
	s_cbranch_execz .LBB40_3
; %bb.51:                               ;   in Loop: Header=BB40_4 Depth=1
	v_lshlrev_b64 v[26:27], 3, v[6:7]
	v_add_co_u32 v26, vcc_lo, v23, v26
	v_add_co_ci_u32_e64 v27, null, v25, v27, vcc_lo
	global_load_dwordx2 v[28:29], v[26:27], off
	s_waitcnt vmcnt(0)
	v_fma_f64 v[28:29], s[10:11], v[30:31], v[28:29]
	global_store_dwordx2 v[26:27], v[28:29], off
	s_branch .LBB40_3
.LBB40_52:
	s_endpgm
	.section	.rodata,"a",@progbits
	.p2align	6, 0x0
	.amdhsa_kernel _ZL30rocblas_trmm_outofplace_kernelIdLi32ELi2ELb1ELb0ELb1ELb0EPKdS0_dEv17rocblas_diagonal_iiT6_lPT7_lllS5_lllPT8_llli
		.amdhsa_group_segment_fixed_size 16384
		.amdhsa_private_segment_fixed_size 0
		.amdhsa_kernarg_size 392
		.amdhsa_user_sgpr_count 6
		.amdhsa_user_sgpr_private_segment_buffer 1
		.amdhsa_user_sgpr_dispatch_ptr 0
		.amdhsa_user_sgpr_queue_ptr 0
		.amdhsa_user_sgpr_kernarg_segment_ptr 1
		.amdhsa_user_sgpr_dispatch_id 0
		.amdhsa_user_sgpr_flat_scratch_init 0
		.amdhsa_user_sgpr_private_segment_size 0
		.amdhsa_wavefront_size32 1
		.amdhsa_uses_dynamic_stack 0
		.amdhsa_system_sgpr_private_segment_wavefront_offset 0
		.amdhsa_system_sgpr_workgroup_id_x 1
		.amdhsa_system_sgpr_workgroup_id_y 1
		.amdhsa_system_sgpr_workgroup_id_z 1
		.amdhsa_system_sgpr_workgroup_info 0
		.amdhsa_system_vgpr_workitem_id 1
		.amdhsa_next_free_vgpr 77
		.amdhsa_next_free_sgpr 46
		.amdhsa_reserve_vcc 1
		.amdhsa_reserve_flat_scratch 0
		.amdhsa_float_round_mode_32 0
		.amdhsa_float_round_mode_16_64 0
		.amdhsa_float_denorm_mode_32 3
		.amdhsa_float_denorm_mode_16_64 3
		.amdhsa_dx10_clamp 1
		.amdhsa_ieee_mode 1
		.amdhsa_fp16_overflow 0
		.amdhsa_workgroup_processor_mode 1
		.amdhsa_memory_ordered 1
		.amdhsa_forward_progress 1
		.amdhsa_shared_vgpr_count 0
		.amdhsa_exception_fp_ieee_invalid_op 0
		.amdhsa_exception_fp_denorm_src 0
		.amdhsa_exception_fp_ieee_div_zero 0
		.amdhsa_exception_fp_ieee_overflow 0
		.amdhsa_exception_fp_ieee_underflow 0
		.amdhsa_exception_fp_ieee_inexact 0
		.amdhsa_exception_int_div_zero 0
	.end_amdhsa_kernel
	.section	.text._ZL30rocblas_trmm_outofplace_kernelIdLi32ELi2ELb1ELb0ELb1ELb0EPKdS0_dEv17rocblas_diagonal_iiT6_lPT7_lllS5_lllPT8_llli,"axG",@progbits,_ZL30rocblas_trmm_outofplace_kernelIdLi32ELi2ELb1ELb0ELb1ELb0EPKdS0_dEv17rocblas_diagonal_iiT6_lPT7_lllS5_lllPT8_llli,comdat
.Lfunc_end40:
	.size	_ZL30rocblas_trmm_outofplace_kernelIdLi32ELi2ELb1ELb0ELb1ELb0EPKdS0_dEv17rocblas_diagonal_iiT6_lPT7_lllS5_lllPT8_llli, .Lfunc_end40-_ZL30rocblas_trmm_outofplace_kernelIdLi32ELi2ELb1ELb0ELb1ELb0EPKdS0_dEv17rocblas_diagonal_iiT6_lPT7_lllS5_lllPT8_llli
                                        ; -- End function
	.set _ZL30rocblas_trmm_outofplace_kernelIdLi32ELi2ELb1ELb0ELb1ELb0EPKdS0_dEv17rocblas_diagonal_iiT6_lPT7_lllS5_lllPT8_llli.num_vgpr, 77
	.set _ZL30rocblas_trmm_outofplace_kernelIdLi32ELi2ELb1ELb0ELb1ELb0EPKdS0_dEv17rocblas_diagonal_iiT6_lPT7_lllS5_lllPT8_llli.num_agpr, 0
	.set _ZL30rocblas_trmm_outofplace_kernelIdLi32ELi2ELb1ELb0ELb1ELb0EPKdS0_dEv17rocblas_diagonal_iiT6_lPT7_lllS5_lllPT8_llli.numbered_sgpr, 46
	.set _ZL30rocblas_trmm_outofplace_kernelIdLi32ELi2ELb1ELb0ELb1ELb0EPKdS0_dEv17rocblas_diagonal_iiT6_lPT7_lllS5_lllPT8_llli.num_named_barrier, 0
	.set _ZL30rocblas_trmm_outofplace_kernelIdLi32ELi2ELb1ELb0ELb1ELb0EPKdS0_dEv17rocblas_diagonal_iiT6_lPT7_lllS5_lllPT8_llli.private_seg_size, 0
	.set _ZL30rocblas_trmm_outofplace_kernelIdLi32ELi2ELb1ELb0ELb1ELb0EPKdS0_dEv17rocblas_diagonal_iiT6_lPT7_lllS5_lllPT8_llli.uses_vcc, 1
	.set _ZL30rocblas_trmm_outofplace_kernelIdLi32ELi2ELb1ELb0ELb1ELb0EPKdS0_dEv17rocblas_diagonal_iiT6_lPT7_lllS5_lllPT8_llli.uses_flat_scratch, 0
	.set _ZL30rocblas_trmm_outofplace_kernelIdLi32ELi2ELb1ELb0ELb1ELb0EPKdS0_dEv17rocblas_diagonal_iiT6_lPT7_lllS5_lllPT8_llli.has_dyn_sized_stack, 0
	.set _ZL30rocblas_trmm_outofplace_kernelIdLi32ELi2ELb1ELb0ELb1ELb0EPKdS0_dEv17rocblas_diagonal_iiT6_lPT7_lllS5_lllPT8_llli.has_recursion, 0
	.set _ZL30rocblas_trmm_outofplace_kernelIdLi32ELi2ELb1ELb0ELb1ELb0EPKdS0_dEv17rocblas_diagonal_iiT6_lPT7_lllS5_lllPT8_llli.has_indirect_call, 0
	.section	.AMDGPU.csdata,"",@progbits
; Kernel info:
; codeLenInByte = 3888
; TotalNumSgprs: 48
; NumVgprs: 77
; ScratchSize: 0
; MemoryBound: 0
; FloatMode: 240
; IeeeMode: 1
; LDSByteSize: 16384 bytes/workgroup (compile time only)
; SGPRBlocks: 0
; VGPRBlocks: 9
; NumSGPRsForWavesPerEU: 48
; NumVGPRsForWavesPerEU: 77
; Occupancy: 12
; WaveLimiterHint : 0
; COMPUTE_PGM_RSRC2:SCRATCH_EN: 0
; COMPUTE_PGM_RSRC2:USER_SGPR: 6
; COMPUTE_PGM_RSRC2:TRAP_HANDLER: 0
; COMPUTE_PGM_RSRC2:TGID_X_EN: 1
; COMPUTE_PGM_RSRC2:TGID_Y_EN: 1
; COMPUTE_PGM_RSRC2:TGID_Z_EN: 1
; COMPUTE_PGM_RSRC2:TIDIG_COMP_CNT: 1
	.section	.text._ZL30rocblas_trmm_outofplace_kernelIdLi32ELi2ELb1ELb0ELb1ELb0EdKddEv17rocblas_diagonal_iiT6_lPT7_lllS4_lllPT8_llli,"axG",@progbits,_ZL30rocblas_trmm_outofplace_kernelIdLi32ELi2ELb1ELb0ELb1ELb0EdKddEv17rocblas_diagonal_iiT6_lPT7_lllS4_lllPT8_llli,comdat
	.globl	_ZL30rocblas_trmm_outofplace_kernelIdLi32ELi2ELb1ELb0ELb1ELb0EdKddEv17rocblas_diagonal_iiT6_lPT7_lllS4_lllPT8_llli ; -- Begin function _ZL30rocblas_trmm_outofplace_kernelIdLi32ELi2ELb1ELb0ELb1ELb0EdKddEv17rocblas_diagonal_iiT6_lPT7_lllS4_lllPT8_llli
	.p2align	8
	.type	_ZL30rocblas_trmm_outofplace_kernelIdLi32ELi2ELb1ELb0ELb1ELb0EdKddEv17rocblas_diagonal_iiT6_lPT7_lllS4_lllPT8_llli,@function
_ZL30rocblas_trmm_outofplace_kernelIdLi32ELi2ELb1ELb0ELb1ELb0EdKddEv17rocblas_diagonal_iiT6_lPT7_lllS4_lllPT8_llli: ; @_ZL30rocblas_trmm_outofplace_kernelIdLi32ELi2ELb1ELb0ELb1ELb0EdKddEv17rocblas_diagonal_iiT6_lPT7_lllS4_lllPT8_llli
; %bb.0:
	s_load_dwordx2 s[10:11], s[4:5], 0x10
	s_waitcnt lgkmcnt(0)
	v_cmp_eq_f64_e64 s0, s[10:11], 0
	s_and_b32 vcc_lo, exec_lo, s0
	s_cbranch_vccnz .LBB41_52
; %bb.1:
	s_load_dwordx4 s[28:31], s[4:5], 0x0
	s_waitcnt lgkmcnt(0)
	s_add_i32 s0, s30, -1
	s_ashr_i32 s1, s0, 31
	s_lshr_b32 s1, s1, 27
	s_add_i32 s0, s0, s1
	s_ashr_i32 s31, s0, 5
	s_cmp_gt_i32 s7, s31
	s_cbranch_scc1 .LBB41_52
; %bb.2:
	s_clause 0x2
	s_load_dwordx16 s[12:27], s[4:5], 0x20
	s_load_dwordx8 s[36:43], s[4:5], 0x60
	s_load_dword s33, s[4:5], 0x8c
	v_lshlrev_b32_e32 v2, 8, v1
	v_lshlrev_b32_e32 v44, 3, v0
	s_mov_b32 s34, s29
	v_mov_b32_e32 v51, 0x3ff00000
	v_add_nc_u32_e32 v45, 0x2000, v2
	v_add_nc_u32_e32 v46, v44, v2
	;; [unrolled: 1-line block ×6, first 2 shown]
	s_waitcnt lgkmcnt(0)
	s_mul_i32 s1, s19, s8
	s_mul_hi_u32 s2, s18, s8
	s_mul_i32 s0, s18, s8
	s_add_i32 s1, s2, s1
	s_mul_i32 s2, s43, s8
	s_lshl_b64 s[4:5], s[0:1], 3
	s_mul_hi_u32 s1, s42, s8
	s_add_u32 s3, s12, s4
	s_addc_u32 s9, s13, s5
	s_lshl_b64 s[44:45], s[14:15], 3
	s_mul_i32 s0, s42, s8
	s_add_u32 s3, s3, s44
	s_addc_u32 s18, s9, s45
	s_add_i32 s1, s1, s2
	s_mul_i32 s19, s27, s8
	s_lshl_b64 s[0:1], s[0:1], 3
	s_add_u32 s2, s36, s0
	s_addc_u32 s9, s37, s1
	s_lshl_b64 s[0:1], s[38:39], 3
	s_add_u32 s27, s2, s0
	s_addc_u32 s36, s9, s1
	s_lshl_b32 s0, s6, 5
	s_mul_hi_u32 s2, s26, s8
	v_add_nc_u32_e32 v2, s0, v0
	v_add_nc_u32_e32 v4, s0, v1
	s_sub_i32 s37, s29, s0
	s_mul_i32 s8, s26, s8
	s_cmp_gt_i32 s37, 0
	v_ashrrev_i32_e32 v3, 31, v2
	v_mul_lo_u32 v0, s17, v2
	v_mad_u64_u32 v[7:8], null, s16, v2, 0
	v_ashrrev_i32_e32 v5, 31, v4
	v_mul_lo_u32 v9, s16, v3
	s_cselect_b32 s26, -1, 0
	s_cmpk_eq_i32 s28, 0x84
	v_lshlrev_b64 v[14:15], 3, v[2:3]
	v_lshlrev_b64 v[22:23], 3, v[4:5]
	s_cselect_b32 s28, -1, 0
	s_ashr_i32 s35, s29, 31
	s_ashr_i32 s38, s30, 31
	v_add3_u32 v8, v8, v9, v0
	s_add_u32 s14, s29, -16
	s_addc_u32 s15, s35, -1
	s_add_i32 s9, s2, s19
	v_add_nc_u32_e32 v6, 16, v2
	v_lshlrev_b64 v[10:11], 3, v[7:8]
	v_add_co_u32 v8, vcc_lo, v2, 16
	v_add_co_ci_u32_e64 v9, null, 0, v3, vcc_lo
	s_lshl_b64 s[8:9], s[8:9], 3
	v_add_co_u32 v0, vcc_lo, s3, v10
	v_add_co_ci_u32_e64 v10, null, s18, v11, vcc_lo
	s_lshl_b64 s[18:19], s[22:23], 3
	v_add_co_u32 v0, vcc_lo, v0, v22
	v_add_co_ci_u32_e64 v48, null, v10, v23, vcc_lo
	v_sub_co_u32 v10, vcc_lo, v2, v4
	v_sub_co_ci_u32_e64 v11, null, v3, v5, vcc_lo
	s_add_u32 s6, s8, s18
	v_add_co_u32 v12, vcc_lo, v10, 16
	v_add_co_ci_u32_e64 v13, null, 0, v11, vcc_lo
	v_add_co_u32 v16, vcc_lo, 0x80, v14
	s_addc_u32 s8, s9, s19
	s_add_u32 s6, s20, s6
	v_add_co_ci_u32_e64 v17, null, 0, v15, vcc_lo
	s_addc_u32 s8, s21, s8
	s_lshl_b64 s[18:19], s[24:25], 3
	s_lshl_b32 s20, s33, 5
	s_add_u32 s4, s44, s4
	s_addc_u32 s5, s45, s5
	v_mul_lo_u32 v20, s16, v17
	v_mad_u64_u32 v[24:25], null, s16, v16, s[4:5]
	v_mul_lo_u32 v21, s17, v16
	v_add_co_u32 v16, vcc_lo, v10, -16
	v_add_co_ci_u32_e64 v17, null, -1, v11, vcc_lo
	v_add_co_u32 v18, vcc_lo, s6, v14
	v_add_co_ci_u32_e64 v19, null, s8, v15, vcc_lo
	v_add3_u32 v25, v21, v25, v20
	v_add_co_u32 v20, vcc_lo, 0x80, v18
	v_add_co_ci_u32_e64 v21, null, 0, v19, vcc_lo
	v_add_co_u32 v24, vcc_lo, v24, v22
	v_add_co_ci_u32_e64 v23, null, v25, v23, vcc_lo
	v_cmp_le_i64_e64 s3, s[34:35], v[8:9]
	v_add_co_u32 v49, vcc_lo, s12, v24
	v_cmp_le_i32_e64 s0, s29, v2
	v_cmp_gt_i32_e64 s1, s29, v2
	v_cmp_gt_i32_e64 s2, s29, v6
	v_ashrrev_i32_e32 v7, 31, v6
	v_lshl_add_u32 v22, s7, 5, v1
	v_add_co_ci_u32_e64 v50, null, s13, v23, vcc_lo
	v_mov_b32_e32 v24, 0
	s_branch .LBB41_4
.LBB41_3:                               ;   in Loop: Header=BB41_4 Depth=1
	s_or_b32 exec_lo, exec_lo, s4
	v_add_nc_u32_e32 v22, s20, v22
	s_add_i32 s7, s33, s7
	s_cmp_le_i32 s7, s31
	s_cbranch_scc0 .LBB41_52
.LBB41_4:                               ; =>This Loop Header: Depth=1
                                        ;     Child Loop BB41_7 Depth 2
	v_lshl_add_u32 v55, s7, 5, v1
	s_andn2_b32 vcc_lo, exec_lo, s26
	v_ashrrev_i32_e32 v56, 31, v55
	s_cbranch_vccnz .LBB41_43
; %bb.5:                                ;   in Loop: Header=BB41_4 Depth=1
	v_ashrrev_i32_e32 v23, 31, v22
	v_mad_u64_u32 v[26:27], null, s18, v22, v[20:21]
	v_mul_lo_u32 v25, s19, v22
	v_mov_b32_e32 v32, 0
	v_lshlrev_b64 v[28:29], 3, v[22:23]
	v_mul_lo_u32 v23, s18, v23
	v_mov_b32_e32 v34, 0
	v_mov_b32_e32 v36, 0
	;; [unrolled: 1-line block ×4, first 2 shown]
	v_add_co_u32 v28, vcc_lo, 0x80, v28
	v_add_co_ci_u32_e64 v29, null, 0, v29, vcc_lo
	v_sub_co_u32 v30, vcc_lo, s30, v55
	v_mul_lo_u32 v39, s25, v28
	v_mul_lo_u32 v38, s24, v29
	v_mad_u64_u32 v[28:29], null, s24, v28, v[18:19]
	v_sub_co_ci_u32_e64 v31, null, s38, v56, vcc_lo
	v_add3_u32 v27, v25, v27, v23
	v_mov_b32_e32 v37, 0
	s_mov_b64 s[12:13], 0
	v_cmp_lt_i64_e32 vcc_lo, 0, v[30:31]
	v_cmp_lt_i64_e64 s4, 16, v[30:31]
	v_mov_b32_e32 v30, 0
	v_mov_b32_e32 v31, 0
	v_add3_u32 v29, v39, v29, v38
	s_mov_b64 s[16:17], 0
	s_branch .LBB41_7
.LBB41_6:                               ;   in Loop: Header=BB41_7 Depth=2
	s_or_b32 exec_lo, exec_lo, s5
	s_waitcnt lgkmcnt(0)
	s_barrier
	buffer_gl0_inv
	ds_read_b128 v[38:41], v45
	ds_read2_b64 v[57:60], v44 offset1:16
	ds_read_b128 v[61:64], v45 offset:4096
	ds_read_b128 v[65:68], v45 offset:16
	ds_read2_b64 v[69:72], v44 offset0:32 offset1:48
	ds_read_b128 v[73:76], v45 offset:4112
	s_add_u32 s16, s16, 32
	s_addc_u32 s17, s17, 0
	s_add_u32 s12, s12, 0x100
	s_addc_u32 s13, s13, 0
	s_cmp_ge_i32 s16, s37
	s_waitcnt lgkmcnt(4)
	v_fma_f64 v[36:37], v[57:58], v[38:39], v[36:37]
	v_fma_f64 v[34:35], v[59:60], v[38:39], v[34:35]
	s_waitcnt lgkmcnt(3)
	v_fma_f64 v[38:39], v[57:58], v[61:62], v[32:33]
	v_fma_f64 v[42:43], v[59:60], v[61:62], v[30:31]
	ds_read2_b64 v[30:33], v44 offset0:64 offset1:80
	s_waitcnt lgkmcnt(2)
	v_fma_f64 v[57:58], v[69:70], v[40:41], v[36:37]
	v_fma_f64 v[40:41], v[71:72], v[40:41], v[34:35]
	;; [unrolled: 1-line block ×4, first 2 shown]
	ds_read2_b64 v[34:37], v44 offset0:96 offset1:112
	s_waitcnt lgkmcnt(1)
	v_fma_f64 v[57:58], v[30:31], v[65:66], v[57:58]
	v_fma_f64 v[59:60], v[32:33], v[65:66], v[40:41]
	;; [unrolled: 1-line block ×4, first 2 shown]
	ds_read_b128 v[30:33], v45 offset:32
	ds_read2_b64 v[38:41], v44 offset0:128 offset1:144
	s_waitcnt lgkmcnt(2)
	v_fma_f64 v[69:70], v[34:35], v[67:68], v[57:58]
	v_fma_f64 v[71:72], v[36:37], v[67:68], v[59:60]
	;; [unrolled: 1-line block ×4, first 2 shown]
	ds_read_b128 v[34:37], v45 offset:4128
	ds_read_b128 v[57:60], v45 offset:48
	ds_read2_b64 v[61:64], v44 offset0:160 offset1:176
	ds_read_b128 v[65:68], v45 offset:4144
	s_waitcnt lgkmcnt(4)
	v_fma_f64 v[69:70], v[38:39], v[30:31], v[69:70]
	v_fma_f64 v[30:31], v[40:41], v[30:31], v[71:72]
	s_waitcnt lgkmcnt(3)
	v_fma_f64 v[71:72], v[38:39], v[34:35], v[73:74]
	v_fma_f64 v[34:35], v[40:41], v[34:35], v[42:43]
	ds_read2_b64 v[38:41], v44 offset0:192 offset1:208
	s_waitcnt lgkmcnt(2)
	v_fma_f64 v[42:43], v[61:62], v[32:33], v[69:70]
	v_fma_f64 v[69:70], v[63:64], v[32:33], v[30:31]
	v_fma_f64 v[61:62], v[61:62], v[36:37], v[71:72]
	v_fma_f64 v[34:35], v[63:64], v[36:37], v[34:35]
	ds_read2_b64 v[30:33], v44 offset0:224 offset1:240
	s_waitcnt lgkmcnt(1)
	v_fma_f64 v[42:43], v[38:39], v[57:58], v[42:43]
	v_fma_f64 v[57:58], v[40:41], v[57:58], v[69:70]
	v_fma_f64 v[61:62], v[38:39], v[65:66], v[61:62]
	v_fma_f64 v[63:64], v[40:41], v[65:66], v[34:35]
	ds_read_b128 v[34:37], v45 offset:64
	ds_read2_b64 v[38:41], v52 offset1:16
	s_waitcnt lgkmcnt(2)
	v_fma_f64 v[42:43], v[30:31], v[59:60], v[42:43]
	v_fma_f64 v[69:70], v[32:33], v[59:60], v[57:58]
	v_fma_f64 v[71:72], v[30:31], v[67:68], v[61:62]
	v_fma_f64 v[73:74], v[32:33], v[67:68], v[63:64]
	ds_read_b128 v[30:33], v45 offset:4160
	ds_read2_b64 v[57:60], v52 offset0:32 offset1:48
	ds_read_b128 v[61:64], v45 offset:80
	ds_read_b128 v[65:68], v45 offset:4176
	s_waitcnt lgkmcnt(4)
	v_fma_f64 v[42:43], v[38:39], v[34:35], v[42:43]
	v_fma_f64 v[34:35], v[40:41], v[34:35], v[69:70]
	s_waitcnt lgkmcnt(3)
	v_fma_f64 v[69:70], v[38:39], v[30:31], v[71:72]
	v_fma_f64 v[30:31], v[40:41], v[30:31], v[73:74]
	ds_read2_b64 v[38:41], v52 offset0:64 offset1:80
	s_waitcnt lgkmcnt(3)
	v_fma_f64 v[42:43], v[57:58], v[36:37], v[42:43]
	v_fma_f64 v[34:35], v[59:60], v[36:37], v[34:35]
	v_fma_f64 v[36:37], v[57:58], v[32:33], v[69:70]
	v_fma_f64 v[57:58], v[59:60], v[32:33], v[30:31]
	ds_read2_b64 v[30:33], v52 offset0:96 offset1:112
	s_waitcnt lgkmcnt(1)
	v_fma_f64 v[42:43], v[38:39], v[61:62], v[42:43]
	v_fma_f64 v[59:60], v[40:41], v[61:62], v[34:35]
	v_fma_f64 v[61:62], v[38:39], v[65:66], v[36:37]
	v_fma_f64 v[57:58], v[40:41], v[65:66], v[57:58]
	ds_read_b128 v[34:37], v45 offset:96
	ds_read2_b64 v[38:41], v52 offset0:128 offset1:144
	s_waitcnt lgkmcnt(2)
	v_fma_f64 v[42:43], v[30:31], v[63:64], v[42:43]
	v_fma_f64 v[69:70], v[32:33], v[63:64], v[59:60]
	v_fma_f64 v[71:72], v[30:31], v[67:68], v[61:62]
	v_fma_f64 v[73:74], v[32:33], v[67:68], v[57:58]
	ds_read_b128 v[30:33], v45 offset:4192
	ds_read2_b64 v[57:60], v52 offset0:160 offset1:176
	ds_read_b128 v[61:64], v45 offset:112
	ds_read_b128 v[65:68], v45 offset:4208
	s_waitcnt lgkmcnt(4)
	v_fma_f64 v[42:43], v[38:39], v[34:35], v[42:43]
	v_fma_f64 v[34:35], v[40:41], v[34:35], v[69:70]
	s_waitcnt lgkmcnt(3)
	v_fma_f64 v[69:70], v[38:39], v[30:31], v[71:72]
	v_fma_f64 v[30:31], v[40:41], v[30:31], v[73:74]
	ds_read2_b64 v[38:41], v52 offset0:192 offset1:208
	s_waitcnt lgkmcnt(3)
	v_fma_f64 v[42:43], v[57:58], v[36:37], v[42:43]
	v_fma_f64 v[34:35], v[59:60], v[36:37], v[34:35]
	v_fma_f64 v[36:37], v[57:58], v[32:33], v[69:70]
	v_fma_f64 v[57:58], v[59:60], v[32:33], v[30:31]
	ds_read2_b64 v[30:33], v52 offset0:224 offset1:240
	s_waitcnt lgkmcnt(1)
	v_fma_f64 v[42:43], v[38:39], v[61:62], v[42:43]
	v_fma_f64 v[59:60], v[40:41], v[61:62], v[34:35]
	v_fma_f64 v[61:62], v[38:39], v[65:66], v[36:37]
	v_fma_f64 v[57:58], v[40:41], v[65:66], v[57:58]
	ds_read_b128 v[34:37], v45 offset:128
	ds_read2_b64 v[38:41], v53 offset1:16
	s_waitcnt lgkmcnt(2)
	v_fma_f64 v[42:43], v[30:31], v[63:64], v[42:43]
	v_fma_f64 v[69:70], v[32:33], v[63:64], v[59:60]
	v_fma_f64 v[71:72], v[30:31], v[67:68], v[61:62]
	v_fma_f64 v[73:74], v[32:33], v[67:68], v[57:58]
	ds_read_b128 v[30:33], v45 offset:4224
	ds_read2_b64 v[57:60], v53 offset0:32 offset1:48
	ds_read_b128 v[61:64], v45 offset:144
	ds_read_b128 v[65:68], v45 offset:4240
	s_waitcnt lgkmcnt(4)
	v_fma_f64 v[42:43], v[38:39], v[34:35], v[42:43]
	v_fma_f64 v[34:35], v[40:41], v[34:35], v[69:70]
	s_waitcnt lgkmcnt(3)
	v_fma_f64 v[69:70], v[38:39], v[30:31], v[71:72]
	v_fma_f64 v[30:31], v[40:41], v[30:31], v[73:74]
	ds_read2_b64 v[38:41], v53 offset0:64 offset1:80
	s_waitcnt lgkmcnt(3)
	v_fma_f64 v[42:43], v[57:58], v[36:37], v[42:43]
	v_fma_f64 v[34:35], v[59:60], v[36:37], v[34:35]
	v_fma_f64 v[36:37], v[57:58], v[32:33], v[69:70]
	v_fma_f64 v[57:58], v[59:60], v[32:33], v[30:31]
	ds_read2_b64 v[30:33], v53 offset0:96 offset1:112
	s_waitcnt lgkmcnt(1)
	v_fma_f64 v[42:43], v[38:39], v[61:62], v[42:43]
	v_fma_f64 v[59:60], v[40:41], v[61:62], v[34:35]
	v_fma_f64 v[61:62], v[38:39], v[65:66], v[36:37]
	v_fma_f64 v[57:58], v[40:41], v[65:66], v[57:58]
	ds_read_b128 v[34:37], v45 offset:160
	ds_read2_b64 v[38:41], v53 offset0:128 offset1:144
	s_waitcnt lgkmcnt(2)
	v_fma_f64 v[42:43], v[30:31], v[63:64], v[42:43]
	v_fma_f64 v[69:70], v[32:33], v[63:64], v[59:60]
	v_fma_f64 v[71:72], v[30:31], v[67:68], v[61:62]
	v_fma_f64 v[73:74], v[32:33], v[67:68], v[57:58]
	ds_read_b128 v[30:33], v45 offset:4256
	ds_read2_b64 v[57:60], v53 offset0:160 offset1:176
	ds_read_b128 v[61:64], v45 offset:176
	;; [unrolled: 58-line block ×3, first 2 shown]
	ds_read_b128 v[65:68], v45 offset:4336
	s_waitcnt lgkmcnt(4)
	v_fma_f64 v[42:43], v[38:39], v[34:35], v[42:43]
	v_fma_f64 v[34:35], v[40:41], v[34:35], v[69:70]
	s_waitcnt lgkmcnt(3)
	v_fma_f64 v[69:70], v[38:39], v[30:31], v[71:72]
	v_fma_f64 v[30:31], v[40:41], v[30:31], v[73:74]
	ds_read2_b64 v[38:41], v54 offset0:192 offset1:208
	s_waitcnt lgkmcnt(3)
	v_fma_f64 v[42:43], v[57:58], v[36:37], v[42:43]
	v_fma_f64 v[34:35], v[59:60], v[36:37], v[34:35]
	;; [unrolled: 1-line block ×4, first 2 shown]
	ds_read2_b64 v[57:60], v54 offset0:224 offset1:240
	s_waitcnt lgkmcnt(0)
	s_barrier
	buffer_gl0_inv
	v_fma_f64 v[32:33], v[38:39], v[61:62], v[42:43]
	v_fma_f64 v[34:35], v[40:41], v[61:62], v[34:35]
	;; [unrolled: 1-line block ×8, first 2 shown]
	s_cbranch_scc1 .LBB41_44
.LBB41_7:                               ;   Parent Loop BB41_4 Depth=1
                                        ; =>  This Inner Loop Header: Depth=2
	v_add_co_u32 v40, s5, v4, s16
	v_add_co_ci_u32_e64 v41, null, s17, v5, s5
	v_cmp_eq_u64_e64 s8, s[16:17], v[10:11]
                                        ; implicit-def: $vgpr42_vgpr43
	v_cmp_le_i64_e64 s6, s[34:35], v[40:41]
	v_cmp_lt_i64_e64 s5, v[40:41], v[2:3]
	s_and_b32 s21, s28, s8
	v_add_co_u32 v38, s8, v0, s12
	v_add_co_ci_u32_e64 v39, null, s13, v48, s8
	s_or_b32 s9, s6, s5
	s_or_b32 s8, s9, s21
	s_nor_b32 s8, s0, s8
	s_and_saveexec_b32 s9, s8
	s_xor_b32 s8, exec_lo, s9
	s_cbranch_execz .LBB41_9
; %bb.8:                                ;   in Loop: Header=BB41_7 Depth=2
	global_load_dwordx2 v[42:43], v[38:39], off
.LBB41_9:                               ;   in Loop: Header=BB41_7 Depth=2
	s_andn2_saveexec_b32 s8, s8
	s_cbranch_execz .LBB41_11
; %bb.10:                               ;   in Loop: Header=BB41_7 Depth=2
	v_cndmask_b32_e64 v25, 0, 0x3ff00000, s21
	s_waitcnt vmcnt(0)
	v_mov_b32_e32 v43, v25
	v_mov_b32_e32 v42, v24
.LBB41_11:                              ;   in Loop: Header=BB41_7 Depth=2
	s_or_b32 exec_lo, exec_lo, s8
	v_cmp_eq_u64_e64 s8, s[16:17], v[12:13]
	v_cmp_gt_i64_e64 s9, v[8:9], v[40:41]
	s_waitcnt vmcnt(0)
	ds_write_b64 v46, v[42:43]
	s_and_b32 s8, s28, s8
	s_or_b32 s6, s6, s9
	s_or_b32 s6, s6, s8
	s_nor_b32 s6, s3, s6
	s_and_saveexec_b32 s9, s6
	s_xor_b32 s9, exec_lo, s9
	s_cbranch_execz .LBB41_13
; %bb.12:                               ;   in Loop: Header=BB41_7 Depth=2
	v_add_co_u32 v42, s6, v49, s12
	v_add_co_ci_u32_e64 v43, null, s13, v50, s6
	global_load_dwordx2 v[42:43], v[42:43], off
	s_waitcnt vmcnt(0)
	ds_write_b64 v46, v[42:43] offset:128
.LBB41_13:                              ;   in Loop: Header=BB41_7 Depth=2
	s_andn2_saveexec_b32 s6, s9
	s_cbranch_execz .LBB41_19
; %bb.14:                               ;   in Loop: Header=BB41_7 Depth=2
	s_xor_b32 s8, s8, -1
	s_and_saveexec_b32 s9, s8
	s_xor_b32 s8, exec_lo, s9
; %bb.15:                               ;   in Loop: Header=BB41_7 Depth=2
	v_mov_b32_e32 v25, v24
	ds_write_b64 v46, v[24:25] offset:128
; %bb.16:                               ;   in Loop: Header=BB41_7 Depth=2
	s_andn2_saveexec_b32 s8, s8
; %bb.17:                               ;   in Loop: Header=BB41_7 Depth=2
	v_mov_b32_e32 v25, v51
	ds_write_b64 v46, v[24:25] offset:128
; %bb.18:                               ;   in Loop: Header=BB41_7 Depth=2
	s_or_b32 exec_lo, exec_lo, s8
.LBB41_19:                              ;   in Loop: Header=BB41_7 Depth=2
	s_or_b32 exec_lo, exec_lo, s6
	v_add_co_u32 v40, s6, v40, 16
	v_add_co_ci_u32_e64 v41, null, 0, v41, s6
	v_cmp_eq_u64_e64 s8, s[16:17], v[16:17]
	v_cmp_le_i64_e64 s6, s[34:35], v[40:41]
	v_cmp_lt_i64_e64 s9, v[40:41], v[2:3]
                                        ; implicit-def: $vgpr40_vgpr41
	s_and_b32 s8, s28, s8
	s_or_b32 s9, s6, s9
	s_or_b32 s9, s9, s8
	s_nor_b32 s9, s0, s9
	s_and_saveexec_b32 s22, s9
	s_xor_b32 s9, exec_lo, s22
	s_cbranch_execz .LBB41_21
; %bb.20:                               ;   in Loop: Header=BB41_7 Depth=2
	global_load_dwordx2 v[40:41], v[38:39], off offset:128
.LBB41_21:                              ;   in Loop: Header=BB41_7 Depth=2
	s_andn2_saveexec_b32 s9, s9
	s_cbranch_execz .LBB41_23
; %bb.22:                               ;   in Loop: Header=BB41_7 Depth=2
	v_cndmask_b32_e64 v25, 0, 0x3ff00000, s8
	s_waitcnt vmcnt(0)
	v_mov_b32_e32 v41, v25
	v_mov_b32_e32 v40, v24
.LBB41_23:                              ;   in Loop: Header=BB41_7 Depth=2
	s_or_b32 exec_lo, exec_lo, s9
	s_or_b32 s5, s6, s5
	s_waitcnt vmcnt(0)
	ds_write_b64 v46, v[40:41] offset:4096
	s_or_b32 s5, s5, s21
	s_nor_b32 s5, s3, s5
	s_and_saveexec_b32 s6, s5
	s_xor_b32 s6, exec_lo, s6
	s_cbranch_execz .LBB41_25
; %bb.24:                               ;   in Loop: Header=BB41_7 Depth=2
	v_add_co_u32 v38, s5, v49, s12
	v_add_co_ci_u32_e64 v39, null, s13, v50, s5
	global_load_dwordx2 v[38:39], v[38:39], off offset:128
	s_waitcnt vmcnt(0)
	ds_write_b64 v46, v[38:39] offset:4224
.LBB41_25:                              ;   in Loop: Header=BB41_7 Depth=2
	s_andn2_saveexec_b32 s5, s6
	s_cbranch_execz .LBB41_31
; %bb.26:                               ;   in Loop: Header=BB41_7 Depth=2
	s_xor_b32 s6, s21, -1
	s_and_saveexec_b32 s8, s6
	s_xor_b32 s6, exec_lo, s8
; %bb.27:                               ;   in Loop: Header=BB41_7 Depth=2
	v_mov_b32_e32 v25, v24
	ds_write_b64 v46, v[24:25] offset:4224
; %bb.28:                               ;   in Loop: Header=BB41_7 Depth=2
	s_andn2_saveexec_b32 s6, s6
; %bb.29:                               ;   in Loop: Header=BB41_7 Depth=2
	v_mov_b32_e32 v25, v51
	ds_write_b64 v46, v[24:25] offset:4224
; %bb.30:                               ;   in Loop: Header=BB41_7 Depth=2
	s_or_b32 exec_lo, exec_lo, s6
.LBB41_31:                              ;   in Loop: Header=BB41_7 Depth=2
	s_or_b32 exec_lo, exec_lo, s5
	v_add_co_u32 v40, s5, v2, s16
	v_add_co_ci_u32_e64 v41, null, s17, v3, s5
	v_add_co_u32 v38, s6, v26, s12
	v_mov_b32_e32 v42, 0
	v_cmp_gt_i64_e64 s5, s[34:35], v[40:41]
	v_mov_b32_e32 v43, 0
	v_add_co_ci_u32_e64 v39, null, s13, v27, s6
	s_and_b32 s8, vcc_lo, s5
	s_and_saveexec_b32 s6, s8
	s_cbranch_execz .LBB41_33
; %bb.32:                               ;   in Loop: Header=BB41_7 Depth=2
	global_load_dwordx2 v[42:43], v[38:39], off offset:-128
.LBB41_33:                              ;   in Loop: Header=BB41_7 Depth=2
	s_or_b32 exec_lo, exec_lo, s6
	v_cmp_gt_i64_e64 s6, s[14:15], v[40:41]
	s_waitcnt vmcnt(0)
	ds_write_b64 v47, v[42:43]
	s_and_b32 s8, vcc_lo, s6
	s_xor_b32 s8, s8, -1
	s_and_saveexec_b32 s9, s8
	s_xor_b32 s8, exec_lo, s9
; %bb.34:                               ;   in Loop: Header=BB41_7 Depth=2
	v_mov_b32_e32 v25, v24
                                        ; implicit-def: $vgpr38_vgpr39
	ds_write_b64 v47, v[24:25] offset:128
; %bb.35:                               ;   in Loop: Header=BB41_7 Depth=2
	s_andn2_saveexec_b32 s8, s8
	s_cbranch_execz .LBB41_37
; %bb.36:                               ;   in Loop: Header=BB41_7 Depth=2
	global_load_dwordx2 v[38:39], v[38:39], off
	s_waitcnt vmcnt(0)
	ds_write_b64 v47, v[38:39] offset:128
.LBB41_37:                              ;   in Loop: Header=BB41_7 Depth=2
	s_or_b32 exec_lo, exec_lo, s8
	v_add_co_u32 v38, s8, v28, s12
	v_mov_b32_e32 v40, 0
	v_mov_b32_e32 v41, 0
	v_add_co_ci_u32_e64 v39, null, s13, v29, s8
	s_and_b32 s8, s4, s5
	s_and_saveexec_b32 s5, s8
	s_cbranch_execz .LBB41_39
; %bb.38:                               ;   in Loop: Header=BB41_7 Depth=2
	global_load_dwordx2 v[40:41], v[38:39], off
.LBB41_39:                              ;   in Loop: Header=BB41_7 Depth=2
	s_or_b32 exec_lo, exec_lo, s5
	s_and_b32 s5, s4, s6
	s_waitcnt vmcnt(0)
	ds_write_b64 v47, v[40:41] offset:4096
	s_xor_b32 s5, s5, -1
	s_and_saveexec_b32 s6, s5
	s_xor_b32 s5, exec_lo, s6
; %bb.40:                               ;   in Loop: Header=BB41_7 Depth=2
	v_mov_b32_e32 v25, v24
                                        ; implicit-def: $vgpr38_vgpr39
	ds_write_b64 v47, v[24:25] offset:4224
; %bb.41:                               ;   in Loop: Header=BB41_7 Depth=2
	s_andn2_saveexec_b32 s5, s5
	s_cbranch_execz .LBB41_6
; %bb.42:                               ;   in Loop: Header=BB41_7 Depth=2
	global_load_dwordx2 v[38:39], v[38:39], off offset:128
	s_waitcnt vmcnt(0)
	ds_write_b64 v47, v[38:39] offset:4224
	s_branch .LBB41_6
.LBB41_43:                              ;   in Loop: Header=BB41_4 Depth=1
	v_mov_b32_e32 v36, 0
	v_mov_b32_e32 v34, 0
	;; [unrolled: 1-line block ×8, first 2 shown]
.LBB41_44:                              ;   in Loop: Header=BB41_4 Depth=1
	v_mul_lo_u32 v23, s41, v55
	v_mul_lo_u32 v27, s40, v56
	v_mad_u64_u32 v[25:26], null, s40, v55, 0
	v_cmp_gt_i32_e32 vcc_lo, s30, v55
	v_add3_u32 v26, v26, v27, v23
	v_lshlrev_b64 v[25:26], 3, v[25:26]
	v_add_co_u32 v23, s4, s27, v25
	v_add_co_ci_u32_e64 v25, null, s36, v26, s4
	s_and_b32 s4, s1, vcc_lo
	s_and_saveexec_b32 s5, s4
	s_cbranch_execz .LBB41_46
; %bb.45:                               ;   in Loop: Header=BB41_4 Depth=1
	v_add_co_u32 v26, s4, v23, v14
	v_add_co_ci_u32_e64 v27, null, v25, v15, s4
	global_load_dwordx2 v[28:29], v[26:27], off
	s_waitcnt vmcnt(0)
	v_fma_f64 v[28:29], s[10:11], v[36:37], v[28:29]
	global_store_dwordx2 v[26:27], v[28:29], off
.LBB41_46:                              ;   in Loop: Header=BB41_4 Depth=1
	s_or_b32 exec_lo, exec_lo, s5
	s_and_b32 s5, s2, vcc_lo
	s_and_saveexec_b32 s4, s5
	s_cbranch_execz .LBB41_48
; %bb.47:                               ;   in Loop: Header=BB41_4 Depth=1
	v_lshlrev_b64 v[26:27], 3, v[6:7]
	v_add_co_u32 v26, vcc_lo, v23, v26
	v_add_co_ci_u32_e64 v27, null, v25, v27, vcc_lo
	global_load_dwordx2 v[28:29], v[26:27], off
	s_waitcnt vmcnt(0)
	v_fma_f64 v[28:29], s[10:11], v[34:35], v[28:29]
	global_store_dwordx2 v[26:27], v[28:29], off
.LBB41_48:                              ;   in Loop: Header=BB41_4 Depth=1
	s_or_b32 exec_lo, exec_lo, s4
	v_add_nc_u32_e32 v23, 16, v55
	v_ashrrev_i32_e32 v27, 31, v23
	v_mul_lo_u32 v28, s41, v23
	v_mad_u64_u32 v[25:26], null, s40, v23, 0
	v_cmp_gt_i32_e32 vcc_lo, s30, v23
	v_mul_lo_u32 v27, s40, v27
	v_add3_u32 v26, v26, v27, v28
	v_lshlrev_b64 v[25:26], 3, v[25:26]
	v_add_co_u32 v23, s4, s27, v25
	v_add_co_ci_u32_e64 v25, null, s36, v26, s4
	s_and_b32 s4, s1, vcc_lo
	s_and_saveexec_b32 s5, s4
	s_cbranch_execz .LBB41_50
; %bb.49:                               ;   in Loop: Header=BB41_4 Depth=1
	v_add_co_u32 v26, s4, v23, v14
	v_add_co_ci_u32_e64 v27, null, v25, v15, s4
	global_load_dwordx2 v[28:29], v[26:27], off
	s_waitcnt vmcnt(0)
	v_fma_f64 v[28:29], s[10:11], v[32:33], v[28:29]
	global_store_dwordx2 v[26:27], v[28:29], off
.LBB41_50:                              ;   in Loop: Header=BB41_4 Depth=1
	s_or_b32 exec_lo, exec_lo, s5
	s_and_b32 s5, s2, vcc_lo
	s_and_saveexec_b32 s4, s5
	s_cbranch_execz .LBB41_3
; %bb.51:                               ;   in Loop: Header=BB41_4 Depth=1
	v_lshlrev_b64 v[26:27], 3, v[6:7]
	v_add_co_u32 v26, vcc_lo, v23, v26
	v_add_co_ci_u32_e64 v27, null, v25, v27, vcc_lo
	global_load_dwordx2 v[28:29], v[26:27], off
	s_waitcnt vmcnt(0)
	v_fma_f64 v[28:29], s[10:11], v[30:31], v[28:29]
	global_store_dwordx2 v[26:27], v[28:29], off
	s_branch .LBB41_3
.LBB41_52:
	s_endpgm
	.section	.rodata,"a",@progbits
	.p2align	6, 0x0
	.amdhsa_kernel _ZL30rocblas_trmm_outofplace_kernelIdLi32ELi2ELb1ELb0ELb1ELb0EdKddEv17rocblas_diagonal_iiT6_lPT7_lllS4_lllPT8_llli
		.amdhsa_group_segment_fixed_size 16384
		.amdhsa_private_segment_fixed_size 0
		.amdhsa_kernarg_size 392
		.amdhsa_user_sgpr_count 6
		.amdhsa_user_sgpr_private_segment_buffer 1
		.amdhsa_user_sgpr_dispatch_ptr 0
		.amdhsa_user_sgpr_queue_ptr 0
		.amdhsa_user_sgpr_kernarg_segment_ptr 1
		.amdhsa_user_sgpr_dispatch_id 0
		.amdhsa_user_sgpr_flat_scratch_init 0
		.amdhsa_user_sgpr_private_segment_size 0
		.amdhsa_wavefront_size32 1
		.amdhsa_uses_dynamic_stack 0
		.amdhsa_system_sgpr_private_segment_wavefront_offset 0
		.amdhsa_system_sgpr_workgroup_id_x 1
		.amdhsa_system_sgpr_workgroup_id_y 1
		.amdhsa_system_sgpr_workgroup_id_z 1
		.amdhsa_system_sgpr_workgroup_info 0
		.amdhsa_system_vgpr_workitem_id 1
		.amdhsa_next_free_vgpr 77
		.amdhsa_next_free_sgpr 46
		.amdhsa_reserve_vcc 1
		.amdhsa_reserve_flat_scratch 0
		.amdhsa_float_round_mode_32 0
		.amdhsa_float_round_mode_16_64 0
		.amdhsa_float_denorm_mode_32 3
		.amdhsa_float_denorm_mode_16_64 3
		.amdhsa_dx10_clamp 1
		.amdhsa_ieee_mode 1
		.amdhsa_fp16_overflow 0
		.amdhsa_workgroup_processor_mode 1
		.amdhsa_memory_ordered 1
		.amdhsa_forward_progress 1
		.amdhsa_shared_vgpr_count 0
		.amdhsa_exception_fp_ieee_invalid_op 0
		.amdhsa_exception_fp_denorm_src 0
		.amdhsa_exception_fp_ieee_div_zero 0
		.amdhsa_exception_fp_ieee_overflow 0
		.amdhsa_exception_fp_ieee_underflow 0
		.amdhsa_exception_fp_ieee_inexact 0
		.amdhsa_exception_int_div_zero 0
	.end_amdhsa_kernel
	.section	.text._ZL30rocblas_trmm_outofplace_kernelIdLi32ELi2ELb1ELb0ELb1ELb0EdKddEv17rocblas_diagonal_iiT6_lPT7_lllS4_lllPT8_llli,"axG",@progbits,_ZL30rocblas_trmm_outofplace_kernelIdLi32ELi2ELb1ELb0ELb1ELb0EdKddEv17rocblas_diagonal_iiT6_lPT7_lllS4_lllPT8_llli,comdat
.Lfunc_end41:
	.size	_ZL30rocblas_trmm_outofplace_kernelIdLi32ELi2ELb1ELb0ELb1ELb0EdKddEv17rocblas_diagonal_iiT6_lPT7_lllS4_lllPT8_llli, .Lfunc_end41-_ZL30rocblas_trmm_outofplace_kernelIdLi32ELi2ELb1ELb0ELb1ELb0EdKddEv17rocblas_diagonal_iiT6_lPT7_lllS4_lllPT8_llli
                                        ; -- End function
	.set _ZL30rocblas_trmm_outofplace_kernelIdLi32ELi2ELb1ELb0ELb1ELb0EdKddEv17rocblas_diagonal_iiT6_lPT7_lllS4_lllPT8_llli.num_vgpr, 77
	.set _ZL30rocblas_trmm_outofplace_kernelIdLi32ELi2ELb1ELb0ELb1ELb0EdKddEv17rocblas_diagonal_iiT6_lPT7_lllS4_lllPT8_llli.num_agpr, 0
	.set _ZL30rocblas_trmm_outofplace_kernelIdLi32ELi2ELb1ELb0ELb1ELb0EdKddEv17rocblas_diagonal_iiT6_lPT7_lllS4_lllPT8_llli.numbered_sgpr, 46
	.set _ZL30rocblas_trmm_outofplace_kernelIdLi32ELi2ELb1ELb0ELb1ELb0EdKddEv17rocblas_diagonal_iiT6_lPT7_lllS4_lllPT8_llli.num_named_barrier, 0
	.set _ZL30rocblas_trmm_outofplace_kernelIdLi32ELi2ELb1ELb0ELb1ELb0EdKddEv17rocblas_diagonal_iiT6_lPT7_lllS4_lllPT8_llli.private_seg_size, 0
	.set _ZL30rocblas_trmm_outofplace_kernelIdLi32ELi2ELb1ELb0ELb1ELb0EdKddEv17rocblas_diagonal_iiT6_lPT7_lllS4_lllPT8_llli.uses_vcc, 1
	.set _ZL30rocblas_trmm_outofplace_kernelIdLi32ELi2ELb1ELb0ELb1ELb0EdKddEv17rocblas_diagonal_iiT6_lPT7_lllS4_lllPT8_llli.uses_flat_scratch, 0
	.set _ZL30rocblas_trmm_outofplace_kernelIdLi32ELi2ELb1ELb0ELb1ELb0EdKddEv17rocblas_diagonal_iiT6_lPT7_lllS4_lllPT8_llli.has_dyn_sized_stack, 0
	.set _ZL30rocblas_trmm_outofplace_kernelIdLi32ELi2ELb1ELb0ELb1ELb0EdKddEv17rocblas_diagonal_iiT6_lPT7_lllS4_lllPT8_llli.has_recursion, 0
	.set _ZL30rocblas_trmm_outofplace_kernelIdLi32ELi2ELb1ELb0ELb1ELb0EdKddEv17rocblas_diagonal_iiT6_lPT7_lllS4_lllPT8_llli.has_indirect_call, 0
	.section	.AMDGPU.csdata,"",@progbits
; Kernel info:
; codeLenInByte = 3848
; TotalNumSgprs: 48
; NumVgprs: 77
; ScratchSize: 0
; MemoryBound: 0
; FloatMode: 240
; IeeeMode: 1
; LDSByteSize: 16384 bytes/workgroup (compile time only)
; SGPRBlocks: 0
; VGPRBlocks: 9
; NumSGPRsForWavesPerEU: 48
; NumVGPRsForWavesPerEU: 77
; Occupancy: 12
; WaveLimiterHint : 0
; COMPUTE_PGM_RSRC2:SCRATCH_EN: 0
; COMPUTE_PGM_RSRC2:USER_SGPR: 6
; COMPUTE_PGM_RSRC2:TRAP_HANDLER: 0
; COMPUTE_PGM_RSRC2:TGID_X_EN: 1
; COMPUTE_PGM_RSRC2:TGID_Y_EN: 1
; COMPUTE_PGM_RSRC2:TGID_Z_EN: 1
; COMPUTE_PGM_RSRC2:TIDIG_COMP_CNT: 1
	.section	.text._ZL30rocblas_trmm_outofplace_kernelIdLi32ELi2ELb1ELb1ELb1ELb0EPKdS0_dEv17rocblas_diagonal_iiT6_lPT7_lllS5_lllPT8_llli,"axG",@progbits,_ZL30rocblas_trmm_outofplace_kernelIdLi32ELi2ELb1ELb1ELb1ELb0EPKdS0_dEv17rocblas_diagonal_iiT6_lPT7_lllS5_lllPT8_llli,comdat
	.globl	_ZL30rocblas_trmm_outofplace_kernelIdLi32ELi2ELb1ELb1ELb1ELb0EPKdS0_dEv17rocblas_diagonal_iiT6_lPT7_lllS5_lllPT8_llli ; -- Begin function _ZL30rocblas_trmm_outofplace_kernelIdLi32ELi2ELb1ELb1ELb1ELb0EPKdS0_dEv17rocblas_diagonal_iiT6_lPT7_lllS5_lllPT8_llli
	.p2align	8
	.type	_ZL30rocblas_trmm_outofplace_kernelIdLi32ELi2ELb1ELb1ELb1ELb0EPKdS0_dEv17rocblas_diagonal_iiT6_lPT7_lllS5_lllPT8_llli,@function
_ZL30rocblas_trmm_outofplace_kernelIdLi32ELi2ELb1ELb1ELb1ELb0EPKdS0_dEv17rocblas_diagonal_iiT6_lPT7_lllS5_lllPT8_llli: ; @_ZL30rocblas_trmm_outofplace_kernelIdLi32ELi2ELb1ELb1ELb1ELb0EPKdS0_dEv17rocblas_diagonal_iiT6_lPT7_lllS5_lllPT8_llli
; %bb.0:
	s_load_dwordx16 s[12:27], s[4:5], 0x10
	s_waitcnt lgkmcnt(0)
	s_mul_i32 s0, s15, s8
	s_mul_hi_u32 s1, s14, s8
	s_add_i32 s1, s1, s0
	s_mul_i32 s0, s14, s8
	s_lshl_b64 s[0:1], s[0:1], 3
	s_add_u32 s0, s12, s0
	s_addc_u32 s1, s13, s1
	s_load_dwordx2 s[10:11], s[0:1], 0x0
	s_waitcnt lgkmcnt(0)
	v_cmp_eq_f64_e64 s0, s[10:11], 0
	s_and_b32 vcc_lo, exec_lo, s0
	s_cbranch_vccnz .LBB42_51
; %bb.1:
	s_load_dwordx4 s[12:15], s[4:5], 0x0
	s_waitcnt lgkmcnt(0)
	s_add_i32 s0, s14, -1
	s_ashr_i32 s1, s0, 31
	s_lshr_b32 s1, s1, 27
	s_add_i32 s0, s0, s1
	s_ashr_i32 s15, s0, 5
	s_cmp_gt_i32 s7, s15
	s_cbranch_scc1 .LBB42_51
; %bb.2:
	s_clause 0x1
	s_load_dwordx4 s[28:31], s[4:5], 0x70
	s_load_dwordx8 s[36:43], s[4:5], 0x50
	s_mul_i32 s1, s23, s8
	s_mul_hi_u32 s2, s22, s8
	s_mul_i32 s0, s22, s8
	s_add_i32 s1, s2, s1
	s_load_dword s33, s[4:5], 0x8c
	s_lshl_b64 s[34:35], s[0:1], 3
	v_lshlrev_b32_e32 v3, 8, v1
	s_add_u32 s0, s16, s34
	s_addc_u32 s1, s17, s35
	s_lshl_b64 s[44:45], s[18:19], 3
	v_lshlrev_b32_e32 v42, 3, v0
	s_add_u32 s3, s0, s44
	s_addc_u32 s4, s1, s45
	v_add_nc_u32_e32 v43, 0x2000, v3
	v_lshlrev_b32_e32 v20, 3, v1
	v_add_nc_u32_e32 v44, v42, v3
	s_mov_b32 s18, s13
	v_mov_b32_e32 v2, 0
	s_waitcnt lgkmcnt(0)
	s_mul_i32 s1, s31, s8
	s_mul_hi_u32 s2, s30, s8
	s_mul_i32 s0, s30, s8
	s_add_i32 s1, s2, s1
	v_add_nc_u32_e32 v45, v43, v42
	s_lshl_b64 s[0:1], s[0:1], 3
	v_mov_b32_e32 v50, 0x3ff00000
	s_add_u32 s2, s40, s0
	s_addc_u32 s5, s41, s1
	s_lshl_b64 s[0:1], s[42:43], 3
	v_add_nc_u32_e32 v51, 0x800, v42
	s_add_u32 s30, s2, s0
	s_addc_u32 s31, s5, s1
	s_lshl_b32 s40, s6, 5
	s_cmp_gt_i32 s6, -1
	v_add_nc_u32_e32 v4, s40, v0
	s_mul_i32 s5, s39, s8
	s_cselect_b32 s39, -1, 0
	s_cmpk_eq_i32 s12, 0x84
	s_mul_hi_u32 s6, s38, s8
	v_ashrrev_i32_e32 v5, 31, v4
	v_mul_lo_u32 v3, s21, v4
	v_mad_u64_u32 v[6:7], null, s20, v4, 0
	s_cselect_b32 s41, -1, 0
	v_mul_lo_u32 v8, s20, v5
	s_ashr_i32 s19, s13, 31
	s_ashr_i32 s42, s14, 31
	v_lshlrev_b64 v[12:13], 3, v[4:5]
	s_add_u32 s22, s13, -16
	s_addc_u32 s23, s19, -1
	s_add_i32 s5, s6, s5
	v_add_nc_u32_e32 v21, 16, v4
	v_add3_u32 v7, v7, v8, v3
	v_cmp_le_i32_e64 s0, s13, v4
	v_cmp_gt_i32_e64 s1, s13, v4
	v_add_nc_u32_e32 v52, 0x1000, v42
	v_cmp_gt_i32_e64 s2, s13, v21
	v_lshlrev_b64 v[8:9], 3, v[6:7]
	v_add_co_u32 v6, vcc_lo, v4, 16
	v_add_co_ci_u32_e64 v7, null, 0, v5, vcc_lo
	v_ashrrev_i32_e32 v22, 31, v21
	v_add_co_u32 v3, vcc_lo, s3, v8
	v_add_co_ci_u32_e64 v8, null, s4, v9, vcc_lo
	s_mul_i32 s4, s38, s8
	v_add_co_u32 v46, vcc_lo, v3, v20
	v_add_co_ci_u32_e64 v47, null, 0, v8, vcc_lo
	v_sub_co_u32 v8, vcc_lo, v4, v1
	v_subrev_co_ci_u32_e64 v9, null, 0, v5, vcc_lo
	s_lshl_b64 s[4:5], s[4:5], 3
	s_lshl_b64 s[8:9], s[26:27], 3
	v_add_co_u32 v10, vcc_lo, v8, 16
	v_add_co_ci_u32_e64 v11, null, 0, v9, vcc_lo
	s_add_u32 s4, s4, s8
	v_add_co_u32 v3, vcc_lo, 0x80, v12
	s_addc_u32 s5, s5, s9
	s_add_u32 s6, s24, s4
	v_add_co_ci_u32_e64 v14, null, 0, v13, vcc_lo
	s_addc_u32 s8, s25, s5
	s_lshl_b64 s[12:13], s[36:37], 3
	s_lshl_b32 s24, s33, 5
	s_add_u32 s4, s44, s34
	s_addc_u32 s5, s45, s35
	v_mul_lo_u32 v18, s20, v14
	v_mad_u64_u32 v[23:24], null, s20, v3, s[4:5]
	v_mul_lo_u32 v3, s21, v3
	v_add_co_u32 v16, s4, s6, v42
	v_add_co_ci_u32_e64 v17, null, s8, 0, s4
	v_add_co_u32 v14, vcc_lo, v8, -16
	v_add_co_ci_u32_e64 v15, null, -1, v9, vcc_lo
	v_add3_u32 v3, v3, v24, v18
	v_add_co_u32 v18, vcc_lo, 0x80, v16
	v_add_co_ci_u32_e64 v19, null, 0, v17, vcc_lo
	v_add_co_u32 v23, vcc_lo, v23, v20
	v_add_co_ci_u32_e64 v3, null, 0, v3, vcc_lo
	v_cmp_le_i64_e64 s3, s[18:19], v[6:7]
	v_add_co_u32 v48, vcc_lo, s16, v23
	v_lshlrev_b64 v[22:23], 3, v[21:22]
	v_lshl_add_u32 v20, s7, 5, v1
	v_add_co_ci_u32_e64 v49, null, s17, v3, vcc_lo
	v_add_nc_u32_e32 v53, 0x1800, v42
	s_branch .LBB42_4
.LBB42_3:                               ;   in Loop: Header=BB42_4 Depth=1
	s_or_b32 exec_lo, exec_lo, s4
	v_add_nc_u32_e32 v20, s24, v20
	s_add_i32 s7, s33, s7
	s_cmp_le_i32 s7, s15
	s_cbranch_scc0 .LBB42_51
.LBB42_4:                               ; =>This Loop Header: Depth=1
                                        ;     Child Loop BB42_7 Depth 2
	v_lshl_add_u32 v54, s7, 5, v1
	v_mov_b32_e32 v34, 0
	v_mov_b32_e32 v32, 0
	;; [unrolled: 1-line block ×8, first 2 shown]
	v_ashrrev_i32_e32 v55, 31, v54
	s_andn2_b32 vcc_lo, exec_lo, s39
	s_cbranch_vccnz .LBB42_43
; %bb.5:                                ;   in Loop: Header=BB42_4 Depth=1
	v_ashrrev_i32_e32 v21, 31, v20
	v_mad_u64_u32 v[24:25], null, s12, v20, v[18:19]
	v_mul_lo_u32 v3, s13, v20
	v_mov_b32_e32 v30, 0
	v_lshlrev_b64 v[26:27], 3, v[20:21]
	v_mul_lo_u32 v21, s12, v21
	v_mov_b32_e32 v32, 0
	v_mov_b32_e32 v34, 0
	;; [unrolled: 1-line block ×4, first 2 shown]
	v_add_co_u32 v26, vcc_lo, 0x80, v26
	v_add_co_ci_u32_e64 v27, null, 0, v27, vcc_lo
	v_sub_co_u32 v28, vcc_lo, s14, v54
	v_mul_lo_u32 v37, s37, v26
	v_mul_lo_u32 v36, s36, v27
	v_mad_u64_u32 v[26:27], null, s36, v26, v[16:17]
	v_sub_co_ci_u32_e64 v29, null, s42, v55, vcc_lo
	v_add3_u32 v25, v3, v25, v21
	v_mov_b32_e32 v35, 0
	s_mov_b64 s[16:17], 0
	v_cmp_lt_i64_e32 vcc_lo, 0, v[28:29]
	v_cmp_lt_i64_e64 s4, 16, v[28:29]
	v_mov_b32_e32 v28, 0
	v_mov_b32_e32 v29, 0
	v_add3_u32 v27, v37, v27, v36
	s_mov_b64 s[20:21], 0
	s_branch .LBB42_7
.LBB42_6:                               ;   in Loop: Header=BB42_7 Depth=2
	s_or_b32 exec_lo, exec_lo, s5
	s_waitcnt lgkmcnt(0)
	s_barrier
	buffer_gl0_inv
	ds_read_b128 v[36:39], v43
	ds_read2_b64 v[56:59], v42 offset1:16
	ds_read_b128 v[60:63], v43 offset:4096
	ds_read_b128 v[64:67], v43 offset:16
	ds_read2_b64 v[68:71], v42 offset0:32 offset1:48
	ds_read_b128 v[72:75], v43 offset:4112
	s_add_u32 s20, s20, 32
	s_addc_u32 s21, s21, 0
	s_sub_i32 s5, s20, 32
	s_add_u32 s16, s16, 0x100
	s_addc_u32 s17, s17, 0
	s_cmp_ge_i32 s5, s40
	s_waitcnt lgkmcnt(4)
	v_fma_f64 v[34:35], v[56:57], v[36:37], v[34:35]
	v_fma_f64 v[32:33], v[58:59], v[36:37], v[32:33]
	s_waitcnt lgkmcnt(3)
	v_fma_f64 v[36:37], v[56:57], v[60:61], v[30:31]
	v_fma_f64 v[40:41], v[58:59], v[60:61], v[28:29]
	ds_read2_b64 v[28:31], v42 offset0:64 offset1:80
	s_waitcnt lgkmcnt(2)
	v_fma_f64 v[56:57], v[68:69], v[38:39], v[34:35]
	v_fma_f64 v[38:39], v[70:71], v[38:39], v[32:33]
	;; [unrolled: 1-line block ×4, first 2 shown]
	ds_read2_b64 v[32:35], v42 offset0:96 offset1:112
	s_waitcnt lgkmcnt(1)
	v_fma_f64 v[56:57], v[28:29], v[64:65], v[56:57]
	v_fma_f64 v[58:59], v[30:31], v[64:65], v[38:39]
	;; [unrolled: 1-line block ×4, first 2 shown]
	ds_read_b128 v[28:31], v43 offset:32
	ds_read2_b64 v[36:39], v42 offset0:128 offset1:144
	s_waitcnt lgkmcnt(2)
	v_fma_f64 v[68:69], v[32:33], v[66:67], v[56:57]
	v_fma_f64 v[70:71], v[34:35], v[66:67], v[58:59]
	;; [unrolled: 1-line block ×4, first 2 shown]
	ds_read_b128 v[32:35], v43 offset:4128
	ds_read_b128 v[56:59], v43 offset:48
	ds_read2_b64 v[60:63], v42 offset0:160 offset1:176
	ds_read_b128 v[64:67], v43 offset:4144
	s_waitcnt lgkmcnt(4)
	v_fma_f64 v[68:69], v[36:37], v[28:29], v[68:69]
	v_fma_f64 v[28:29], v[38:39], v[28:29], v[70:71]
	s_waitcnt lgkmcnt(3)
	v_fma_f64 v[70:71], v[36:37], v[32:33], v[72:73]
	v_fma_f64 v[32:33], v[38:39], v[32:33], v[40:41]
	ds_read2_b64 v[36:39], v42 offset0:192 offset1:208
	s_waitcnt lgkmcnt(2)
	v_fma_f64 v[40:41], v[60:61], v[30:31], v[68:69]
	v_fma_f64 v[68:69], v[62:63], v[30:31], v[28:29]
	v_fma_f64 v[60:61], v[60:61], v[34:35], v[70:71]
	v_fma_f64 v[32:33], v[62:63], v[34:35], v[32:33]
	ds_read2_b64 v[28:31], v42 offset0:224 offset1:240
	s_waitcnt lgkmcnt(1)
	v_fma_f64 v[40:41], v[36:37], v[56:57], v[40:41]
	v_fma_f64 v[56:57], v[38:39], v[56:57], v[68:69]
	v_fma_f64 v[60:61], v[36:37], v[64:65], v[60:61]
	v_fma_f64 v[62:63], v[38:39], v[64:65], v[32:33]
	ds_read_b128 v[32:35], v43 offset:64
	ds_read2_b64 v[36:39], v51 offset1:16
	s_waitcnt lgkmcnt(2)
	v_fma_f64 v[40:41], v[28:29], v[58:59], v[40:41]
	v_fma_f64 v[68:69], v[30:31], v[58:59], v[56:57]
	v_fma_f64 v[70:71], v[28:29], v[66:67], v[60:61]
	v_fma_f64 v[72:73], v[30:31], v[66:67], v[62:63]
	ds_read_b128 v[28:31], v43 offset:4160
	ds_read2_b64 v[56:59], v51 offset0:32 offset1:48
	ds_read_b128 v[60:63], v43 offset:80
	ds_read_b128 v[64:67], v43 offset:4176
	s_waitcnt lgkmcnt(4)
	v_fma_f64 v[40:41], v[36:37], v[32:33], v[40:41]
	v_fma_f64 v[32:33], v[38:39], v[32:33], v[68:69]
	s_waitcnt lgkmcnt(3)
	v_fma_f64 v[68:69], v[36:37], v[28:29], v[70:71]
	v_fma_f64 v[28:29], v[38:39], v[28:29], v[72:73]
	ds_read2_b64 v[36:39], v51 offset0:64 offset1:80
	s_waitcnt lgkmcnt(3)
	v_fma_f64 v[40:41], v[56:57], v[34:35], v[40:41]
	v_fma_f64 v[32:33], v[58:59], v[34:35], v[32:33]
	v_fma_f64 v[34:35], v[56:57], v[30:31], v[68:69]
	v_fma_f64 v[56:57], v[58:59], v[30:31], v[28:29]
	ds_read2_b64 v[28:31], v51 offset0:96 offset1:112
	s_waitcnt lgkmcnt(1)
	v_fma_f64 v[40:41], v[36:37], v[60:61], v[40:41]
	v_fma_f64 v[58:59], v[38:39], v[60:61], v[32:33]
	v_fma_f64 v[60:61], v[36:37], v[64:65], v[34:35]
	v_fma_f64 v[56:57], v[38:39], v[64:65], v[56:57]
	ds_read_b128 v[32:35], v43 offset:96
	ds_read2_b64 v[36:39], v51 offset0:128 offset1:144
	s_waitcnt lgkmcnt(2)
	v_fma_f64 v[40:41], v[28:29], v[62:63], v[40:41]
	v_fma_f64 v[68:69], v[30:31], v[62:63], v[58:59]
	v_fma_f64 v[70:71], v[28:29], v[66:67], v[60:61]
	v_fma_f64 v[72:73], v[30:31], v[66:67], v[56:57]
	ds_read_b128 v[28:31], v43 offset:4192
	ds_read2_b64 v[56:59], v51 offset0:160 offset1:176
	ds_read_b128 v[60:63], v43 offset:112
	ds_read_b128 v[64:67], v43 offset:4208
	s_waitcnt lgkmcnt(4)
	v_fma_f64 v[40:41], v[36:37], v[32:33], v[40:41]
	v_fma_f64 v[32:33], v[38:39], v[32:33], v[68:69]
	s_waitcnt lgkmcnt(3)
	v_fma_f64 v[68:69], v[36:37], v[28:29], v[70:71]
	v_fma_f64 v[28:29], v[38:39], v[28:29], v[72:73]
	ds_read2_b64 v[36:39], v51 offset0:192 offset1:208
	s_waitcnt lgkmcnt(3)
	v_fma_f64 v[40:41], v[56:57], v[34:35], v[40:41]
	v_fma_f64 v[32:33], v[58:59], v[34:35], v[32:33]
	v_fma_f64 v[34:35], v[56:57], v[30:31], v[68:69]
	v_fma_f64 v[56:57], v[58:59], v[30:31], v[28:29]
	ds_read2_b64 v[28:31], v51 offset0:224 offset1:240
	s_waitcnt lgkmcnt(1)
	v_fma_f64 v[40:41], v[36:37], v[60:61], v[40:41]
	v_fma_f64 v[58:59], v[38:39], v[60:61], v[32:33]
	v_fma_f64 v[60:61], v[36:37], v[64:65], v[34:35]
	v_fma_f64 v[56:57], v[38:39], v[64:65], v[56:57]
	ds_read_b128 v[32:35], v43 offset:128
	ds_read2_b64 v[36:39], v52 offset1:16
	s_waitcnt lgkmcnt(2)
	v_fma_f64 v[40:41], v[28:29], v[62:63], v[40:41]
	v_fma_f64 v[68:69], v[30:31], v[62:63], v[58:59]
	v_fma_f64 v[70:71], v[28:29], v[66:67], v[60:61]
	v_fma_f64 v[72:73], v[30:31], v[66:67], v[56:57]
	ds_read_b128 v[28:31], v43 offset:4224
	ds_read2_b64 v[56:59], v52 offset0:32 offset1:48
	ds_read_b128 v[60:63], v43 offset:144
	ds_read_b128 v[64:67], v43 offset:4240
	s_waitcnt lgkmcnt(4)
	v_fma_f64 v[40:41], v[36:37], v[32:33], v[40:41]
	v_fma_f64 v[32:33], v[38:39], v[32:33], v[68:69]
	s_waitcnt lgkmcnt(3)
	v_fma_f64 v[68:69], v[36:37], v[28:29], v[70:71]
	v_fma_f64 v[28:29], v[38:39], v[28:29], v[72:73]
	ds_read2_b64 v[36:39], v52 offset0:64 offset1:80
	s_waitcnt lgkmcnt(3)
	v_fma_f64 v[40:41], v[56:57], v[34:35], v[40:41]
	v_fma_f64 v[32:33], v[58:59], v[34:35], v[32:33]
	v_fma_f64 v[34:35], v[56:57], v[30:31], v[68:69]
	v_fma_f64 v[56:57], v[58:59], v[30:31], v[28:29]
	ds_read2_b64 v[28:31], v52 offset0:96 offset1:112
	s_waitcnt lgkmcnt(1)
	v_fma_f64 v[40:41], v[36:37], v[60:61], v[40:41]
	v_fma_f64 v[58:59], v[38:39], v[60:61], v[32:33]
	v_fma_f64 v[60:61], v[36:37], v[64:65], v[34:35]
	v_fma_f64 v[56:57], v[38:39], v[64:65], v[56:57]
	ds_read_b128 v[32:35], v43 offset:160
	ds_read2_b64 v[36:39], v52 offset0:128 offset1:144
	s_waitcnt lgkmcnt(2)
	v_fma_f64 v[40:41], v[28:29], v[62:63], v[40:41]
	v_fma_f64 v[68:69], v[30:31], v[62:63], v[58:59]
	v_fma_f64 v[70:71], v[28:29], v[66:67], v[60:61]
	v_fma_f64 v[72:73], v[30:31], v[66:67], v[56:57]
	ds_read_b128 v[28:31], v43 offset:4256
	ds_read2_b64 v[56:59], v52 offset0:160 offset1:176
	ds_read_b128 v[60:63], v43 offset:176
	ds_read_b128 v[64:67], v43 offset:4272
	s_waitcnt lgkmcnt(4)
	v_fma_f64 v[40:41], v[36:37], v[32:33], v[40:41]
	v_fma_f64 v[32:33], v[38:39], v[32:33], v[68:69]
	s_waitcnt lgkmcnt(3)
	v_fma_f64 v[68:69], v[36:37], v[28:29], v[70:71]
	v_fma_f64 v[28:29], v[38:39], v[28:29], v[72:73]
	ds_read2_b64 v[36:39], v52 offset0:192 offset1:208
	s_waitcnt lgkmcnt(3)
	v_fma_f64 v[40:41], v[56:57], v[34:35], v[40:41]
	v_fma_f64 v[32:33], v[58:59], v[34:35], v[32:33]
	v_fma_f64 v[34:35], v[56:57], v[30:31], v[68:69]
	v_fma_f64 v[56:57], v[58:59], v[30:31], v[28:29]
	ds_read2_b64 v[28:31], v52 offset0:224 offset1:240
	s_waitcnt lgkmcnt(1)
	v_fma_f64 v[40:41], v[36:37], v[60:61], v[40:41]
	v_fma_f64 v[58:59], v[38:39], v[60:61], v[32:33]
	v_fma_f64 v[60:61], v[36:37], v[64:65], v[34:35]
	v_fma_f64 v[56:57], v[38:39], v[64:65], v[56:57]
	ds_read_b128 v[32:35], v43 offset:192
	ds_read2_b64 v[36:39], v53 offset1:16
	s_waitcnt lgkmcnt(2)
	v_fma_f64 v[40:41], v[28:29], v[62:63], v[40:41]
	v_fma_f64 v[68:69], v[30:31], v[62:63], v[58:59]
	v_fma_f64 v[70:71], v[28:29], v[66:67], v[60:61]
	v_fma_f64 v[72:73], v[30:31], v[66:67], v[56:57]
	ds_read_b128 v[28:31], v43 offset:4288
	ds_read2_b64 v[56:59], v53 offset0:32 offset1:48
	ds_read_b128 v[60:63], v43 offset:208
	ds_read_b128 v[64:67], v43 offset:4304
	s_waitcnt lgkmcnt(4)
	v_fma_f64 v[40:41], v[36:37], v[32:33], v[40:41]
	v_fma_f64 v[32:33], v[38:39], v[32:33], v[68:69]
	s_waitcnt lgkmcnt(3)
	v_fma_f64 v[68:69], v[36:37], v[28:29], v[70:71]
	v_fma_f64 v[28:29], v[38:39], v[28:29], v[72:73]
	ds_read2_b64 v[36:39], v53 offset0:64 offset1:80
	s_waitcnt lgkmcnt(3)
	v_fma_f64 v[40:41], v[56:57], v[34:35], v[40:41]
	v_fma_f64 v[32:33], v[58:59], v[34:35], v[32:33]
	v_fma_f64 v[34:35], v[56:57], v[30:31], v[68:69]
	v_fma_f64 v[56:57], v[58:59], v[30:31], v[28:29]
	ds_read2_b64 v[28:31], v53 offset0:96 offset1:112
	s_waitcnt lgkmcnt(1)
	v_fma_f64 v[40:41], v[36:37], v[60:61], v[40:41]
	v_fma_f64 v[58:59], v[38:39], v[60:61], v[32:33]
	v_fma_f64 v[60:61], v[36:37], v[64:65], v[34:35]
	v_fma_f64 v[56:57], v[38:39], v[64:65], v[56:57]
	ds_read_b128 v[32:35], v43 offset:224
	ds_read2_b64 v[36:39], v53 offset0:128 offset1:144
	s_waitcnt lgkmcnt(2)
	v_fma_f64 v[40:41], v[28:29], v[62:63], v[40:41]
	v_fma_f64 v[68:69], v[30:31], v[62:63], v[58:59]
	v_fma_f64 v[70:71], v[28:29], v[66:67], v[60:61]
	v_fma_f64 v[72:73], v[30:31], v[66:67], v[56:57]
	ds_read_b128 v[28:31], v43 offset:4320
	ds_read2_b64 v[56:59], v53 offset0:160 offset1:176
	ds_read_b128 v[60:63], v43 offset:240
	ds_read_b128 v[64:67], v43 offset:4336
	s_waitcnt lgkmcnt(4)
	v_fma_f64 v[40:41], v[36:37], v[32:33], v[40:41]
	v_fma_f64 v[32:33], v[38:39], v[32:33], v[68:69]
	s_waitcnt lgkmcnt(3)
	v_fma_f64 v[68:69], v[36:37], v[28:29], v[70:71]
	v_fma_f64 v[28:29], v[38:39], v[28:29], v[72:73]
	ds_read2_b64 v[36:39], v53 offset0:192 offset1:208
	s_waitcnt lgkmcnt(3)
	v_fma_f64 v[40:41], v[56:57], v[34:35], v[40:41]
	v_fma_f64 v[32:33], v[58:59], v[34:35], v[32:33]
	;; [unrolled: 1-line block ×4, first 2 shown]
	ds_read2_b64 v[56:59], v53 offset0:224 offset1:240
	s_waitcnt lgkmcnt(0)
	s_barrier
	buffer_gl0_inv
	v_fma_f64 v[30:31], v[36:37], v[60:61], v[40:41]
	v_fma_f64 v[32:33], v[38:39], v[60:61], v[32:33]
	;; [unrolled: 1-line block ×8, first 2 shown]
	s_cbranch_scc1 .LBB42_43
.LBB42_7:                               ;   Parent Loop BB42_4 Depth=1
                                        ; =>  This Inner Loop Header: Depth=2
	v_add_co_u32 v38, s5, v1, s20
	v_add_co_ci_u32_e64 v39, null, 0, s21, s5
	v_cmp_eq_u64_e64 s8, s[20:21], v[8:9]
                                        ; implicit-def: $vgpr40_vgpr41
	v_cmp_le_i64_e64 s6, s[18:19], v[38:39]
	v_cmp_gt_i64_e64 s5, v[38:39], v[4:5]
	s_and_b32 s25, s41, s8
	v_add_co_u32 v36, s8, v46, s16
	v_add_co_ci_u32_e64 v37, null, s17, v47, s8
	s_or_b32 s9, s6, s5
	s_or_b32 s8, s9, s25
	s_nor_b32 s8, s0, s8
	s_and_saveexec_b32 s9, s8
	s_xor_b32 s8, exec_lo, s9
	s_cbranch_execz .LBB42_9
; %bb.8:                                ;   in Loop: Header=BB42_7 Depth=2
	global_load_dwordx2 v[40:41], v[36:37], off
.LBB42_9:                               ;   in Loop: Header=BB42_7 Depth=2
	s_andn2_saveexec_b32 s8, s8
	s_cbranch_execz .LBB42_11
; %bb.10:                               ;   in Loop: Header=BB42_7 Depth=2
	v_cndmask_b32_e64 v3, 0, 0x3ff00000, s25
	s_waitcnt vmcnt(0)
	v_mov_b32_e32 v41, v3
	v_mov_b32_e32 v40, v2
.LBB42_11:                              ;   in Loop: Header=BB42_7 Depth=2
	s_or_b32 exec_lo, exec_lo, s8
	v_cmp_eq_u64_e64 s8, s[20:21], v[10:11]
	v_cmp_lt_i64_e64 s9, v[6:7], v[38:39]
	s_waitcnt vmcnt(0)
	ds_write_b64 v44, v[40:41]
	s_and_b32 s8, s41, s8
	s_or_b32 s6, s6, s9
	s_or_b32 s6, s6, s8
	s_nor_b32 s6, s3, s6
	s_and_saveexec_b32 s9, s6
	s_xor_b32 s9, exec_lo, s9
	s_cbranch_execz .LBB42_13
; %bb.12:                               ;   in Loop: Header=BB42_7 Depth=2
	v_add_co_u32 v40, s6, v48, s16
	v_add_co_ci_u32_e64 v41, null, s17, v49, s6
	global_load_dwordx2 v[40:41], v[40:41], off
	s_waitcnt vmcnt(0)
	ds_write_b64 v44, v[40:41] offset:128
.LBB42_13:                              ;   in Loop: Header=BB42_7 Depth=2
	s_andn2_saveexec_b32 s6, s9
	s_cbranch_execz .LBB42_19
; %bb.14:                               ;   in Loop: Header=BB42_7 Depth=2
	s_xor_b32 s8, s8, -1
	s_and_saveexec_b32 s9, s8
	s_xor_b32 s8, exec_lo, s9
; %bb.15:                               ;   in Loop: Header=BB42_7 Depth=2
	v_mov_b32_e32 v3, v2
	ds_write_b64 v44, v[2:3] offset:128
; %bb.16:                               ;   in Loop: Header=BB42_7 Depth=2
	s_andn2_saveexec_b32 s8, s8
; %bb.17:                               ;   in Loop: Header=BB42_7 Depth=2
	v_mov_b32_e32 v3, v50
	ds_write_b64 v44, v[2:3] offset:128
; %bb.18:                               ;   in Loop: Header=BB42_7 Depth=2
	s_or_b32 exec_lo, exec_lo, s8
.LBB42_19:                              ;   in Loop: Header=BB42_7 Depth=2
	s_or_b32 exec_lo, exec_lo, s6
	v_add_co_u32 v38, s6, v38, 16
	v_add_co_ci_u32_e64 v39, null, 0, v39, s6
	v_cmp_eq_u64_e64 s8, s[20:21], v[14:15]
	v_cmp_le_i64_e64 s6, s[18:19], v[38:39]
	v_cmp_gt_i64_e64 s9, v[38:39], v[4:5]
                                        ; implicit-def: $vgpr38_vgpr39
	s_and_b32 s8, s41, s8
	s_or_b32 s9, s6, s9
	s_or_b32 s9, s9, s8
	s_nor_b32 s9, s0, s9
	s_and_saveexec_b32 s26, s9
	s_xor_b32 s9, exec_lo, s26
	s_cbranch_execz .LBB42_21
; %bb.20:                               ;   in Loop: Header=BB42_7 Depth=2
	global_load_dwordx2 v[38:39], v[36:37], off offset:128
.LBB42_21:                              ;   in Loop: Header=BB42_7 Depth=2
	s_andn2_saveexec_b32 s9, s9
	s_cbranch_execz .LBB42_23
; %bb.22:                               ;   in Loop: Header=BB42_7 Depth=2
	v_cndmask_b32_e64 v3, 0, 0x3ff00000, s8
	s_waitcnt vmcnt(0)
	v_mov_b32_e32 v39, v3
	v_mov_b32_e32 v38, v2
.LBB42_23:                              ;   in Loop: Header=BB42_7 Depth=2
	s_or_b32 exec_lo, exec_lo, s9
	s_or_b32 s5, s6, s5
	s_waitcnt vmcnt(0)
	ds_write_b64 v44, v[38:39] offset:4096
	s_or_b32 s5, s5, s25
	s_nor_b32 s5, s3, s5
	s_and_saveexec_b32 s6, s5
	s_xor_b32 s6, exec_lo, s6
	s_cbranch_execz .LBB42_25
; %bb.24:                               ;   in Loop: Header=BB42_7 Depth=2
	v_add_co_u32 v36, s5, v48, s16
	v_add_co_ci_u32_e64 v37, null, s17, v49, s5
	global_load_dwordx2 v[36:37], v[36:37], off offset:128
	s_waitcnt vmcnt(0)
	ds_write_b64 v44, v[36:37] offset:4224
.LBB42_25:                              ;   in Loop: Header=BB42_7 Depth=2
	s_andn2_saveexec_b32 s5, s6
	s_cbranch_execz .LBB42_31
; %bb.26:                               ;   in Loop: Header=BB42_7 Depth=2
	s_xor_b32 s6, s25, -1
	s_and_saveexec_b32 s8, s6
	s_xor_b32 s6, exec_lo, s8
; %bb.27:                               ;   in Loop: Header=BB42_7 Depth=2
	v_mov_b32_e32 v3, v2
	ds_write_b64 v44, v[2:3] offset:4224
; %bb.28:                               ;   in Loop: Header=BB42_7 Depth=2
	s_andn2_saveexec_b32 s6, s6
; %bb.29:                               ;   in Loop: Header=BB42_7 Depth=2
	v_mov_b32_e32 v3, v50
	ds_write_b64 v44, v[2:3] offset:4224
; %bb.30:                               ;   in Loop: Header=BB42_7 Depth=2
	s_or_b32 exec_lo, exec_lo, s6
.LBB42_31:                              ;   in Loop: Header=BB42_7 Depth=2
	s_or_b32 exec_lo, exec_lo, s5
	v_add_co_u32 v38, s5, v0, s20
	v_add_co_ci_u32_e64 v39, null, 0, s21, s5
	v_add_co_u32 v36, s6, v24, s16
	v_mov_b32_e32 v40, 0
	v_cmp_gt_i64_e64 s5, s[18:19], v[38:39]
	v_mov_b32_e32 v41, 0
	v_add_co_ci_u32_e64 v37, null, s17, v25, s6
	s_and_b32 s8, vcc_lo, s5
	s_and_saveexec_b32 s6, s8
	s_cbranch_execz .LBB42_33
; %bb.32:                               ;   in Loop: Header=BB42_7 Depth=2
	global_load_dwordx2 v[40:41], v[36:37], off offset:-128
.LBB42_33:                              ;   in Loop: Header=BB42_7 Depth=2
	s_or_b32 exec_lo, exec_lo, s6
	v_cmp_gt_i64_e64 s6, s[22:23], v[38:39]
	s_waitcnt vmcnt(0)
	ds_write_b64 v45, v[40:41]
	s_and_b32 s8, vcc_lo, s6
	s_xor_b32 s8, s8, -1
	s_and_saveexec_b32 s9, s8
	s_xor_b32 s8, exec_lo, s9
; %bb.34:                               ;   in Loop: Header=BB42_7 Depth=2
	v_mov_b32_e32 v3, v2
                                        ; implicit-def: $vgpr36_vgpr37
	ds_write_b64 v45, v[2:3] offset:128
; %bb.35:                               ;   in Loop: Header=BB42_7 Depth=2
	s_andn2_saveexec_b32 s8, s8
	s_cbranch_execz .LBB42_37
; %bb.36:                               ;   in Loop: Header=BB42_7 Depth=2
	global_load_dwordx2 v[36:37], v[36:37], off
	s_waitcnt vmcnt(0)
	ds_write_b64 v45, v[36:37] offset:128
.LBB42_37:                              ;   in Loop: Header=BB42_7 Depth=2
	s_or_b32 exec_lo, exec_lo, s8
	v_add_co_u32 v36, s8, v26, s16
	v_mov_b32_e32 v38, 0
	v_mov_b32_e32 v39, 0
	v_add_co_ci_u32_e64 v37, null, s17, v27, s8
	s_and_b32 s8, s4, s5
	s_and_saveexec_b32 s5, s8
	s_cbranch_execz .LBB42_39
; %bb.38:                               ;   in Loop: Header=BB42_7 Depth=2
	global_load_dwordx2 v[38:39], v[36:37], off
.LBB42_39:                              ;   in Loop: Header=BB42_7 Depth=2
	s_or_b32 exec_lo, exec_lo, s5
	s_and_b32 s5, s4, s6
	s_waitcnt vmcnt(0)
	ds_write_b64 v45, v[38:39] offset:4096
	s_xor_b32 s5, s5, -1
	s_and_saveexec_b32 s6, s5
	s_xor_b32 s5, exec_lo, s6
; %bb.40:                               ;   in Loop: Header=BB42_7 Depth=2
	v_mov_b32_e32 v3, v2
                                        ; implicit-def: $vgpr36_vgpr37
	ds_write_b64 v45, v[2:3] offset:4224
; %bb.41:                               ;   in Loop: Header=BB42_7 Depth=2
	s_andn2_saveexec_b32 s5, s5
	s_cbranch_execz .LBB42_6
; %bb.42:                               ;   in Loop: Header=BB42_7 Depth=2
	global_load_dwordx2 v[36:37], v[36:37], off offset:128
	s_waitcnt vmcnt(0)
	ds_write_b64 v45, v[36:37] offset:4224
	s_branch .LBB42_6
.LBB42_43:                              ;   in Loop: Header=BB42_4 Depth=1
	v_mul_lo_u32 v3, s29, v54
	v_mul_lo_u32 v21, s28, v55
	v_mad_u64_u32 v[24:25], null, s28, v54, 0
	v_cmp_gt_i32_e32 vcc_lo, s14, v54
	v_add3_u32 v25, v25, v21, v3
	v_lshlrev_b64 v[24:25], 3, v[24:25]
	v_add_co_u32 v3, s4, s30, v24
	v_add_co_ci_u32_e64 v21, null, s31, v25, s4
	s_and_b32 s4, s1, vcc_lo
	s_and_saveexec_b32 s5, s4
	s_cbranch_execz .LBB42_45
; %bb.44:                               ;   in Loop: Header=BB42_4 Depth=1
	v_add_co_u32 v24, s4, v3, v12
	v_add_co_ci_u32_e64 v25, null, v21, v13, s4
	global_load_dwordx2 v[26:27], v[24:25], off
	s_waitcnt vmcnt(0)
	v_fma_f64 v[26:27], s[10:11], v[34:35], v[26:27]
	global_store_dwordx2 v[24:25], v[26:27], off
.LBB42_45:                              ;   in Loop: Header=BB42_4 Depth=1
	s_or_b32 exec_lo, exec_lo, s5
	s_and_b32 s5, s2, vcc_lo
	s_and_saveexec_b32 s4, s5
	s_cbranch_execz .LBB42_47
; %bb.46:                               ;   in Loop: Header=BB42_4 Depth=1
	v_add_co_u32 v24, vcc_lo, v3, v22
	v_add_co_ci_u32_e64 v25, null, v21, v23, vcc_lo
	global_load_dwordx2 v[26:27], v[24:25], off
	s_waitcnt vmcnt(0)
	v_fma_f64 v[26:27], s[10:11], v[32:33], v[26:27]
	global_store_dwordx2 v[24:25], v[26:27], off
.LBB42_47:                              ;   in Loop: Header=BB42_4 Depth=1
	s_or_b32 exec_lo, exec_lo, s4
	v_add_nc_u32_e32 v3, 16, v54
	v_ashrrev_i32_e32 v21, 31, v3
	v_mul_lo_u32 v26, s29, v3
	v_mad_u64_u32 v[24:25], null, s28, v3, 0
	v_cmp_gt_i32_e32 vcc_lo, s14, v3
	v_mul_lo_u32 v21, s28, v21
	v_add3_u32 v25, v25, v21, v26
	v_lshlrev_b64 v[24:25], 3, v[24:25]
	v_add_co_u32 v3, s4, s30, v24
	v_add_co_ci_u32_e64 v21, null, s31, v25, s4
	s_and_b32 s4, s1, vcc_lo
	s_and_saveexec_b32 s5, s4
	s_cbranch_execz .LBB42_49
; %bb.48:                               ;   in Loop: Header=BB42_4 Depth=1
	v_add_co_u32 v24, s4, v3, v12
	v_add_co_ci_u32_e64 v25, null, v21, v13, s4
	global_load_dwordx2 v[26:27], v[24:25], off
	s_waitcnt vmcnt(0)
	v_fma_f64 v[26:27], s[10:11], v[30:31], v[26:27]
	global_store_dwordx2 v[24:25], v[26:27], off
.LBB42_49:                              ;   in Loop: Header=BB42_4 Depth=1
	s_or_b32 exec_lo, exec_lo, s5
	s_and_b32 s5, s2, vcc_lo
	s_and_saveexec_b32 s4, s5
	s_cbranch_execz .LBB42_3
; %bb.50:                               ;   in Loop: Header=BB42_4 Depth=1
	v_add_co_u32 v24, vcc_lo, v3, v22
	v_add_co_ci_u32_e64 v25, null, v21, v23, vcc_lo
	global_load_dwordx2 v[26:27], v[24:25], off
	s_waitcnt vmcnt(0)
	v_fma_f64 v[26:27], s[10:11], v[28:29], v[26:27]
	global_store_dwordx2 v[24:25], v[26:27], off
	s_branch .LBB42_3
.LBB42_51:
	s_endpgm
	.section	.rodata,"a",@progbits
	.p2align	6, 0x0
	.amdhsa_kernel _ZL30rocblas_trmm_outofplace_kernelIdLi32ELi2ELb1ELb1ELb1ELb0EPKdS0_dEv17rocblas_diagonal_iiT6_lPT7_lllS5_lllPT8_llli
		.amdhsa_group_segment_fixed_size 16384
		.amdhsa_private_segment_fixed_size 0
		.amdhsa_kernarg_size 392
		.amdhsa_user_sgpr_count 6
		.amdhsa_user_sgpr_private_segment_buffer 1
		.amdhsa_user_sgpr_dispatch_ptr 0
		.amdhsa_user_sgpr_queue_ptr 0
		.amdhsa_user_sgpr_kernarg_segment_ptr 1
		.amdhsa_user_sgpr_dispatch_id 0
		.amdhsa_user_sgpr_flat_scratch_init 0
		.amdhsa_user_sgpr_private_segment_size 0
		.amdhsa_wavefront_size32 1
		.amdhsa_uses_dynamic_stack 0
		.amdhsa_system_sgpr_private_segment_wavefront_offset 0
		.amdhsa_system_sgpr_workgroup_id_x 1
		.amdhsa_system_sgpr_workgroup_id_y 1
		.amdhsa_system_sgpr_workgroup_id_z 1
		.amdhsa_system_sgpr_workgroup_info 0
		.amdhsa_system_vgpr_workitem_id 1
		.amdhsa_next_free_vgpr 76
		.amdhsa_next_free_sgpr 46
		.amdhsa_reserve_vcc 1
		.amdhsa_reserve_flat_scratch 0
		.amdhsa_float_round_mode_32 0
		.amdhsa_float_round_mode_16_64 0
		.amdhsa_float_denorm_mode_32 3
		.amdhsa_float_denorm_mode_16_64 3
		.amdhsa_dx10_clamp 1
		.amdhsa_ieee_mode 1
		.amdhsa_fp16_overflow 0
		.amdhsa_workgroup_processor_mode 1
		.amdhsa_memory_ordered 1
		.amdhsa_forward_progress 1
		.amdhsa_shared_vgpr_count 0
		.amdhsa_exception_fp_ieee_invalid_op 0
		.amdhsa_exception_fp_denorm_src 0
		.amdhsa_exception_fp_ieee_div_zero 0
		.amdhsa_exception_fp_ieee_overflow 0
		.amdhsa_exception_fp_ieee_underflow 0
		.amdhsa_exception_fp_ieee_inexact 0
		.amdhsa_exception_int_div_zero 0
	.end_amdhsa_kernel
	.section	.text._ZL30rocblas_trmm_outofplace_kernelIdLi32ELi2ELb1ELb1ELb1ELb0EPKdS0_dEv17rocblas_diagonal_iiT6_lPT7_lllS5_lllPT8_llli,"axG",@progbits,_ZL30rocblas_trmm_outofplace_kernelIdLi32ELi2ELb1ELb1ELb1ELb0EPKdS0_dEv17rocblas_diagonal_iiT6_lPT7_lllS5_lllPT8_llli,comdat
.Lfunc_end42:
	.size	_ZL30rocblas_trmm_outofplace_kernelIdLi32ELi2ELb1ELb1ELb1ELb0EPKdS0_dEv17rocblas_diagonal_iiT6_lPT7_lllS5_lllPT8_llli, .Lfunc_end42-_ZL30rocblas_trmm_outofplace_kernelIdLi32ELi2ELb1ELb1ELb1ELb0EPKdS0_dEv17rocblas_diagonal_iiT6_lPT7_lllS5_lllPT8_llli
                                        ; -- End function
	.set _ZL30rocblas_trmm_outofplace_kernelIdLi32ELi2ELb1ELb1ELb1ELb0EPKdS0_dEv17rocblas_diagonal_iiT6_lPT7_lllS5_lllPT8_llli.num_vgpr, 76
	.set _ZL30rocblas_trmm_outofplace_kernelIdLi32ELi2ELb1ELb1ELb1ELb0EPKdS0_dEv17rocblas_diagonal_iiT6_lPT7_lllS5_lllPT8_llli.num_agpr, 0
	.set _ZL30rocblas_trmm_outofplace_kernelIdLi32ELi2ELb1ELb1ELb1ELb0EPKdS0_dEv17rocblas_diagonal_iiT6_lPT7_lllS5_lllPT8_llli.numbered_sgpr, 46
	.set _ZL30rocblas_trmm_outofplace_kernelIdLi32ELi2ELb1ELb1ELb1ELb0EPKdS0_dEv17rocblas_diagonal_iiT6_lPT7_lllS5_lllPT8_llli.num_named_barrier, 0
	.set _ZL30rocblas_trmm_outofplace_kernelIdLi32ELi2ELb1ELb1ELb1ELb0EPKdS0_dEv17rocblas_diagonal_iiT6_lPT7_lllS5_lllPT8_llli.private_seg_size, 0
	.set _ZL30rocblas_trmm_outofplace_kernelIdLi32ELi2ELb1ELb1ELb1ELb0EPKdS0_dEv17rocblas_diagonal_iiT6_lPT7_lllS5_lllPT8_llli.uses_vcc, 1
	.set _ZL30rocblas_trmm_outofplace_kernelIdLi32ELi2ELb1ELb1ELb1ELb0EPKdS0_dEv17rocblas_diagonal_iiT6_lPT7_lllS5_lllPT8_llli.uses_flat_scratch, 0
	.set _ZL30rocblas_trmm_outofplace_kernelIdLi32ELi2ELb1ELb1ELb1ELb0EPKdS0_dEv17rocblas_diagonal_iiT6_lPT7_lllS5_lllPT8_llli.has_dyn_sized_stack, 0
	.set _ZL30rocblas_trmm_outofplace_kernelIdLi32ELi2ELb1ELb1ELb1ELb0EPKdS0_dEv17rocblas_diagonal_iiT6_lPT7_lllS5_lllPT8_llli.has_recursion, 0
	.set _ZL30rocblas_trmm_outofplace_kernelIdLi32ELi2ELb1ELb1ELb1ELb0EPKdS0_dEv17rocblas_diagonal_iiT6_lPT7_lllS5_lllPT8_llli.has_indirect_call, 0
	.section	.AMDGPU.csdata,"",@progbits
; Kernel info:
; codeLenInByte = 3868
; TotalNumSgprs: 48
; NumVgprs: 76
; ScratchSize: 0
; MemoryBound: 0
; FloatMode: 240
; IeeeMode: 1
; LDSByteSize: 16384 bytes/workgroup (compile time only)
; SGPRBlocks: 0
; VGPRBlocks: 9
; NumSGPRsForWavesPerEU: 48
; NumVGPRsForWavesPerEU: 76
; Occupancy: 12
; WaveLimiterHint : 0
; COMPUTE_PGM_RSRC2:SCRATCH_EN: 0
; COMPUTE_PGM_RSRC2:USER_SGPR: 6
; COMPUTE_PGM_RSRC2:TRAP_HANDLER: 0
; COMPUTE_PGM_RSRC2:TGID_X_EN: 1
; COMPUTE_PGM_RSRC2:TGID_Y_EN: 1
; COMPUTE_PGM_RSRC2:TGID_Z_EN: 1
; COMPUTE_PGM_RSRC2:TIDIG_COMP_CNT: 1
	.section	.text._ZL30rocblas_trmm_outofplace_kernelIdLi32ELi2ELb1ELb1ELb1ELb0EdKddEv17rocblas_diagonal_iiT6_lPT7_lllS4_lllPT8_llli,"axG",@progbits,_ZL30rocblas_trmm_outofplace_kernelIdLi32ELi2ELb1ELb1ELb1ELb0EdKddEv17rocblas_diagonal_iiT6_lPT7_lllS4_lllPT8_llli,comdat
	.globl	_ZL30rocblas_trmm_outofplace_kernelIdLi32ELi2ELb1ELb1ELb1ELb0EdKddEv17rocblas_diagonal_iiT6_lPT7_lllS4_lllPT8_llli ; -- Begin function _ZL30rocblas_trmm_outofplace_kernelIdLi32ELi2ELb1ELb1ELb1ELb0EdKddEv17rocblas_diagonal_iiT6_lPT7_lllS4_lllPT8_llli
	.p2align	8
	.type	_ZL30rocblas_trmm_outofplace_kernelIdLi32ELi2ELb1ELb1ELb1ELb0EdKddEv17rocblas_diagonal_iiT6_lPT7_lllS4_lllPT8_llli,@function
_ZL30rocblas_trmm_outofplace_kernelIdLi32ELi2ELb1ELb1ELb1ELb0EdKddEv17rocblas_diagonal_iiT6_lPT7_lllS4_lllPT8_llli: ; @_ZL30rocblas_trmm_outofplace_kernelIdLi32ELi2ELb1ELb1ELb1ELb0EdKddEv17rocblas_diagonal_iiT6_lPT7_lllS4_lllPT8_llli
; %bb.0:
	s_load_dwordx2 s[10:11], s[4:5], 0x10
	s_waitcnt lgkmcnt(0)
	v_cmp_eq_f64_e64 s0, s[10:11], 0
	s_and_b32 vcc_lo, exec_lo, s0
	s_cbranch_vccnz .LBB43_51
; %bb.1:
	s_load_dwordx4 s[28:31], s[4:5], 0x0
	s_waitcnt lgkmcnt(0)
	s_add_i32 s0, s30, -1
	s_ashr_i32 s1, s0, 31
	s_lshr_b32 s1, s1, 27
	s_add_i32 s0, s0, s1
	s_ashr_i32 s31, s0, 5
	s_cmp_gt_i32 s7, s31
	s_cbranch_scc1 .LBB43_51
; %bb.2:
	s_clause 0x2
	s_load_dwordx16 s[12:27], s[4:5], 0x20
	s_load_dwordx8 s[36:43], s[4:5], 0x60
	s_load_dword s33, s[4:5], 0x8c
	v_lshlrev_b32_e32 v3, 8, v1
	v_lshlrev_b32_e32 v42, 3, v0
	;; [unrolled: 1-line block ×3, first 2 shown]
	s_mov_b32 s34, s29
	v_mov_b32_e32 v2, 0
	v_add_nc_u32_e32 v44, 0x2000, v3
	v_add_nc_u32_e32 v43, v42, v3
	v_mov_b32_e32 v50, 0x3ff00000
	v_add_nc_u32_e32 v51, 0x800, v42
	v_add_nc_u32_e32 v52, 0x1000, v42
	;; [unrolled: 1-line block ×4, first 2 shown]
	s_waitcnt lgkmcnt(0)
	s_mul_i32 s1, s19, s8
	s_mul_hi_u32 s2, s18, s8
	s_mul_i32 s0, s18, s8
	s_add_i32 s1, s2, s1
	s_mul_i32 s2, s43, s8
	s_lshl_b64 s[4:5], s[0:1], 3
	s_mul_hi_u32 s1, s42, s8
	s_add_u32 s3, s12, s4
	s_addc_u32 s9, s13, s5
	s_lshl_b64 s[44:45], s[14:15], 3
	s_mul_i32 s0, s42, s8
	s_add_u32 s18, s3, s44
	s_addc_u32 s19, s9, s45
	s_add_i32 s1, s1, s2
	s_mul_i32 s3, s27, s8
	s_lshl_b64 s[0:1], s[0:1], 3
	s_add_u32 s2, s36, s0
	s_addc_u32 s9, s37, s1
	s_lshl_b64 s[0:1], s[38:39], 3
	s_mul_hi_u32 s39, s26, s8
	s_add_u32 s27, s2, s0
	s_addc_u32 s36, s9, s1
	s_lshl_b32 s37, s6, 5
	s_cmp_gt_i32 s6, -1
	v_add_nc_u32_e32 v4, s37, v0
	s_cselect_b32 s38, -1, 0
	s_cmpk_eq_i32 s28, 0x84
	s_mul_i32 s2, s26, s8
	s_cselect_b32 s26, -1, 0
	v_ashrrev_i32_e32 v5, 31, v4
	v_mul_lo_u32 v3, s17, v4
	v_mad_u64_u32 v[8:9], null, s16, v4, 0
	s_ashr_i32 s35, s29, 31
	v_mul_lo_u32 v6, s16, v5
	s_ashr_i32 s28, s30, 31
	v_lshlrev_b64 v[12:13], 3, v[4:5]
	s_add_u32 s14, s29, -16
	s_addc_u32 s15, s35, -1
	s_add_i32 s3, s39, s3
	v_add_nc_u32_e32 v21, 16, v4
	s_lshl_b64 s[8:9], s[2:3], 3
	v_add3_u32 v9, v9, v6, v3
	v_add_co_u32 v6, vcc_lo, v4, 16
	v_add_co_ci_u32_e64 v7, null, 0, v5, vcc_lo
	v_lshlrev_b64 v[10:11], 3, v[8:9]
	v_sub_co_u32 v8, vcc_lo, v4, v1
	v_subrev_co_ci_u32_e64 v9, null, 0, v5, vcc_lo
	v_ashrrev_i32_e32 v22, 31, v21
	v_add_co_u32 v3, vcc_lo, s18, v10
	v_add_co_ci_u32_e64 v10, null, s19, v11, vcc_lo
	s_lshl_b64 s[18:19], s[22:23], 3
	v_add_co_u32 v46, vcc_lo, v3, v20
	v_add_co_ci_u32_e64 v47, null, 0, v10, vcc_lo
	v_add_co_u32 v10, vcc_lo, v8, 16
	v_add_co_ci_u32_e64 v11, null, 0, v9, vcc_lo
	s_add_u32 s6, s8, s18
	v_add_co_u32 v3, vcc_lo, 0x80, v12
	s_addc_u32 s8, s9, s19
	s_add_u32 s6, s20, s6
	v_add_co_ci_u32_e64 v14, null, 0, v13, vcc_lo
	s_addc_u32 s8, s21, s8
	s_lshl_b64 s[18:19], s[24:25], 3
	s_lshl_b32 s20, s33, 5
	s_add_u32 s4, s44, s4
	s_addc_u32 s5, s45, s5
	v_mul_lo_u32 v18, s16, v14
	v_mad_u64_u32 v[23:24], null, s16, v3, s[4:5]
	v_mul_lo_u32 v3, s17, v3
	v_add_co_u32 v16, s4, s6, v42
	v_add_co_ci_u32_e64 v17, null, s8, 0, s4
	v_add_co_u32 v14, vcc_lo, v8, -16
	v_add_co_ci_u32_e64 v15, null, -1, v9, vcc_lo
	v_add3_u32 v3, v3, v24, v18
	v_add_co_u32 v18, vcc_lo, 0x80, v16
	v_add_co_ci_u32_e64 v19, null, 0, v17, vcc_lo
	v_add_co_u32 v23, vcc_lo, v23, v20
	v_add_co_ci_u32_e64 v3, null, 0, v3, vcc_lo
	v_cmp_le_i64_e64 s3, s[34:35], v[6:7]
	v_add_co_u32 v48, vcc_lo, s12, v23
	v_lshlrev_b64 v[22:23], 3, v[21:22]
	v_cmp_le_i32_e64 s0, s29, v4
	v_cmp_gt_i32_e64 s1, s29, v4
	v_cmp_gt_i32_e64 s2, s29, v21
	v_lshl_add_u32 v20, s7, 5, v1
	v_add_co_ci_u32_e64 v49, null, s13, v3, vcc_lo
	s_branch .LBB43_4
.LBB43_3:                               ;   in Loop: Header=BB43_4 Depth=1
	s_or_b32 exec_lo, exec_lo, s4
	v_add_nc_u32_e32 v20, s20, v20
	s_add_i32 s7, s33, s7
	s_cmp_le_i32 s7, s31
	s_cbranch_scc0 .LBB43_51
.LBB43_4:                               ; =>This Loop Header: Depth=1
                                        ;     Child Loop BB43_7 Depth 2
	v_lshl_add_u32 v54, s7, 5, v1
	v_mov_b32_e32 v34, 0
	v_mov_b32_e32 v32, 0
	;; [unrolled: 1-line block ×8, first 2 shown]
	v_ashrrev_i32_e32 v55, 31, v54
	s_andn2_b32 vcc_lo, exec_lo, s38
	s_cbranch_vccnz .LBB43_43
; %bb.5:                                ;   in Loop: Header=BB43_4 Depth=1
	v_ashrrev_i32_e32 v21, 31, v20
	v_mad_u64_u32 v[24:25], null, s18, v20, v[18:19]
	v_mul_lo_u32 v3, s19, v20
	v_mov_b32_e32 v30, 0
	v_lshlrev_b64 v[26:27], 3, v[20:21]
	v_mul_lo_u32 v21, s18, v21
	v_mov_b32_e32 v32, 0
	v_mov_b32_e32 v34, 0
	;; [unrolled: 1-line block ×4, first 2 shown]
	v_add_co_u32 v26, vcc_lo, 0x80, v26
	v_add_co_ci_u32_e64 v27, null, 0, v27, vcc_lo
	v_sub_co_u32 v28, vcc_lo, s30, v54
	v_mul_lo_u32 v37, s25, v26
	v_mul_lo_u32 v36, s24, v27
	v_mad_u64_u32 v[26:27], null, s24, v26, v[16:17]
	v_sub_co_ci_u32_e64 v29, null, s28, v55, vcc_lo
	v_add3_u32 v25, v3, v25, v21
	v_mov_b32_e32 v35, 0
	s_mov_b64 s[12:13], 0
	v_cmp_lt_i64_e32 vcc_lo, 0, v[28:29]
	v_cmp_lt_i64_e64 s4, 16, v[28:29]
	v_mov_b32_e32 v28, 0
	v_mov_b32_e32 v29, 0
	v_add3_u32 v27, v37, v27, v36
	s_mov_b64 s[16:17], 0
	s_branch .LBB43_7
.LBB43_6:                               ;   in Loop: Header=BB43_7 Depth=2
	s_or_b32 exec_lo, exec_lo, s5
	s_waitcnt lgkmcnt(0)
	s_barrier
	buffer_gl0_inv
	ds_read_b128 v[36:39], v44
	ds_read2_b64 v[56:59], v42 offset1:16
	ds_read_b128 v[60:63], v44 offset:4096
	ds_read_b128 v[64:67], v44 offset:16
	ds_read2_b64 v[68:71], v42 offset0:32 offset1:48
	ds_read_b128 v[72:75], v44 offset:4112
	s_add_u32 s16, s16, 32
	s_addc_u32 s17, s17, 0
	s_sub_i32 s5, s16, 32
	s_add_u32 s12, s12, 0x100
	s_addc_u32 s13, s13, 0
	s_cmp_ge_i32 s5, s37
	s_waitcnt lgkmcnt(4)
	v_fma_f64 v[34:35], v[56:57], v[36:37], v[34:35]
	v_fma_f64 v[32:33], v[58:59], v[36:37], v[32:33]
	s_waitcnt lgkmcnt(3)
	v_fma_f64 v[36:37], v[56:57], v[60:61], v[30:31]
	v_fma_f64 v[40:41], v[58:59], v[60:61], v[28:29]
	ds_read2_b64 v[28:31], v42 offset0:64 offset1:80
	s_waitcnt lgkmcnt(2)
	v_fma_f64 v[56:57], v[68:69], v[38:39], v[34:35]
	v_fma_f64 v[38:39], v[70:71], v[38:39], v[32:33]
	;; [unrolled: 1-line block ×4, first 2 shown]
	ds_read2_b64 v[32:35], v42 offset0:96 offset1:112
	s_waitcnt lgkmcnt(1)
	v_fma_f64 v[56:57], v[28:29], v[64:65], v[56:57]
	v_fma_f64 v[58:59], v[30:31], v[64:65], v[38:39]
	;; [unrolled: 1-line block ×4, first 2 shown]
	ds_read_b128 v[28:31], v44 offset:32
	ds_read2_b64 v[36:39], v42 offset0:128 offset1:144
	s_waitcnt lgkmcnt(2)
	v_fma_f64 v[68:69], v[32:33], v[66:67], v[56:57]
	v_fma_f64 v[70:71], v[34:35], v[66:67], v[58:59]
	;; [unrolled: 1-line block ×4, first 2 shown]
	ds_read_b128 v[32:35], v44 offset:4128
	ds_read_b128 v[56:59], v44 offset:48
	ds_read2_b64 v[60:63], v42 offset0:160 offset1:176
	ds_read_b128 v[64:67], v44 offset:4144
	s_waitcnt lgkmcnt(4)
	v_fma_f64 v[68:69], v[36:37], v[28:29], v[68:69]
	v_fma_f64 v[28:29], v[38:39], v[28:29], v[70:71]
	s_waitcnt lgkmcnt(3)
	v_fma_f64 v[70:71], v[36:37], v[32:33], v[72:73]
	v_fma_f64 v[32:33], v[38:39], v[32:33], v[40:41]
	ds_read2_b64 v[36:39], v42 offset0:192 offset1:208
	s_waitcnt lgkmcnt(2)
	v_fma_f64 v[40:41], v[60:61], v[30:31], v[68:69]
	v_fma_f64 v[68:69], v[62:63], v[30:31], v[28:29]
	v_fma_f64 v[60:61], v[60:61], v[34:35], v[70:71]
	v_fma_f64 v[32:33], v[62:63], v[34:35], v[32:33]
	ds_read2_b64 v[28:31], v42 offset0:224 offset1:240
	s_waitcnt lgkmcnt(1)
	v_fma_f64 v[40:41], v[36:37], v[56:57], v[40:41]
	v_fma_f64 v[56:57], v[38:39], v[56:57], v[68:69]
	v_fma_f64 v[60:61], v[36:37], v[64:65], v[60:61]
	v_fma_f64 v[62:63], v[38:39], v[64:65], v[32:33]
	ds_read_b128 v[32:35], v44 offset:64
	ds_read2_b64 v[36:39], v51 offset1:16
	s_waitcnt lgkmcnt(2)
	v_fma_f64 v[40:41], v[28:29], v[58:59], v[40:41]
	v_fma_f64 v[68:69], v[30:31], v[58:59], v[56:57]
	v_fma_f64 v[70:71], v[28:29], v[66:67], v[60:61]
	v_fma_f64 v[72:73], v[30:31], v[66:67], v[62:63]
	ds_read_b128 v[28:31], v44 offset:4160
	ds_read2_b64 v[56:59], v51 offset0:32 offset1:48
	ds_read_b128 v[60:63], v44 offset:80
	ds_read_b128 v[64:67], v44 offset:4176
	s_waitcnt lgkmcnt(4)
	v_fma_f64 v[40:41], v[36:37], v[32:33], v[40:41]
	v_fma_f64 v[32:33], v[38:39], v[32:33], v[68:69]
	s_waitcnt lgkmcnt(3)
	v_fma_f64 v[68:69], v[36:37], v[28:29], v[70:71]
	v_fma_f64 v[28:29], v[38:39], v[28:29], v[72:73]
	ds_read2_b64 v[36:39], v51 offset0:64 offset1:80
	s_waitcnt lgkmcnt(3)
	v_fma_f64 v[40:41], v[56:57], v[34:35], v[40:41]
	v_fma_f64 v[32:33], v[58:59], v[34:35], v[32:33]
	v_fma_f64 v[34:35], v[56:57], v[30:31], v[68:69]
	v_fma_f64 v[56:57], v[58:59], v[30:31], v[28:29]
	ds_read2_b64 v[28:31], v51 offset0:96 offset1:112
	s_waitcnt lgkmcnt(1)
	v_fma_f64 v[40:41], v[36:37], v[60:61], v[40:41]
	v_fma_f64 v[58:59], v[38:39], v[60:61], v[32:33]
	v_fma_f64 v[60:61], v[36:37], v[64:65], v[34:35]
	v_fma_f64 v[56:57], v[38:39], v[64:65], v[56:57]
	ds_read_b128 v[32:35], v44 offset:96
	ds_read2_b64 v[36:39], v51 offset0:128 offset1:144
	s_waitcnt lgkmcnt(2)
	v_fma_f64 v[40:41], v[28:29], v[62:63], v[40:41]
	v_fma_f64 v[68:69], v[30:31], v[62:63], v[58:59]
	v_fma_f64 v[70:71], v[28:29], v[66:67], v[60:61]
	v_fma_f64 v[72:73], v[30:31], v[66:67], v[56:57]
	ds_read_b128 v[28:31], v44 offset:4192
	ds_read2_b64 v[56:59], v51 offset0:160 offset1:176
	ds_read_b128 v[60:63], v44 offset:112
	ds_read_b128 v[64:67], v44 offset:4208
	s_waitcnt lgkmcnt(4)
	v_fma_f64 v[40:41], v[36:37], v[32:33], v[40:41]
	v_fma_f64 v[32:33], v[38:39], v[32:33], v[68:69]
	s_waitcnt lgkmcnt(3)
	v_fma_f64 v[68:69], v[36:37], v[28:29], v[70:71]
	v_fma_f64 v[28:29], v[38:39], v[28:29], v[72:73]
	ds_read2_b64 v[36:39], v51 offset0:192 offset1:208
	s_waitcnt lgkmcnt(3)
	v_fma_f64 v[40:41], v[56:57], v[34:35], v[40:41]
	v_fma_f64 v[32:33], v[58:59], v[34:35], v[32:33]
	v_fma_f64 v[34:35], v[56:57], v[30:31], v[68:69]
	v_fma_f64 v[56:57], v[58:59], v[30:31], v[28:29]
	ds_read2_b64 v[28:31], v51 offset0:224 offset1:240
	s_waitcnt lgkmcnt(1)
	v_fma_f64 v[40:41], v[36:37], v[60:61], v[40:41]
	v_fma_f64 v[58:59], v[38:39], v[60:61], v[32:33]
	v_fma_f64 v[60:61], v[36:37], v[64:65], v[34:35]
	v_fma_f64 v[56:57], v[38:39], v[64:65], v[56:57]
	ds_read_b128 v[32:35], v44 offset:128
	ds_read2_b64 v[36:39], v52 offset1:16
	s_waitcnt lgkmcnt(2)
	v_fma_f64 v[40:41], v[28:29], v[62:63], v[40:41]
	v_fma_f64 v[68:69], v[30:31], v[62:63], v[58:59]
	v_fma_f64 v[70:71], v[28:29], v[66:67], v[60:61]
	v_fma_f64 v[72:73], v[30:31], v[66:67], v[56:57]
	ds_read_b128 v[28:31], v44 offset:4224
	ds_read2_b64 v[56:59], v52 offset0:32 offset1:48
	ds_read_b128 v[60:63], v44 offset:144
	ds_read_b128 v[64:67], v44 offset:4240
	s_waitcnt lgkmcnt(4)
	v_fma_f64 v[40:41], v[36:37], v[32:33], v[40:41]
	v_fma_f64 v[32:33], v[38:39], v[32:33], v[68:69]
	s_waitcnt lgkmcnt(3)
	v_fma_f64 v[68:69], v[36:37], v[28:29], v[70:71]
	v_fma_f64 v[28:29], v[38:39], v[28:29], v[72:73]
	ds_read2_b64 v[36:39], v52 offset0:64 offset1:80
	s_waitcnt lgkmcnt(3)
	v_fma_f64 v[40:41], v[56:57], v[34:35], v[40:41]
	v_fma_f64 v[32:33], v[58:59], v[34:35], v[32:33]
	v_fma_f64 v[34:35], v[56:57], v[30:31], v[68:69]
	v_fma_f64 v[56:57], v[58:59], v[30:31], v[28:29]
	ds_read2_b64 v[28:31], v52 offset0:96 offset1:112
	s_waitcnt lgkmcnt(1)
	v_fma_f64 v[40:41], v[36:37], v[60:61], v[40:41]
	v_fma_f64 v[58:59], v[38:39], v[60:61], v[32:33]
	v_fma_f64 v[60:61], v[36:37], v[64:65], v[34:35]
	v_fma_f64 v[56:57], v[38:39], v[64:65], v[56:57]
	ds_read_b128 v[32:35], v44 offset:160
	ds_read2_b64 v[36:39], v52 offset0:128 offset1:144
	s_waitcnt lgkmcnt(2)
	v_fma_f64 v[40:41], v[28:29], v[62:63], v[40:41]
	v_fma_f64 v[68:69], v[30:31], v[62:63], v[58:59]
	v_fma_f64 v[70:71], v[28:29], v[66:67], v[60:61]
	v_fma_f64 v[72:73], v[30:31], v[66:67], v[56:57]
	ds_read_b128 v[28:31], v44 offset:4256
	ds_read2_b64 v[56:59], v52 offset0:160 offset1:176
	ds_read_b128 v[60:63], v44 offset:176
	;; [unrolled: 58-line block ×3, first 2 shown]
	ds_read_b128 v[64:67], v44 offset:4336
	s_waitcnt lgkmcnt(4)
	v_fma_f64 v[40:41], v[36:37], v[32:33], v[40:41]
	v_fma_f64 v[32:33], v[38:39], v[32:33], v[68:69]
	s_waitcnt lgkmcnt(3)
	v_fma_f64 v[68:69], v[36:37], v[28:29], v[70:71]
	v_fma_f64 v[28:29], v[38:39], v[28:29], v[72:73]
	ds_read2_b64 v[36:39], v53 offset0:192 offset1:208
	s_waitcnt lgkmcnt(3)
	v_fma_f64 v[40:41], v[56:57], v[34:35], v[40:41]
	v_fma_f64 v[32:33], v[58:59], v[34:35], v[32:33]
	v_fma_f64 v[34:35], v[56:57], v[30:31], v[68:69]
	v_fma_f64 v[28:29], v[58:59], v[30:31], v[28:29]
	ds_read2_b64 v[56:59], v53 offset0:224 offset1:240
	s_waitcnt lgkmcnt(0)
	s_barrier
	buffer_gl0_inv
	v_fma_f64 v[30:31], v[36:37], v[60:61], v[40:41]
	v_fma_f64 v[32:33], v[38:39], v[60:61], v[32:33]
	;; [unrolled: 1-line block ×8, first 2 shown]
	s_cbranch_scc1 .LBB43_43
.LBB43_7:                               ;   Parent Loop BB43_4 Depth=1
                                        ; =>  This Inner Loop Header: Depth=2
	v_add_co_u32 v38, s5, v1, s16
	v_add_co_ci_u32_e64 v39, null, 0, s17, s5
	v_cmp_eq_u64_e64 s8, s[16:17], v[8:9]
                                        ; implicit-def: $vgpr40_vgpr41
	v_cmp_le_i64_e64 s6, s[34:35], v[38:39]
	v_cmp_gt_i64_e64 s5, v[38:39], v[4:5]
	s_and_b32 s21, s26, s8
	v_add_co_u32 v36, s8, v46, s12
	v_add_co_ci_u32_e64 v37, null, s13, v47, s8
	s_or_b32 s9, s6, s5
	s_or_b32 s8, s9, s21
	s_nor_b32 s8, s0, s8
	s_and_saveexec_b32 s9, s8
	s_xor_b32 s8, exec_lo, s9
	s_cbranch_execz .LBB43_9
; %bb.8:                                ;   in Loop: Header=BB43_7 Depth=2
	global_load_dwordx2 v[40:41], v[36:37], off
.LBB43_9:                               ;   in Loop: Header=BB43_7 Depth=2
	s_andn2_saveexec_b32 s8, s8
	s_cbranch_execz .LBB43_11
; %bb.10:                               ;   in Loop: Header=BB43_7 Depth=2
	v_cndmask_b32_e64 v3, 0, 0x3ff00000, s21
	s_waitcnt vmcnt(0)
	v_mov_b32_e32 v41, v3
	v_mov_b32_e32 v40, v2
.LBB43_11:                              ;   in Loop: Header=BB43_7 Depth=2
	s_or_b32 exec_lo, exec_lo, s8
	v_cmp_eq_u64_e64 s8, s[16:17], v[10:11]
	v_cmp_lt_i64_e64 s9, v[6:7], v[38:39]
	s_waitcnt vmcnt(0)
	ds_write_b64 v43, v[40:41]
	s_and_b32 s8, s26, s8
	s_or_b32 s6, s6, s9
	s_or_b32 s6, s6, s8
	s_nor_b32 s6, s3, s6
	s_and_saveexec_b32 s9, s6
	s_xor_b32 s9, exec_lo, s9
	s_cbranch_execz .LBB43_13
; %bb.12:                               ;   in Loop: Header=BB43_7 Depth=2
	v_add_co_u32 v40, s6, v48, s12
	v_add_co_ci_u32_e64 v41, null, s13, v49, s6
	global_load_dwordx2 v[40:41], v[40:41], off
	s_waitcnt vmcnt(0)
	ds_write_b64 v43, v[40:41] offset:128
.LBB43_13:                              ;   in Loop: Header=BB43_7 Depth=2
	s_andn2_saveexec_b32 s6, s9
	s_cbranch_execz .LBB43_19
; %bb.14:                               ;   in Loop: Header=BB43_7 Depth=2
	s_xor_b32 s8, s8, -1
	s_and_saveexec_b32 s9, s8
	s_xor_b32 s8, exec_lo, s9
; %bb.15:                               ;   in Loop: Header=BB43_7 Depth=2
	v_mov_b32_e32 v3, v2
	ds_write_b64 v43, v[2:3] offset:128
; %bb.16:                               ;   in Loop: Header=BB43_7 Depth=2
	s_andn2_saveexec_b32 s8, s8
; %bb.17:                               ;   in Loop: Header=BB43_7 Depth=2
	v_mov_b32_e32 v3, v50
	ds_write_b64 v43, v[2:3] offset:128
; %bb.18:                               ;   in Loop: Header=BB43_7 Depth=2
	s_or_b32 exec_lo, exec_lo, s8
.LBB43_19:                              ;   in Loop: Header=BB43_7 Depth=2
	s_or_b32 exec_lo, exec_lo, s6
	v_add_co_u32 v38, s6, v38, 16
	v_add_co_ci_u32_e64 v39, null, 0, v39, s6
	v_cmp_eq_u64_e64 s8, s[16:17], v[14:15]
	v_cmp_le_i64_e64 s6, s[34:35], v[38:39]
	v_cmp_gt_i64_e64 s9, v[38:39], v[4:5]
                                        ; implicit-def: $vgpr38_vgpr39
	s_and_b32 s8, s26, s8
	s_or_b32 s9, s6, s9
	s_or_b32 s9, s9, s8
	s_nor_b32 s9, s0, s9
	s_and_saveexec_b32 s22, s9
	s_xor_b32 s9, exec_lo, s22
	s_cbranch_execz .LBB43_21
; %bb.20:                               ;   in Loop: Header=BB43_7 Depth=2
	global_load_dwordx2 v[38:39], v[36:37], off offset:128
.LBB43_21:                              ;   in Loop: Header=BB43_7 Depth=2
	s_andn2_saveexec_b32 s9, s9
	s_cbranch_execz .LBB43_23
; %bb.22:                               ;   in Loop: Header=BB43_7 Depth=2
	v_cndmask_b32_e64 v3, 0, 0x3ff00000, s8
	s_waitcnt vmcnt(0)
	v_mov_b32_e32 v39, v3
	v_mov_b32_e32 v38, v2
.LBB43_23:                              ;   in Loop: Header=BB43_7 Depth=2
	s_or_b32 exec_lo, exec_lo, s9
	s_or_b32 s5, s6, s5
	s_waitcnt vmcnt(0)
	ds_write_b64 v43, v[38:39] offset:4096
	s_or_b32 s5, s5, s21
	s_nor_b32 s5, s3, s5
	s_and_saveexec_b32 s6, s5
	s_xor_b32 s6, exec_lo, s6
	s_cbranch_execz .LBB43_25
; %bb.24:                               ;   in Loop: Header=BB43_7 Depth=2
	v_add_co_u32 v36, s5, v48, s12
	v_add_co_ci_u32_e64 v37, null, s13, v49, s5
	global_load_dwordx2 v[36:37], v[36:37], off offset:128
	s_waitcnt vmcnt(0)
	ds_write_b64 v43, v[36:37] offset:4224
.LBB43_25:                              ;   in Loop: Header=BB43_7 Depth=2
	s_andn2_saveexec_b32 s5, s6
	s_cbranch_execz .LBB43_31
; %bb.26:                               ;   in Loop: Header=BB43_7 Depth=2
	s_xor_b32 s6, s21, -1
	s_and_saveexec_b32 s8, s6
	s_xor_b32 s6, exec_lo, s8
; %bb.27:                               ;   in Loop: Header=BB43_7 Depth=2
	v_mov_b32_e32 v3, v2
	ds_write_b64 v43, v[2:3] offset:4224
; %bb.28:                               ;   in Loop: Header=BB43_7 Depth=2
	s_andn2_saveexec_b32 s6, s6
; %bb.29:                               ;   in Loop: Header=BB43_7 Depth=2
	v_mov_b32_e32 v3, v50
	ds_write_b64 v43, v[2:3] offset:4224
; %bb.30:                               ;   in Loop: Header=BB43_7 Depth=2
	s_or_b32 exec_lo, exec_lo, s6
.LBB43_31:                              ;   in Loop: Header=BB43_7 Depth=2
	s_or_b32 exec_lo, exec_lo, s5
	v_add_co_u32 v38, s5, v0, s16
	v_add_co_ci_u32_e64 v39, null, 0, s17, s5
	v_add_co_u32 v36, s6, v24, s12
	v_mov_b32_e32 v40, 0
	v_cmp_gt_i64_e64 s5, s[34:35], v[38:39]
	v_mov_b32_e32 v41, 0
	v_add_co_ci_u32_e64 v37, null, s13, v25, s6
	s_and_b32 s8, vcc_lo, s5
	s_and_saveexec_b32 s6, s8
	s_cbranch_execz .LBB43_33
; %bb.32:                               ;   in Loop: Header=BB43_7 Depth=2
	global_load_dwordx2 v[40:41], v[36:37], off offset:-128
.LBB43_33:                              ;   in Loop: Header=BB43_7 Depth=2
	s_or_b32 exec_lo, exec_lo, s6
	v_cmp_gt_i64_e64 s6, s[14:15], v[38:39]
	s_waitcnt vmcnt(0)
	ds_write_b64 v45, v[40:41]
	s_and_b32 s8, vcc_lo, s6
	s_xor_b32 s8, s8, -1
	s_and_saveexec_b32 s9, s8
	s_xor_b32 s8, exec_lo, s9
; %bb.34:                               ;   in Loop: Header=BB43_7 Depth=2
	v_mov_b32_e32 v3, v2
                                        ; implicit-def: $vgpr36_vgpr37
	ds_write_b64 v45, v[2:3] offset:128
; %bb.35:                               ;   in Loop: Header=BB43_7 Depth=2
	s_andn2_saveexec_b32 s8, s8
	s_cbranch_execz .LBB43_37
; %bb.36:                               ;   in Loop: Header=BB43_7 Depth=2
	global_load_dwordx2 v[36:37], v[36:37], off
	s_waitcnt vmcnt(0)
	ds_write_b64 v45, v[36:37] offset:128
.LBB43_37:                              ;   in Loop: Header=BB43_7 Depth=2
	s_or_b32 exec_lo, exec_lo, s8
	v_add_co_u32 v36, s8, v26, s12
	v_mov_b32_e32 v38, 0
	v_mov_b32_e32 v39, 0
	v_add_co_ci_u32_e64 v37, null, s13, v27, s8
	s_and_b32 s8, s4, s5
	s_and_saveexec_b32 s5, s8
	s_cbranch_execz .LBB43_39
; %bb.38:                               ;   in Loop: Header=BB43_7 Depth=2
	global_load_dwordx2 v[38:39], v[36:37], off
.LBB43_39:                              ;   in Loop: Header=BB43_7 Depth=2
	s_or_b32 exec_lo, exec_lo, s5
	s_and_b32 s5, s4, s6
	s_waitcnt vmcnt(0)
	ds_write_b64 v45, v[38:39] offset:4096
	s_xor_b32 s5, s5, -1
	s_and_saveexec_b32 s6, s5
	s_xor_b32 s5, exec_lo, s6
; %bb.40:                               ;   in Loop: Header=BB43_7 Depth=2
	v_mov_b32_e32 v3, v2
                                        ; implicit-def: $vgpr36_vgpr37
	ds_write_b64 v45, v[2:3] offset:4224
; %bb.41:                               ;   in Loop: Header=BB43_7 Depth=2
	s_andn2_saveexec_b32 s5, s5
	s_cbranch_execz .LBB43_6
; %bb.42:                               ;   in Loop: Header=BB43_7 Depth=2
	global_load_dwordx2 v[36:37], v[36:37], off offset:128
	s_waitcnt vmcnt(0)
	ds_write_b64 v45, v[36:37] offset:4224
	s_branch .LBB43_6
.LBB43_43:                              ;   in Loop: Header=BB43_4 Depth=1
	v_mul_lo_u32 v3, s41, v54
	v_mul_lo_u32 v21, s40, v55
	v_mad_u64_u32 v[24:25], null, s40, v54, 0
	v_cmp_gt_i32_e32 vcc_lo, s30, v54
	v_add3_u32 v25, v25, v21, v3
	v_lshlrev_b64 v[24:25], 3, v[24:25]
	v_add_co_u32 v3, s4, s27, v24
	v_add_co_ci_u32_e64 v21, null, s36, v25, s4
	s_and_b32 s4, s1, vcc_lo
	s_and_saveexec_b32 s5, s4
	s_cbranch_execz .LBB43_45
; %bb.44:                               ;   in Loop: Header=BB43_4 Depth=1
	v_add_co_u32 v24, s4, v3, v12
	v_add_co_ci_u32_e64 v25, null, v21, v13, s4
	global_load_dwordx2 v[26:27], v[24:25], off
	s_waitcnt vmcnt(0)
	v_fma_f64 v[26:27], s[10:11], v[34:35], v[26:27]
	global_store_dwordx2 v[24:25], v[26:27], off
.LBB43_45:                              ;   in Loop: Header=BB43_4 Depth=1
	s_or_b32 exec_lo, exec_lo, s5
	s_and_b32 s5, s2, vcc_lo
	s_and_saveexec_b32 s4, s5
	s_cbranch_execz .LBB43_47
; %bb.46:                               ;   in Loop: Header=BB43_4 Depth=1
	v_add_co_u32 v24, vcc_lo, v3, v22
	v_add_co_ci_u32_e64 v25, null, v21, v23, vcc_lo
	global_load_dwordx2 v[26:27], v[24:25], off
	s_waitcnt vmcnt(0)
	v_fma_f64 v[26:27], s[10:11], v[32:33], v[26:27]
	global_store_dwordx2 v[24:25], v[26:27], off
.LBB43_47:                              ;   in Loop: Header=BB43_4 Depth=1
	s_or_b32 exec_lo, exec_lo, s4
	v_add_nc_u32_e32 v3, 16, v54
	v_ashrrev_i32_e32 v21, 31, v3
	v_mul_lo_u32 v26, s41, v3
	v_mad_u64_u32 v[24:25], null, s40, v3, 0
	v_cmp_gt_i32_e32 vcc_lo, s30, v3
	v_mul_lo_u32 v21, s40, v21
	v_add3_u32 v25, v25, v21, v26
	v_lshlrev_b64 v[24:25], 3, v[24:25]
	v_add_co_u32 v3, s4, s27, v24
	v_add_co_ci_u32_e64 v21, null, s36, v25, s4
	s_and_b32 s4, s1, vcc_lo
	s_and_saveexec_b32 s5, s4
	s_cbranch_execz .LBB43_49
; %bb.48:                               ;   in Loop: Header=BB43_4 Depth=1
	v_add_co_u32 v24, s4, v3, v12
	v_add_co_ci_u32_e64 v25, null, v21, v13, s4
	global_load_dwordx2 v[26:27], v[24:25], off
	s_waitcnt vmcnt(0)
	v_fma_f64 v[26:27], s[10:11], v[30:31], v[26:27]
	global_store_dwordx2 v[24:25], v[26:27], off
.LBB43_49:                              ;   in Loop: Header=BB43_4 Depth=1
	s_or_b32 exec_lo, exec_lo, s5
	s_and_b32 s5, s2, vcc_lo
	s_and_saveexec_b32 s4, s5
	s_cbranch_execz .LBB43_3
; %bb.50:                               ;   in Loop: Header=BB43_4 Depth=1
	v_add_co_u32 v24, vcc_lo, v3, v22
	v_add_co_ci_u32_e64 v25, null, v21, v23, vcc_lo
	global_load_dwordx2 v[26:27], v[24:25], off
	s_waitcnt vmcnt(0)
	v_fma_f64 v[26:27], s[10:11], v[28:29], v[26:27]
	global_store_dwordx2 v[24:25], v[26:27], off
	s_branch .LBB43_3
.LBB43_51:
	s_endpgm
	.section	.rodata,"a",@progbits
	.p2align	6, 0x0
	.amdhsa_kernel _ZL30rocblas_trmm_outofplace_kernelIdLi32ELi2ELb1ELb1ELb1ELb0EdKddEv17rocblas_diagonal_iiT6_lPT7_lllS4_lllPT8_llli
		.amdhsa_group_segment_fixed_size 16384
		.amdhsa_private_segment_fixed_size 0
		.amdhsa_kernarg_size 392
		.amdhsa_user_sgpr_count 6
		.amdhsa_user_sgpr_private_segment_buffer 1
		.amdhsa_user_sgpr_dispatch_ptr 0
		.amdhsa_user_sgpr_queue_ptr 0
		.amdhsa_user_sgpr_kernarg_segment_ptr 1
		.amdhsa_user_sgpr_dispatch_id 0
		.amdhsa_user_sgpr_flat_scratch_init 0
		.amdhsa_user_sgpr_private_segment_size 0
		.amdhsa_wavefront_size32 1
		.amdhsa_uses_dynamic_stack 0
		.amdhsa_system_sgpr_private_segment_wavefront_offset 0
		.amdhsa_system_sgpr_workgroup_id_x 1
		.amdhsa_system_sgpr_workgroup_id_y 1
		.amdhsa_system_sgpr_workgroup_id_z 1
		.amdhsa_system_sgpr_workgroup_info 0
		.amdhsa_system_vgpr_workitem_id 1
		.amdhsa_next_free_vgpr 76
		.amdhsa_next_free_sgpr 46
		.amdhsa_reserve_vcc 1
		.amdhsa_reserve_flat_scratch 0
		.amdhsa_float_round_mode_32 0
		.amdhsa_float_round_mode_16_64 0
		.amdhsa_float_denorm_mode_32 3
		.amdhsa_float_denorm_mode_16_64 3
		.amdhsa_dx10_clamp 1
		.amdhsa_ieee_mode 1
		.amdhsa_fp16_overflow 0
		.amdhsa_workgroup_processor_mode 1
		.amdhsa_memory_ordered 1
		.amdhsa_forward_progress 1
		.amdhsa_shared_vgpr_count 0
		.amdhsa_exception_fp_ieee_invalid_op 0
		.amdhsa_exception_fp_denorm_src 0
		.amdhsa_exception_fp_ieee_div_zero 0
		.amdhsa_exception_fp_ieee_overflow 0
		.amdhsa_exception_fp_ieee_underflow 0
		.amdhsa_exception_fp_ieee_inexact 0
		.amdhsa_exception_int_div_zero 0
	.end_amdhsa_kernel
	.section	.text._ZL30rocblas_trmm_outofplace_kernelIdLi32ELi2ELb1ELb1ELb1ELb0EdKddEv17rocblas_diagonal_iiT6_lPT7_lllS4_lllPT8_llli,"axG",@progbits,_ZL30rocblas_trmm_outofplace_kernelIdLi32ELi2ELb1ELb1ELb1ELb0EdKddEv17rocblas_diagonal_iiT6_lPT7_lllS4_lllPT8_llli,comdat
.Lfunc_end43:
	.size	_ZL30rocblas_trmm_outofplace_kernelIdLi32ELi2ELb1ELb1ELb1ELb0EdKddEv17rocblas_diagonal_iiT6_lPT7_lllS4_lllPT8_llli, .Lfunc_end43-_ZL30rocblas_trmm_outofplace_kernelIdLi32ELi2ELb1ELb1ELb1ELb0EdKddEv17rocblas_diagonal_iiT6_lPT7_lllS4_lllPT8_llli
                                        ; -- End function
	.set _ZL30rocblas_trmm_outofplace_kernelIdLi32ELi2ELb1ELb1ELb1ELb0EdKddEv17rocblas_diagonal_iiT6_lPT7_lllS4_lllPT8_llli.num_vgpr, 76
	.set _ZL30rocblas_trmm_outofplace_kernelIdLi32ELi2ELb1ELb1ELb1ELb0EdKddEv17rocblas_diagonal_iiT6_lPT7_lllS4_lllPT8_llli.num_agpr, 0
	.set _ZL30rocblas_trmm_outofplace_kernelIdLi32ELi2ELb1ELb1ELb1ELb0EdKddEv17rocblas_diagonal_iiT6_lPT7_lllS4_lllPT8_llli.numbered_sgpr, 46
	.set _ZL30rocblas_trmm_outofplace_kernelIdLi32ELi2ELb1ELb1ELb1ELb0EdKddEv17rocblas_diagonal_iiT6_lPT7_lllS4_lllPT8_llli.num_named_barrier, 0
	.set _ZL30rocblas_trmm_outofplace_kernelIdLi32ELi2ELb1ELb1ELb1ELb0EdKddEv17rocblas_diagonal_iiT6_lPT7_lllS4_lllPT8_llli.private_seg_size, 0
	.set _ZL30rocblas_trmm_outofplace_kernelIdLi32ELi2ELb1ELb1ELb1ELb0EdKddEv17rocblas_diagonal_iiT6_lPT7_lllS4_lllPT8_llli.uses_vcc, 1
	.set _ZL30rocblas_trmm_outofplace_kernelIdLi32ELi2ELb1ELb1ELb1ELb0EdKddEv17rocblas_diagonal_iiT6_lPT7_lllS4_lllPT8_llli.uses_flat_scratch, 0
	.set _ZL30rocblas_trmm_outofplace_kernelIdLi32ELi2ELb1ELb1ELb1ELb0EdKddEv17rocblas_diagonal_iiT6_lPT7_lllS4_lllPT8_llli.has_dyn_sized_stack, 0
	.set _ZL30rocblas_trmm_outofplace_kernelIdLi32ELi2ELb1ELb1ELb1ELb0EdKddEv17rocblas_diagonal_iiT6_lPT7_lllS4_lllPT8_llli.has_recursion, 0
	.set _ZL30rocblas_trmm_outofplace_kernelIdLi32ELi2ELb1ELb1ELb1ELb0EdKddEv17rocblas_diagonal_iiT6_lPT7_lllS4_lllPT8_llli.has_indirect_call, 0
	.section	.AMDGPU.csdata,"",@progbits
; Kernel info:
; codeLenInByte = 3828
; TotalNumSgprs: 48
; NumVgprs: 76
; ScratchSize: 0
; MemoryBound: 0
; FloatMode: 240
; IeeeMode: 1
; LDSByteSize: 16384 bytes/workgroup (compile time only)
; SGPRBlocks: 0
; VGPRBlocks: 9
; NumSGPRsForWavesPerEU: 48
; NumVGPRsForWavesPerEU: 76
; Occupancy: 12
; WaveLimiterHint : 0
; COMPUTE_PGM_RSRC2:SCRATCH_EN: 0
; COMPUTE_PGM_RSRC2:USER_SGPR: 6
; COMPUTE_PGM_RSRC2:TRAP_HANDLER: 0
; COMPUTE_PGM_RSRC2:TGID_X_EN: 1
; COMPUTE_PGM_RSRC2:TGID_Y_EN: 1
; COMPUTE_PGM_RSRC2:TGID_Z_EN: 1
; COMPUTE_PGM_RSRC2:TIDIG_COMP_CNT: 1
	.section	.text._ZL30rocblas_trmm_outofplace_kernelIdLi32ELi2ELb1ELb0ELb1ELb1EPKdS0_dEv17rocblas_diagonal_iiT6_lPT7_lllS5_lllPT8_llli,"axG",@progbits,_ZL30rocblas_trmm_outofplace_kernelIdLi32ELi2ELb1ELb0ELb1ELb1EPKdS0_dEv17rocblas_diagonal_iiT6_lPT7_lllS5_lllPT8_llli,comdat
	.globl	_ZL30rocblas_trmm_outofplace_kernelIdLi32ELi2ELb1ELb0ELb1ELb1EPKdS0_dEv17rocblas_diagonal_iiT6_lPT7_lllS5_lllPT8_llli ; -- Begin function _ZL30rocblas_trmm_outofplace_kernelIdLi32ELi2ELb1ELb0ELb1ELb1EPKdS0_dEv17rocblas_diagonal_iiT6_lPT7_lllS5_lllPT8_llli
	.p2align	8
	.type	_ZL30rocblas_trmm_outofplace_kernelIdLi32ELi2ELb1ELb0ELb1ELb1EPKdS0_dEv17rocblas_diagonal_iiT6_lPT7_lllS5_lllPT8_llli,@function
_ZL30rocblas_trmm_outofplace_kernelIdLi32ELi2ELb1ELb0ELb1ELb1EPKdS0_dEv17rocblas_diagonal_iiT6_lPT7_lllS5_lllPT8_llli: ; @_ZL30rocblas_trmm_outofplace_kernelIdLi32ELi2ELb1ELb0ELb1ELb1EPKdS0_dEv17rocblas_diagonal_iiT6_lPT7_lllS5_lllPT8_llli
; %bb.0:
	s_load_dwordx16 s[12:27], s[4:5], 0x10
	s_waitcnt lgkmcnt(0)
	s_mul_i32 s0, s15, s8
	s_mul_hi_u32 s1, s14, s8
	s_add_i32 s1, s1, s0
	s_mul_i32 s0, s14, s8
	s_lshl_b64 s[0:1], s[0:1], 3
	s_add_u32 s0, s12, s0
	s_addc_u32 s1, s13, s1
	s_load_dwordx2 s[10:11], s[0:1], 0x0
	s_waitcnt lgkmcnt(0)
	v_cmp_eq_f64_e64 s0, s[10:11], 0
	s_and_b32 vcc_lo, exec_lo, s0
	s_cbranch_vccnz .LBB44_52
; %bb.1:
	s_load_dwordx4 s[12:15], s[4:5], 0x0
	s_waitcnt lgkmcnt(0)
	s_add_i32 s0, s14, -1
	s_ashr_i32 s1, s0, 31
	s_lshr_b32 s1, s1, 27
	s_add_i32 s0, s0, s1
	s_ashr_i32 s15, s0, 5
	s_cmp_gt_i32 s7, s15
	s_cbranch_scc1 .LBB44_52
; %bb.2:
	s_clause 0x1
	s_load_dwordx4 s[28:31], s[4:5], 0x70
	s_load_dwordx8 s[36:43], s[4:5], 0x50
	s_mul_i32 s1, s23, s8
	s_mul_hi_u32 s2, s22, s8
	s_mul_i32 s0, s22, s8
	s_add_i32 s1, s2, s1
	s_load_dword s33, s[4:5], 0x8c
	s_lshl_b64 s[34:35], s[0:1], 3
	v_lshlrev_b32_e32 v2, 8, v1
	s_add_u32 s0, s16, s34
	s_addc_u32 s1, s17, s35
	s_lshl_b64 s[44:45], s[18:19], 3
	v_lshlrev_b32_e32 v44, 3, v0
	s_add_u32 s3, s0, s44
	s_addc_u32 s4, s1, s45
	v_add_nc_u32_e32 v45, 0x2000, v2
	s_mov_b32 s22, s13
	v_add_nc_u32_e32 v46, v44, v2
	v_mov_b32_e32 v51, 0x3ff00000
	v_add_nc_u32_e32 v52, 0x800, v44
	s_waitcnt lgkmcnt(0)
	s_mul_i32 s1, s31, s8
	s_mul_hi_u32 s2, s30, s8
	s_mul_i32 s0, s30, s8
	s_add_i32 s1, s2, s1
	v_add_nc_u32_e32 v53, 0x1000, v44
	s_lshl_b64 s[0:1], s[0:1], 3
	v_add_nc_u32_e32 v54, 0x1800, v44
	s_add_u32 s2, s40, s0
	s_addc_u32 s5, s41, s1
	s_lshl_b64 s[0:1], s[42:43], 3
	s_add_u32 s30, s2, s0
	s_addc_u32 s31, s5, s1
	s_lshl_b32 s0, s6, 5
	s_mul_hi_u32 s5, s38, s8
	v_add_nc_u32_e32 v2, s0, v0
	v_add_nc_u32_e32 v4, s0, v1
	s_sub_i32 s40, s13, s0
	v_add_nc_u32_e32 v0, v45, v44
	s_cmp_gt_i32 s40, 0
	v_ashrrev_i32_e32 v3, 31, v2
	v_mul_lo_u32 v9, s21, v2
	v_mad_u64_u32 v[7:8], null, s20, v2, 0
	v_ashrrev_i32_e32 v5, 31, v4
	v_mul_lo_u32 v10, s20, v3
	s_cselect_b32 s41, -1, 0
	s_cmpk_eq_i32 s12, 0x84
	v_lshlrev_b64 v[14:15], 3, v[2:3]
	v_lshlrev_b64 v[22:23], 3, v[4:5]
	s_cselect_b32 s42, -1, 0
	s_ashr_i32 s23, s13, 31
	s_ashr_i32 s43, s14, 31
	v_add3_u32 v8, v8, v10, v9
	s_add_u32 s18, s13, -16
	s_addc_u32 s19, s23, -1
	v_add_nc_u32_e32 v6, 16, v2
	v_cmp_le_i32_e64 s0, s13, v2
	v_lshlrev_b64 v[10:11], 3, v[7:8]
	v_add_co_u32 v8, vcc_lo, v2, 16
	v_add_co_ci_u32_e64 v9, null, 0, v3, vcc_lo
	v_cmp_gt_i32_e64 s1, s13, v2
	v_add_co_u32 v7, vcc_lo, s3, v10
	v_add_co_ci_u32_e64 v10, null, s4, v11, vcc_lo
	s_mul_i32 s4, s39, s8
	v_add_co_u32 v47, vcc_lo, v7, v22
	v_add_co_ci_u32_e64 v48, null, v10, v23, vcc_lo
	v_sub_co_u32 v10, vcc_lo, v2, v4
	v_sub_co_ci_u32_e64 v11, null, v3, v5, vcc_lo
	s_add_i32 s5, s5, s4
	s_mul_i32 s4, s38, s8
	s_lshl_b64 s[8:9], s[26:27], 3
	s_lshl_b64 s[4:5], s[4:5], 3
	v_add_co_u32 v12, vcc_lo, v10, 16
	v_add_co_ci_u32_e64 v13, null, 0, v11, vcc_lo
	s_add_u32 s4, s4, s8
	v_add_co_u32 v16, vcc_lo, 0x80, v14
	s_addc_u32 s5, s5, s9
	s_add_u32 s6, s24, s4
	v_add_co_ci_u32_e64 v17, null, 0, v15, vcc_lo
	v_cmp_gt_i32_e64 s2, s13, v6
	s_addc_u32 s8, s25, s5
	s_lshl_b64 s[12:13], s[36:37], 3
	s_lshl_b32 s24, s33, 5
	s_add_u32 s4, s44, s34
	s_addc_u32 s5, s45, s35
	v_mul_lo_u32 v20, s20, v17
	v_mad_u64_u32 v[24:25], null, s20, v16, s[4:5]
	v_mul_lo_u32 v21, s21, v16
	v_add_co_u32 v16, vcc_lo, v10, -16
	v_add_co_ci_u32_e64 v17, null, -1, v11, vcc_lo
	v_add_co_u32 v18, vcc_lo, s6, v14
	v_add_co_ci_u32_e64 v19, null, s8, v15, vcc_lo
	v_add3_u32 v25, v21, v25, v20
	v_add_co_u32 v20, vcc_lo, 0x80, v18
	v_add_co_ci_u32_e64 v21, null, 0, v19, vcc_lo
	v_add_co_u32 v24, vcc_lo, v24, v22
	v_add_co_ci_u32_e64 v23, null, v25, v23, vcc_lo
	v_cmp_le_i64_e64 s3, s[22:23], v[8:9]
	v_add_co_u32 v49, vcc_lo, s16, v24
	v_ashrrev_i32_e32 v7, 31, v6
	v_lshl_add_u32 v22, s7, 5, v1
	v_add_co_ci_u32_e64 v50, null, s17, v23, vcc_lo
	v_mov_b32_e32 v24, 0
	s_branch .LBB44_4
.LBB44_3:                               ;   in Loop: Header=BB44_4 Depth=1
	s_or_b32 exec_lo, exec_lo, s4
	v_add_nc_u32_e32 v22, s24, v22
	s_add_i32 s7, s33, s7
	s_cmp_le_i32 s7, s15
	s_cbranch_scc0 .LBB44_52
.LBB44_4:                               ; =>This Loop Header: Depth=1
                                        ;     Child Loop BB44_7 Depth 2
	v_lshl_add_u32 v55, s7, 5, v1
	s_andn2_b32 vcc_lo, exec_lo, s41
	v_ashrrev_i32_e32 v56, 31, v55
	s_cbranch_vccnz .LBB44_43
; %bb.5:                                ;   in Loop: Header=BB44_4 Depth=1
	v_ashrrev_i32_e32 v23, 31, v22
	v_mad_u64_u32 v[26:27], null, s12, v22, v[20:21]
	v_mul_lo_u32 v25, s13, v22
	v_mov_b32_e32 v32, 0
	v_lshlrev_b64 v[28:29], 3, v[22:23]
	v_mul_lo_u32 v23, s12, v23
	v_mov_b32_e32 v34, 0
	v_mov_b32_e32 v36, 0
	v_mov_b32_e32 v33, 0
	v_mov_b32_e32 v35, 0
	v_add_co_u32 v28, vcc_lo, 0x80, v28
	v_add_co_ci_u32_e64 v29, null, 0, v29, vcc_lo
	v_sub_co_u32 v30, vcc_lo, s14, v55
	v_mul_lo_u32 v39, s37, v28
	v_mul_lo_u32 v38, s36, v29
	v_mad_u64_u32 v[28:29], null, s36, v28, v[18:19]
	v_sub_co_ci_u32_e64 v31, null, s43, v56, vcc_lo
	v_add3_u32 v27, v25, v27, v23
	v_mov_b32_e32 v37, 0
	s_mov_b64 s[16:17], 0
	v_cmp_lt_i64_e32 vcc_lo, 0, v[30:31]
	v_cmp_lt_i64_e64 s4, 16, v[30:31]
	v_mov_b32_e32 v30, 0
	v_mov_b32_e32 v31, 0
	v_add3_u32 v29, v39, v29, v38
	s_mov_b64 s[20:21], 0
	s_branch .LBB44_7
.LBB44_6:                               ;   in Loop: Header=BB44_7 Depth=2
	s_or_b32 exec_lo, exec_lo, s5
	s_waitcnt lgkmcnt(0)
	s_barrier
	buffer_gl0_inv
	ds_read_b128 v[38:41], v45
	ds_read2_b64 v[57:60], v44 offset1:16
	ds_read_b128 v[61:64], v45 offset:4096
	ds_read_b128 v[65:68], v45 offset:16
	ds_read2_b64 v[69:72], v44 offset0:32 offset1:48
	ds_read_b128 v[73:76], v45 offset:4112
	s_add_u32 s20, s20, 32
	s_addc_u32 s21, s21, 0
	s_add_u32 s16, s16, 0x100
	s_addc_u32 s17, s17, 0
	s_cmp_ge_i32 s20, s40
	s_waitcnt lgkmcnt(4)
	v_fma_f64 v[36:37], v[57:58], v[38:39], v[36:37]
	v_fma_f64 v[34:35], v[59:60], v[38:39], v[34:35]
	s_waitcnt lgkmcnt(3)
	v_fma_f64 v[38:39], v[57:58], v[61:62], v[32:33]
	v_fma_f64 v[42:43], v[59:60], v[61:62], v[30:31]
	ds_read2_b64 v[30:33], v44 offset0:64 offset1:80
	s_waitcnt lgkmcnt(2)
	v_fma_f64 v[57:58], v[69:70], v[40:41], v[36:37]
	v_fma_f64 v[40:41], v[71:72], v[40:41], v[34:35]
	;; [unrolled: 1-line block ×4, first 2 shown]
	ds_read2_b64 v[34:37], v44 offset0:96 offset1:112
	s_waitcnt lgkmcnt(1)
	v_fma_f64 v[57:58], v[30:31], v[65:66], v[57:58]
	v_fma_f64 v[59:60], v[32:33], v[65:66], v[40:41]
	v_fma_f64 v[61:62], v[30:31], v[73:74], v[38:39]
	v_fma_f64 v[42:43], v[32:33], v[73:74], v[42:43]
	ds_read_b128 v[30:33], v45 offset:32
	ds_read2_b64 v[38:41], v44 offset0:128 offset1:144
	s_waitcnt lgkmcnt(2)
	v_fma_f64 v[69:70], v[34:35], v[67:68], v[57:58]
	v_fma_f64 v[71:72], v[36:37], v[67:68], v[59:60]
	;; [unrolled: 1-line block ×4, first 2 shown]
	ds_read_b128 v[34:37], v45 offset:4128
	ds_read_b128 v[57:60], v45 offset:48
	ds_read2_b64 v[61:64], v44 offset0:160 offset1:176
	ds_read_b128 v[65:68], v45 offset:4144
	s_waitcnt lgkmcnt(4)
	v_fma_f64 v[69:70], v[38:39], v[30:31], v[69:70]
	v_fma_f64 v[30:31], v[40:41], v[30:31], v[71:72]
	s_waitcnt lgkmcnt(3)
	v_fma_f64 v[71:72], v[38:39], v[34:35], v[73:74]
	v_fma_f64 v[34:35], v[40:41], v[34:35], v[42:43]
	ds_read2_b64 v[38:41], v44 offset0:192 offset1:208
	s_waitcnt lgkmcnt(2)
	v_fma_f64 v[42:43], v[61:62], v[32:33], v[69:70]
	v_fma_f64 v[69:70], v[63:64], v[32:33], v[30:31]
	v_fma_f64 v[61:62], v[61:62], v[36:37], v[71:72]
	v_fma_f64 v[34:35], v[63:64], v[36:37], v[34:35]
	ds_read2_b64 v[30:33], v44 offset0:224 offset1:240
	s_waitcnt lgkmcnt(1)
	v_fma_f64 v[42:43], v[38:39], v[57:58], v[42:43]
	v_fma_f64 v[57:58], v[40:41], v[57:58], v[69:70]
	v_fma_f64 v[61:62], v[38:39], v[65:66], v[61:62]
	v_fma_f64 v[63:64], v[40:41], v[65:66], v[34:35]
	ds_read_b128 v[34:37], v45 offset:64
	ds_read2_b64 v[38:41], v52 offset1:16
	s_waitcnt lgkmcnt(2)
	v_fma_f64 v[42:43], v[30:31], v[59:60], v[42:43]
	v_fma_f64 v[69:70], v[32:33], v[59:60], v[57:58]
	v_fma_f64 v[71:72], v[30:31], v[67:68], v[61:62]
	v_fma_f64 v[73:74], v[32:33], v[67:68], v[63:64]
	ds_read_b128 v[30:33], v45 offset:4160
	ds_read2_b64 v[57:60], v52 offset0:32 offset1:48
	ds_read_b128 v[61:64], v45 offset:80
	ds_read_b128 v[65:68], v45 offset:4176
	s_waitcnt lgkmcnt(4)
	v_fma_f64 v[42:43], v[38:39], v[34:35], v[42:43]
	v_fma_f64 v[34:35], v[40:41], v[34:35], v[69:70]
	s_waitcnt lgkmcnt(3)
	v_fma_f64 v[69:70], v[38:39], v[30:31], v[71:72]
	v_fma_f64 v[30:31], v[40:41], v[30:31], v[73:74]
	ds_read2_b64 v[38:41], v52 offset0:64 offset1:80
	s_waitcnt lgkmcnt(3)
	v_fma_f64 v[42:43], v[57:58], v[36:37], v[42:43]
	v_fma_f64 v[34:35], v[59:60], v[36:37], v[34:35]
	v_fma_f64 v[36:37], v[57:58], v[32:33], v[69:70]
	v_fma_f64 v[57:58], v[59:60], v[32:33], v[30:31]
	ds_read2_b64 v[30:33], v52 offset0:96 offset1:112
	s_waitcnt lgkmcnt(1)
	v_fma_f64 v[42:43], v[38:39], v[61:62], v[42:43]
	v_fma_f64 v[59:60], v[40:41], v[61:62], v[34:35]
	v_fma_f64 v[61:62], v[38:39], v[65:66], v[36:37]
	v_fma_f64 v[57:58], v[40:41], v[65:66], v[57:58]
	ds_read_b128 v[34:37], v45 offset:96
	ds_read2_b64 v[38:41], v52 offset0:128 offset1:144
	s_waitcnt lgkmcnt(2)
	v_fma_f64 v[42:43], v[30:31], v[63:64], v[42:43]
	v_fma_f64 v[69:70], v[32:33], v[63:64], v[59:60]
	v_fma_f64 v[71:72], v[30:31], v[67:68], v[61:62]
	v_fma_f64 v[73:74], v[32:33], v[67:68], v[57:58]
	ds_read_b128 v[30:33], v45 offset:4192
	ds_read2_b64 v[57:60], v52 offset0:160 offset1:176
	ds_read_b128 v[61:64], v45 offset:112
	ds_read_b128 v[65:68], v45 offset:4208
	s_waitcnt lgkmcnt(4)
	v_fma_f64 v[42:43], v[38:39], v[34:35], v[42:43]
	v_fma_f64 v[34:35], v[40:41], v[34:35], v[69:70]
	s_waitcnt lgkmcnt(3)
	v_fma_f64 v[69:70], v[38:39], v[30:31], v[71:72]
	v_fma_f64 v[30:31], v[40:41], v[30:31], v[73:74]
	ds_read2_b64 v[38:41], v52 offset0:192 offset1:208
	s_waitcnt lgkmcnt(3)
	v_fma_f64 v[42:43], v[57:58], v[36:37], v[42:43]
	v_fma_f64 v[34:35], v[59:60], v[36:37], v[34:35]
	v_fma_f64 v[36:37], v[57:58], v[32:33], v[69:70]
	v_fma_f64 v[57:58], v[59:60], v[32:33], v[30:31]
	ds_read2_b64 v[30:33], v52 offset0:224 offset1:240
	s_waitcnt lgkmcnt(1)
	v_fma_f64 v[42:43], v[38:39], v[61:62], v[42:43]
	v_fma_f64 v[59:60], v[40:41], v[61:62], v[34:35]
	v_fma_f64 v[61:62], v[38:39], v[65:66], v[36:37]
	v_fma_f64 v[57:58], v[40:41], v[65:66], v[57:58]
	ds_read_b128 v[34:37], v45 offset:128
	ds_read2_b64 v[38:41], v53 offset1:16
	s_waitcnt lgkmcnt(2)
	v_fma_f64 v[42:43], v[30:31], v[63:64], v[42:43]
	v_fma_f64 v[69:70], v[32:33], v[63:64], v[59:60]
	v_fma_f64 v[71:72], v[30:31], v[67:68], v[61:62]
	v_fma_f64 v[73:74], v[32:33], v[67:68], v[57:58]
	ds_read_b128 v[30:33], v45 offset:4224
	ds_read2_b64 v[57:60], v53 offset0:32 offset1:48
	ds_read_b128 v[61:64], v45 offset:144
	ds_read_b128 v[65:68], v45 offset:4240
	s_waitcnt lgkmcnt(4)
	v_fma_f64 v[42:43], v[38:39], v[34:35], v[42:43]
	v_fma_f64 v[34:35], v[40:41], v[34:35], v[69:70]
	s_waitcnt lgkmcnt(3)
	v_fma_f64 v[69:70], v[38:39], v[30:31], v[71:72]
	v_fma_f64 v[30:31], v[40:41], v[30:31], v[73:74]
	ds_read2_b64 v[38:41], v53 offset0:64 offset1:80
	s_waitcnt lgkmcnt(3)
	v_fma_f64 v[42:43], v[57:58], v[36:37], v[42:43]
	v_fma_f64 v[34:35], v[59:60], v[36:37], v[34:35]
	v_fma_f64 v[36:37], v[57:58], v[32:33], v[69:70]
	v_fma_f64 v[57:58], v[59:60], v[32:33], v[30:31]
	ds_read2_b64 v[30:33], v53 offset0:96 offset1:112
	s_waitcnt lgkmcnt(1)
	v_fma_f64 v[42:43], v[38:39], v[61:62], v[42:43]
	v_fma_f64 v[59:60], v[40:41], v[61:62], v[34:35]
	v_fma_f64 v[61:62], v[38:39], v[65:66], v[36:37]
	v_fma_f64 v[57:58], v[40:41], v[65:66], v[57:58]
	ds_read_b128 v[34:37], v45 offset:160
	ds_read2_b64 v[38:41], v53 offset0:128 offset1:144
	s_waitcnt lgkmcnt(2)
	v_fma_f64 v[42:43], v[30:31], v[63:64], v[42:43]
	v_fma_f64 v[69:70], v[32:33], v[63:64], v[59:60]
	v_fma_f64 v[71:72], v[30:31], v[67:68], v[61:62]
	v_fma_f64 v[73:74], v[32:33], v[67:68], v[57:58]
	ds_read_b128 v[30:33], v45 offset:4256
	ds_read2_b64 v[57:60], v53 offset0:160 offset1:176
	ds_read_b128 v[61:64], v45 offset:176
	;; [unrolled: 58-line block ×3, first 2 shown]
	ds_read_b128 v[65:68], v45 offset:4336
	s_waitcnt lgkmcnt(4)
	v_fma_f64 v[42:43], v[38:39], v[34:35], v[42:43]
	v_fma_f64 v[34:35], v[40:41], v[34:35], v[69:70]
	s_waitcnt lgkmcnt(3)
	v_fma_f64 v[69:70], v[38:39], v[30:31], v[71:72]
	v_fma_f64 v[30:31], v[40:41], v[30:31], v[73:74]
	ds_read2_b64 v[38:41], v54 offset0:192 offset1:208
	s_waitcnt lgkmcnt(3)
	v_fma_f64 v[42:43], v[57:58], v[36:37], v[42:43]
	v_fma_f64 v[34:35], v[59:60], v[36:37], v[34:35]
	;; [unrolled: 1-line block ×4, first 2 shown]
	ds_read2_b64 v[57:60], v54 offset0:224 offset1:240
	s_waitcnt lgkmcnt(0)
	s_barrier
	buffer_gl0_inv
	v_fma_f64 v[32:33], v[38:39], v[61:62], v[42:43]
	v_fma_f64 v[34:35], v[40:41], v[61:62], v[34:35]
	;; [unrolled: 1-line block ×8, first 2 shown]
	s_cbranch_scc1 .LBB44_44
.LBB44_7:                               ;   Parent Loop BB44_4 Depth=1
                                        ; =>  This Inner Loop Header: Depth=2
	v_add_co_u32 v40, s5, v4, s20
	v_add_co_ci_u32_e64 v41, null, s21, v5, s5
	v_cmp_eq_u64_e64 s8, s[20:21], v[10:11]
                                        ; implicit-def: $vgpr42_vgpr43
	v_cmp_le_i64_e64 s6, s[22:23], v[40:41]
	v_cmp_lt_i64_e64 s5, v[40:41], v[2:3]
	s_and_b32 s25, s42, s8
	v_add_co_u32 v38, s8, v47, s16
	v_add_co_ci_u32_e64 v39, null, s17, v48, s8
	s_or_b32 s9, s6, s5
	s_or_b32 s8, s9, s25
	s_nor_b32 s8, s0, s8
	s_and_saveexec_b32 s9, s8
	s_xor_b32 s8, exec_lo, s9
	s_cbranch_execz .LBB44_9
; %bb.8:                                ;   in Loop: Header=BB44_7 Depth=2
	global_load_dwordx2 v[42:43], v[38:39], off
.LBB44_9:                               ;   in Loop: Header=BB44_7 Depth=2
	s_andn2_saveexec_b32 s8, s8
	s_cbranch_execz .LBB44_11
; %bb.10:                               ;   in Loop: Header=BB44_7 Depth=2
	v_cndmask_b32_e64 v25, 0, 0x3ff00000, s25
	s_waitcnt vmcnt(0)
	v_mov_b32_e32 v43, v25
	v_mov_b32_e32 v42, v24
.LBB44_11:                              ;   in Loop: Header=BB44_7 Depth=2
	s_or_b32 exec_lo, exec_lo, s8
	v_cmp_eq_u64_e64 s8, s[20:21], v[12:13]
	v_cmp_gt_i64_e64 s9, v[8:9], v[40:41]
	s_waitcnt vmcnt(0)
	ds_write_b64 v46, v[42:43]
	s_and_b32 s8, s42, s8
	s_or_b32 s6, s6, s9
	s_or_b32 s6, s6, s8
	s_nor_b32 s6, s3, s6
	s_and_saveexec_b32 s9, s6
	s_xor_b32 s9, exec_lo, s9
	s_cbranch_execz .LBB44_13
; %bb.12:                               ;   in Loop: Header=BB44_7 Depth=2
	v_add_co_u32 v42, s6, v49, s16
	v_add_co_ci_u32_e64 v43, null, s17, v50, s6
	global_load_dwordx2 v[42:43], v[42:43], off
	s_waitcnt vmcnt(0)
	ds_write_b64 v46, v[42:43] offset:128
.LBB44_13:                              ;   in Loop: Header=BB44_7 Depth=2
	s_andn2_saveexec_b32 s6, s9
	s_cbranch_execz .LBB44_19
; %bb.14:                               ;   in Loop: Header=BB44_7 Depth=2
	s_xor_b32 s8, s8, -1
	s_and_saveexec_b32 s9, s8
	s_xor_b32 s8, exec_lo, s9
; %bb.15:                               ;   in Loop: Header=BB44_7 Depth=2
	v_mov_b32_e32 v25, v24
	ds_write_b64 v46, v[24:25] offset:128
; %bb.16:                               ;   in Loop: Header=BB44_7 Depth=2
	s_andn2_saveexec_b32 s8, s8
; %bb.17:                               ;   in Loop: Header=BB44_7 Depth=2
	v_mov_b32_e32 v25, v51
	ds_write_b64 v46, v[24:25] offset:128
; %bb.18:                               ;   in Loop: Header=BB44_7 Depth=2
	s_or_b32 exec_lo, exec_lo, s8
.LBB44_19:                              ;   in Loop: Header=BB44_7 Depth=2
	s_or_b32 exec_lo, exec_lo, s6
	v_add_co_u32 v40, s6, v40, 16
	v_add_co_ci_u32_e64 v41, null, 0, v41, s6
	v_cmp_eq_u64_e64 s8, s[20:21], v[16:17]
	v_cmp_le_i64_e64 s6, s[22:23], v[40:41]
	v_cmp_lt_i64_e64 s9, v[40:41], v[2:3]
                                        ; implicit-def: $vgpr40_vgpr41
	s_and_b32 s8, s42, s8
	s_or_b32 s9, s6, s9
	s_or_b32 s9, s9, s8
	s_nor_b32 s9, s0, s9
	s_and_saveexec_b32 s26, s9
	s_xor_b32 s9, exec_lo, s26
	s_cbranch_execz .LBB44_21
; %bb.20:                               ;   in Loop: Header=BB44_7 Depth=2
	global_load_dwordx2 v[40:41], v[38:39], off offset:128
.LBB44_21:                              ;   in Loop: Header=BB44_7 Depth=2
	s_andn2_saveexec_b32 s9, s9
	s_cbranch_execz .LBB44_23
; %bb.22:                               ;   in Loop: Header=BB44_7 Depth=2
	v_cndmask_b32_e64 v25, 0, 0x3ff00000, s8
	s_waitcnt vmcnt(0)
	v_mov_b32_e32 v41, v25
	v_mov_b32_e32 v40, v24
.LBB44_23:                              ;   in Loop: Header=BB44_7 Depth=2
	s_or_b32 exec_lo, exec_lo, s9
	s_or_b32 s5, s6, s5
	s_waitcnt vmcnt(0)
	ds_write_b64 v46, v[40:41] offset:4096
	s_or_b32 s5, s5, s25
	s_nor_b32 s5, s3, s5
	s_and_saveexec_b32 s6, s5
	s_xor_b32 s6, exec_lo, s6
	s_cbranch_execz .LBB44_25
; %bb.24:                               ;   in Loop: Header=BB44_7 Depth=2
	v_add_co_u32 v38, s5, v49, s16
	v_add_co_ci_u32_e64 v39, null, s17, v50, s5
	global_load_dwordx2 v[38:39], v[38:39], off offset:128
	s_waitcnt vmcnt(0)
	ds_write_b64 v46, v[38:39] offset:4224
.LBB44_25:                              ;   in Loop: Header=BB44_7 Depth=2
	s_andn2_saveexec_b32 s5, s6
	s_cbranch_execz .LBB44_31
; %bb.26:                               ;   in Loop: Header=BB44_7 Depth=2
	s_xor_b32 s6, s25, -1
	s_and_saveexec_b32 s8, s6
	s_xor_b32 s6, exec_lo, s8
; %bb.27:                               ;   in Loop: Header=BB44_7 Depth=2
	v_mov_b32_e32 v25, v24
	ds_write_b64 v46, v[24:25] offset:4224
; %bb.28:                               ;   in Loop: Header=BB44_7 Depth=2
	s_andn2_saveexec_b32 s6, s6
; %bb.29:                               ;   in Loop: Header=BB44_7 Depth=2
	v_mov_b32_e32 v25, v51
	ds_write_b64 v46, v[24:25] offset:4224
; %bb.30:                               ;   in Loop: Header=BB44_7 Depth=2
	s_or_b32 exec_lo, exec_lo, s6
.LBB44_31:                              ;   in Loop: Header=BB44_7 Depth=2
	s_or_b32 exec_lo, exec_lo, s5
	v_add_co_u32 v40, s5, v2, s20
	v_add_co_ci_u32_e64 v41, null, s21, v3, s5
	v_add_co_u32 v38, s6, v26, s16
	v_mov_b32_e32 v42, 0
	v_cmp_gt_i64_e64 s5, s[22:23], v[40:41]
	v_mov_b32_e32 v43, 0
	v_add_co_ci_u32_e64 v39, null, s17, v27, s6
	s_and_b32 s8, vcc_lo, s5
	s_and_saveexec_b32 s6, s8
	s_cbranch_execz .LBB44_33
; %bb.32:                               ;   in Loop: Header=BB44_7 Depth=2
	global_load_dwordx2 v[42:43], v[38:39], off offset:-128
.LBB44_33:                              ;   in Loop: Header=BB44_7 Depth=2
	s_or_b32 exec_lo, exec_lo, s6
	v_cmp_gt_i64_e64 s6, s[18:19], v[40:41]
	s_waitcnt vmcnt(0)
	ds_write_b64 v0, v[42:43]
	s_and_b32 s8, vcc_lo, s6
	s_xor_b32 s8, s8, -1
	s_and_saveexec_b32 s9, s8
	s_xor_b32 s8, exec_lo, s9
; %bb.34:                               ;   in Loop: Header=BB44_7 Depth=2
	v_mov_b32_e32 v25, v24
                                        ; implicit-def: $vgpr38_vgpr39
	ds_write_b64 v0, v[24:25] offset:128
; %bb.35:                               ;   in Loop: Header=BB44_7 Depth=2
	s_andn2_saveexec_b32 s8, s8
	s_cbranch_execz .LBB44_37
; %bb.36:                               ;   in Loop: Header=BB44_7 Depth=2
	global_load_dwordx2 v[38:39], v[38:39], off
	s_waitcnt vmcnt(0)
	ds_write_b64 v0, v[38:39] offset:128
.LBB44_37:                              ;   in Loop: Header=BB44_7 Depth=2
	s_or_b32 exec_lo, exec_lo, s8
	v_add_co_u32 v38, s8, v28, s16
	v_mov_b32_e32 v40, 0
	v_mov_b32_e32 v41, 0
	v_add_co_ci_u32_e64 v39, null, s17, v29, s8
	s_and_b32 s8, s4, s5
	s_and_saveexec_b32 s5, s8
	s_cbranch_execz .LBB44_39
; %bb.38:                               ;   in Loop: Header=BB44_7 Depth=2
	global_load_dwordx2 v[40:41], v[38:39], off
.LBB44_39:                              ;   in Loop: Header=BB44_7 Depth=2
	s_or_b32 exec_lo, exec_lo, s5
	s_and_b32 s5, s4, s6
	s_waitcnt vmcnt(0)
	ds_write_b64 v0, v[40:41] offset:4096
	s_xor_b32 s5, s5, -1
	s_and_saveexec_b32 s6, s5
	s_xor_b32 s5, exec_lo, s6
; %bb.40:                               ;   in Loop: Header=BB44_7 Depth=2
	v_mov_b32_e32 v25, v24
                                        ; implicit-def: $vgpr38_vgpr39
	ds_write_b64 v0, v[24:25] offset:4224
; %bb.41:                               ;   in Loop: Header=BB44_7 Depth=2
	s_andn2_saveexec_b32 s5, s5
	s_cbranch_execz .LBB44_6
; %bb.42:                               ;   in Loop: Header=BB44_7 Depth=2
	global_load_dwordx2 v[38:39], v[38:39], off offset:128
	s_waitcnt vmcnt(0)
	ds_write_b64 v0, v[38:39] offset:4224
	s_branch .LBB44_6
.LBB44_43:                              ;   in Loop: Header=BB44_4 Depth=1
	v_mov_b32_e32 v36, 0
	v_mov_b32_e32 v34, 0
	;; [unrolled: 1-line block ×8, first 2 shown]
.LBB44_44:                              ;   in Loop: Header=BB44_4 Depth=1
	v_mul_lo_u32 v23, s29, v55
	v_mul_lo_u32 v27, s28, v56
	v_mad_u64_u32 v[25:26], null, s28, v55, 0
	v_cmp_gt_i32_e32 vcc_lo, s14, v55
	v_add3_u32 v26, v26, v27, v23
	v_lshlrev_b64 v[25:26], 3, v[25:26]
	v_add_co_u32 v23, s4, s30, v25
	v_add_co_ci_u32_e64 v25, null, s31, v26, s4
	s_and_b32 s4, s1, vcc_lo
	s_and_saveexec_b32 s5, s4
	s_cbranch_execz .LBB44_46
; %bb.45:                               ;   in Loop: Header=BB44_4 Depth=1
	v_add_co_u32 v26, s4, v23, v14
	v_add_co_ci_u32_e64 v27, null, v25, v15, s4
	global_load_dwordx2 v[28:29], v[26:27], off
	s_waitcnt vmcnt(0)
	v_fma_f64 v[28:29], s[10:11], v[36:37], v[28:29]
	global_store_dwordx2 v[26:27], v[28:29], off
.LBB44_46:                              ;   in Loop: Header=BB44_4 Depth=1
	s_or_b32 exec_lo, exec_lo, s5
	s_and_b32 s5, s2, vcc_lo
	s_and_saveexec_b32 s4, s5
	s_cbranch_execz .LBB44_48
; %bb.47:                               ;   in Loop: Header=BB44_4 Depth=1
	v_lshlrev_b64 v[26:27], 3, v[6:7]
	v_add_co_u32 v26, vcc_lo, v23, v26
	v_add_co_ci_u32_e64 v27, null, v25, v27, vcc_lo
	global_load_dwordx2 v[28:29], v[26:27], off
	s_waitcnt vmcnt(0)
	v_fma_f64 v[28:29], s[10:11], v[34:35], v[28:29]
	global_store_dwordx2 v[26:27], v[28:29], off
.LBB44_48:                              ;   in Loop: Header=BB44_4 Depth=1
	s_or_b32 exec_lo, exec_lo, s4
	v_add_nc_u32_e32 v23, 16, v55
	v_ashrrev_i32_e32 v27, 31, v23
	v_mul_lo_u32 v28, s29, v23
	v_mad_u64_u32 v[25:26], null, s28, v23, 0
	v_cmp_gt_i32_e32 vcc_lo, s14, v23
	v_mul_lo_u32 v27, s28, v27
	v_add3_u32 v26, v26, v27, v28
	v_lshlrev_b64 v[25:26], 3, v[25:26]
	v_add_co_u32 v23, s4, s30, v25
	v_add_co_ci_u32_e64 v25, null, s31, v26, s4
	s_and_b32 s4, s1, vcc_lo
	s_and_saveexec_b32 s5, s4
	s_cbranch_execz .LBB44_50
; %bb.49:                               ;   in Loop: Header=BB44_4 Depth=1
	v_add_co_u32 v26, s4, v23, v14
	v_add_co_ci_u32_e64 v27, null, v25, v15, s4
	global_load_dwordx2 v[28:29], v[26:27], off
	s_waitcnt vmcnt(0)
	v_fma_f64 v[28:29], s[10:11], v[32:33], v[28:29]
	global_store_dwordx2 v[26:27], v[28:29], off
.LBB44_50:                              ;   in Loop: Header=BB44_4 Depth=1
	s_or_b32 exec_lo, exec_lo, s5
	s_and_b32 s5, s2, vcc_lo
	s_and_saveexec_b32 s4, s5
	s_cbranch_execz .LBB44_3
; %bb.51:                               ;   in Loop: Header=BB44_4 Depth=1
	v_lshlrev_b64 v[26:27], 3, v[6:7]
	v_add_co_u32 v26, vcc_lo, v23, v26
	v_add_co_ci_u32_e64 v27, null, v25, v27, vcc_lo
	global_load_dwordx2 v[28:29], v[26:27], off
	s_waitcnt vmcnt(0)
	v_fma_f64 v[28:29], s[10:11], v[30:31], v[28:29]
	global_store_dwordx2 v[26:27], v[28:29], off
	s_branch .LBB44_3
.LBB44_52:
	s_endpgm
	.section	.rodata,"a",@progbits
	.p2align	6, 0x0
	.amdhsa_kernel _ZL30rocblas_trmm_outofplace_kernelIdLi32ELi2ELb1ELb0ELb1ELb1EPKdS0_dEv17rocblas_diagonal_iiT6_lPT7_lllS5_lllPT8_llli
		.amdhsa_group_segment_fixed_size 16384
		.amdhsa_private_segment_fixed_size 0
		.amdhsa_kernarg_size 392
		.amdhsa_user_sgpr_count 6
		.amdhsa_user_sgpr_private_segment_buffer 1
		.amdhsa_user_sgpr_dispatch_ptr 0
		.amdhsa_user_sgpr_queue_ptr 0
		.amdhsa_user_sgpr_kernarg_segment_ptr 1
		.amdhsa_user_sgpr_dispatch_id 0
		.amdhsa_user_sgpr_flat_scratch_init 0
		.amdhsa_user_sgpr_private_segment_size 0
		.amdhsa_wavefront_size32 1
		.amdhsa_uses_dynamic_stack 0
		.amdhsa_system_sgpr_private_segment_wavefront_offset 0
		.amdhsa_system_sgpr_workgroup_id_x 1
		.amdhsa_system_sgpr_workgroup_id_y 1
		.amdhsa_system_sgpr_workgroup_id_z 1
		.amdhsa_system_sgpr_workgroup_info 0
		.amdhsa_system_vgpr_workitem_id 1
		.amdhsa_next_free_vgpr 77
		.amdhsa_next_free_sgpr 46
		.amdhsa_reserve_vcc 1
		.amdhsa_reserve_flat_scratch 0
		.amdhsa_float_round_mode_32 0
		.amdhsa_float_round_mode_16_64 0
		.amdhsa_float_denorm_mode_32 3
		.amdhsa_float_denorm_mode_16_64 3
		.amdhsa_dx10_clamp 1
		.amdhsa_ieee_mode 1
		.amdhsa_fp16_overflow 0
		.amdhsa_workgroup_processor_mode 1
		.amdhsa_memory_ordered 1
		.amdhsa_forward_progress 1
		.amdhsa_shared_vgpr_count 0
		.amdhsa_exception_fp_ieee_invalid_op 0
		.amdhsa_exception_fp_denorm_src 0
		.amdhsa_exception_fp_ieee_div_zero 0
		.amdhsa_exception_fp_ieee_overflow 0
		.amdhsa_exception_fp_ieee_underflow 0
		.amdhsa_exception_fp_ieee_inexact 0
		.amdhsa_exception_int_div_zero 0
	.end_amdhsa_kernel
	.section	.text._ZL30rocblas_trmm_outofplace_kernelIdLi32ELi2ELb1ELb0ELb1ELb1EPKdS0_dEv17rocblas_diagonal_iiT6_lPT7_lllS5_lllPT8_llli,"axG",@progbits,_ZL30rocblas_trmm_outofplace_kernelIdLi32ELi2ELb1ELb0ELb1ELb1EPKdS0_dEv17rocblas_diagonal_iiT6_lPT7_lllS5_lllPT8_llli,comdat
.Lfunc_end44:
	.size	_ZL30rocblas_trmm_outofplace_kernelIdLi32ELi2ELb1ELb0ELb1ELb1EPKdS0_dEv17rocblas_diagonal_iiT6_lPT7_lllS5_lllPT8_llli, .Lfunc_end44-_ZL30rocblas_trmm_outofplace_kernelIdLi32ELi2ELb1ELb0ELb1ELb1EPKdS0_dEv17rocblas_diagonal_iiT6_lPT7_lllS5_lllPT8_llli
                                        ; -- End function
	.set _ZL30rocblas_trmm_outofplace_kernelIdLi32ELi2ELb1ELb0ELb1ELb1EPKdS0_dEv17rocblas_diagonal_iiT6_lPT7_lllS5_lllPT8_llli.num_vgpr, 77
	.set _ZL30rocblas_trmm_outofplace_kernelIdLi32ELi2ELb1ELb0ELb1ELb1EPKdS0_dEv17rocblas_diagonal_iiT6_lPT7_lllS5_lllPT8_llli.num_agpr, 0
	.set _ZL30rocblas_trmm_outofplace_kernelIdLi32ELi2ELb1ELb0ELb1ELb1EPKdS0_dEv17rocblas_diagonal_iiT6_lPT7_lllS5_lllPT8_llli.numbered_sgpr, 46
	.set _ZL30rocblas_trmm_outofplace_kernelIdLi32ELi2ELb1ELb0ELb1ELb1EPKdS0_dEv17rocblas_diagonal_iiT6_lPT7_lllS5_lllPT8_llli.num_named_barrier, 0
	.set _ZL30rocblas_trmm_outofplace_kernelIdLi32ELi2ELb1ELb0ELb1ELb1EPKdS0_dEv17rocblas_diagonal_iiT6_lPT7_lllS5_lllPT8_llli.private_seg_size, 0
	.set _ZL30rocblas_trmm_outofplace_kernelIdLi32ELi2ELb1ELb0ELb1ELb1EPKdS0_dEv17rocblas_diagonal_iiT6_lPT7_lllS5_lllPT8_llli.uses_vcc, 1
	.set _ZL30rocblas_trmm_outofplace_kernelIdLi32ELi2ELb1ELb0ELb1ELb1EPKdS0_dEv17rocblas_diagonal_iiT6_lPT7_lllS5_lllPT8_llli.uses_flat_scratch, 0
	.set _ZL30rocblas_trmm_outofplace_kernelIdLi32ELi2ELb1ELb0ELb1ELb1EPKdS0_dEv17rocblas_diagonal_iiT6_lPT7_lllS5_lllPT8_llli.has_dyn_sized_stack, 0
	.set _ZL30rocblas_trmm_outofplace_kernelIdLi32ELi2ELb1ELb0ELb1ELb1EPKdS0_dEv17rocblas_diagonal_iiT6_lPT7_lllS5_lllPT8_llli.has_recursion, 0
	.set _ZL30rocblas_trmm_outofplace_kernelIdLi32ELi2ELb1ELb0ELb1ELb1EPKdS0_dEv17rocblas_diagonal_iiT6_lPT7_lllS5_lllPT8_llli.has_indirect_call, 0
	.section	.AMDGPU.csdata,"",@progbits
; Kernel info:
; codeLenInByte = 3888
; TotalNumSgprs: 48
; NumVgprs: 77
; ScratchSize: 0
; MemoryBound: 0
; FloatMode: 240
; IeeeMode: 1
; LDSByteSize: 16384 bytes/workgroup (compile time only)
; SGPRBlocks: 0
; VGPRBlocks: 9
; NumSGPRsForWavesPerEU: 48
; NumVGPRsForWavesPerEU: 77
; Occupancy: 12
; WaveLimiterHint : 0
; COMPUTE_PGM_RSRC2:SCRATCH_EN: 0
; COMPUTE_PGM_RSRC2:USER_SGPR: 6
; COMPUTE_PGM_RSRC2:TRAP_HANDLER: 0
; COMPUTE_PGM_RSRC2:TGID_X_EN: 1
; COMPUTE_PGM_RSRC2:TGID_Y_EN: 1
; COMPUTE_PGM_RSRC2:TGID_Z_EN: 1
; COMPUTE_PGM_RSRC2:TIDIG_COMP_CNT: 1
	.section	.text._ZL30rocblas_trmm_outofplace_kernelIdLi32ELi2ELb1ELb0ELb1ELb1EdKddEv17rocblas_diagonal_iiT6_lPT7_lllS4_lllPT8_llli,"axG",@progbits,_ZL30rocblas_trmm_outofplace_kernelIdLi32ELi2ELb1ELb0ELb1ELb1EdKddEv17rocblas_diagonal_iiT6_lPT7_lllS4_lllPT8_llli,comdat
	.globl	_ZL30rocblas_trmm_outofplace_kernelIdLi32ELi2ELb1ELb0ELb1ELb1EdKddEv17rocblas_diagonal_iiT6_lPT7_lllS4_lllPT8_llli ; -- Begin function _ZL30rocblas_trmm_outofplace_kernelIdLi32ELi2ELb1ELb0ELb1ELb1EdKddEv17rocblas_diagonal_iiT6_lPT7_lllS4_lllPT8_llli
	.p2align	8
	.type	_ZL30rocblas_trmm_outofplace_kernelIdLi32ELi2ELb1ELb0ELb1ELb1EdKddEv17rocblas_diagonal_iiT6_lPT7_lllS4_lllPT8_llli,@function
_ZL30rocblas_trmm_outofplace_kernelIdLi32ELi2ELb1ELb0ELb1ELb1EdKddEv17rocblas_diagonal_iiT6_lPT7_lllS4_lllPT8_llli: ; @_ZL30rocblas_trmm_outofplace_kernelIdLi32ELi2ELb1ELb0ELb1ELb1EdKddEv17rocblas_diagonal_iiT6_lPT7_lllS4_lllPT8_llli
; %bb.0:
	s_load_dwordx2 s[10:11], s[4:5], 0x10
	s_waitcnt lgkmcnt(0)
	v_cmp_eq_f64_e64 s0, s[10:11], 0
	s_and_b32 vcc_lo, exec_lo, s0
	s_cbranch_vccnz .LBB45_52
; %bb.1:
	s_load_dwordx4 s[28:31], s[4:5], 0x0
	s_waitcnt lgkmcnt(0)
	s_add_i32 s0, s30, -1
	s_ashr_i32 s1, s0, 31
	s_lshr_b32 s1, s1, 27
	s_add_i32 s0, s0, s1
	s_ashr_i32 s31, s0, 5
	s_cmp_gt_i32 s7, s31
	s_cbranch_scc1 .LBB45_52
; %bb.2:
	s_clause 0x2
	s_load_dwordx16 s[12:27], s[4:5], 0x20
	s_load_dwordx8 s[36:43], s[4:5], 0x60
	s_load_dword s33, s[4:5], 0x8c
	v_lshlrev_b32_e32 v2, 8, v1
	v_lshlrev_b32_e32 v44, 3, v0
	s_mov_b32 s34, s29
	v_mov_b32_e32 v51, 0x3ff00000
	v_add_nc_u32_e32 v45, 0x2000, v2
	v_add_nc_u32_e32 v46, v44, v2
	;; [unrolled: 1-line block ×6, first 2 shown]
	s_waitcnt lgkmcnt(0)
	s_mul_i32 s1, s19, s8
	s_mul_hi_u32 s2, s18, s8
	s_mul_i32 s0, s18, s8
	s_add_i32 s1, s2, s1
	s_mul_i32 s2, s43, s8
	s_lshl_b64 s[4:5], s[0:1], 3
	s_mul_hi_u32 s1, s42, s8
	s_add_u32 s3, s12, s4
	s_addc_u32 s9, s13, s5
	s_lshl_b64 s[44:45], s[14:15], 3
	s_mul_i32 s0, s42, s8
	s_add_u32 s3, s3, s44
	s_addc_u32 s18, s9, s45
	s_add_i32 s1, s1, s2
	s_mul_i32 s19, s27, s8
	s_lshl_b64 s[0:1], s[0:1], 3
	s_add_u32 s2, s36, s0
	s_addc_u32 s9, s37, s1
	s_lshl_b64 s[0:1], s[38:39], 3
	s_add_u32 s27, s2, s0
	s_addc_u32 s36, s9, s1
	s_lshl_b32 s0, s6, 5
	s_mul_hi_u32 s2, s26, s8
	v_add_nc_u32_e32 v2, s0, v0
	v_add_nc_u32_e32 v4, s0, v1
	s_sub_i32 s37, s29, s0
	s_mul_i32 s8, s26, s8
	s_cmp_gt_i32 s37, 0
	v_ashrrev_i32_e32 v3, 31, v2
	v_mul_lo_u32 v0, s17, v2
	v_mad_u64_u32 v[7:8], null, s16, v2, 0
	v_ashrrev_i32_e32 v5, 31, v4
	v_mul_lo_u32 v9, s16, v3
	s_cselect_b32 s26, -1, 0
	s_cmpk_eq_i32 s28, 0x84
	v_lshlrev_b64 v[14:15], 3, v[2:3]
	v_lshlrev_b64 v[22:23], 3, v[4:5]
	s_cselect_b32 s28, -1, 0
	s_ashr_i32 s35, s29, 31
	s_ashr_i32 s38, s30, 31
	v_add3_u32 v8, v8, v9, v0
	s_add_u32 s14, s29, -16
	s_addc_u32 s15, s35, -1
	s_add_i32 s9, s2, s19
	v_add_nc_u32_e32 v6, 16, v2
	v_lshlrev_b64 v[10:11], 3, v[7:8]
	v_add_co_u32 v8, vcc_lo, v2, 16
	v_add_co_ci_u32_e64 v9, null, 0, v3, vcc_lo
	s_lshl_b64 s[8:9], s[8:9], 3
	v_add_co_u32 v0, vcc_lo, s3, v10
	v_add_co_ci_u32_e64 v10, null, s18, v11, vcc_lo
	s_lshl_b64 s[18:19], s[22:23], 3
	v_add_co_u32 v0, vcc_lo, v0, v22
	v_add_co_ci_u32_e64 v48, null, v10, v23, vcc_lo
	v_sub_co_u32 v10, vcc_lo, v2, v4
	v_sub_co_ci_u32_e64 v11, null, v3, v5, vcc_lo
	s_add_u32 s6, s8, s18
	v_add_co_u32 v12, vcc_lo, v10, 16
	v_add_co_ci_u32_e64 v13, null, 0, v11, vcc_lo
	v_add_co_u32 v16, vcc_lo, 0x80, v14
	s_addc_u32 s8, s9, s19
	s_add_u32 s6, s20, s6
	v_add_co_ci_u32_e64 v17, null, 0, v15, vcc_lo
	s_addc_u32 s8, s21, s8
	s_lshl_b64 s[18:19], s[24:25], 3
	s_lshl_b32 s20, s33, 5
	s_add_u32 s4, s44, s4
	s_addc_u32 s5, s45, s5
	v_mul_lo_u32 v20, s16, v17
	v_mad_u64_u32 v[24:25], null, s16, v16, s[4:5]
	v_mul_lo_u32 v21, s17, v16
	v_add_co_u32 v16, vcc_lo, v10, -16
	v_add_co_ci_u32_e64 v17, null, -1, v11, vcc_lo
	v_add_co_u32 v18, vcc_lo, s6, v14
	v_add_co_ci_u32_e64 v19, null, s8, v15, vcc_lo
	v_add3_u32 v25, v21, v25, v20
	v_add_co_u32 v20, vcc_lo, 0x80, v18
	v_add_co_ci_u32_e64 v21, null, 0, v19, vcc_lo
	v_add_co_u32 v24, vcc_lo, v24, v22
	v_add_co_ci_u32_e64 v23, null, v25, v23, vcc_lo
	v_cmp_le_i64_e64 s3, s[34:35], v[8:9]
	v_add_co_u32 v49, vcc_lo, s12, v24
	v_cmp_le_i32_e64 s0, s29, v2
	v_cmp_gt_i32_e64 s1, s29, v2
	v_cmp_gt_i32_e64 s2, s29, v6
	v_ashrrev_i32_e32 v7, 31, v6
	v_lshl_add_u32 v22, s7, 5, v1
	v_add_co_ci_u32_e64 v50, null, s13, v23, vcc_lo
	v_mov_b32_e32 v24, 0
	s_branch .LBB45_4
.LBB45_3:                               ;   in Loop: Header=BB45_4 Depth=1
	s_or_b32 exec_lo, exec_lo, s4
	v_add_nc_u32_e32 v22, s20, v22
	s_add_i32 s7, s33, s7
	s_cmp_le_i32 s7, s31
	s_cbranch_scc0 .LBB45_52
.LBB45_4:                               ; =>This Loop Header: Depth=1
                                        ;     Child Loop BB45_7 Depth 2
	v_lshl_add_u32 v55, s7, 5, v1
	s_andn2_b32 vcc_lo, exec_lo, s26
	v_ashrrev_i32_e32 v56, 31, v55
	s_cbranch_vccnz .LBB45_43
; %bb.5:                                ;   in Loop: Header=BB45_4 Depth=1
	v_ashrrev_i32_e32 v23, 31, v22
	v_mad_u64_u32 v[26:27], null, s18, v22, v[20:21]
	v_mul_lo_u32 v25, s19, v22
	v_mov_b32_e32 v32, 0
	v_lshlrev_b64 v[28:29], 3, v[22:23]
	v_mul_lo_u32 v23, s18, v23
	v_mov_b32_e32 v34, 0
	v_mov_b32_e32 v36, 0
	;; [unrolled: 1-line block ×4, first 2 shown]
	v_add_co_u32 v28, vcc_lo, 0x80, v28
	v_add_co_ci_u32_e64 v29, null, 0, v29, vcc_lo
	v_sub_co_u32 v30, vcc_lo, s30, v55
	v_mul_lo_u32 v39, s25, v28
	v_mul_lo_u32 v38, s24, v29
	v_mad_u64_u32 v[28:29], null, s24, v28, v[18:19]
	v_sub_co_ci_u32_e64 v31, null, s38, v56, vcc_lo
	v_add3_u32 v27, v25, v27, v23
	v_mov_b32_e32 v37, 0
	s_mov_b64 s[12:13], 0
	v_cmp_lt_i64_e32 vcc_lo, 0, v[30:31]
	v_cmp_lt_i64_e64 s4, 16, v[30:31]
	v_mov_b32_e32 v30, 0
	v_mov_b32_e32 v31, 0
	v_add3_u32 v29, v39, v29, v38
	s_mov_b64 s[16:17], 0
	s_branch .LBB45_7
.LBB45_6:                               ;   in Loop: Header=BB45_7 Depth=2
	s_or_b32 exec_lo, exec_lo, s5
	s_waitcnt lgkmcnt(0)
	s_barrier
	buffer_gl0_inv
	ds_read_b128 v[38:41], v45
	ds_read2_b64 v[57:60], v44 offset1:16
	ds_read_b128 v[61:64], v45 offset:4096
	ds_read_b128 v[65:68], v45 offset:16
	ds_read2_b64 v[69:72], v44 offset0:32 offset1:48
	ds_read_b128 v[73:76], v45 offset:4112
	s_add_u32 s16, s16, 32
	s_addc_u32 s17, s17, 0
	s_add_u32 s12, s12, 0x100
	s_addc_u32 s13, s13, 0
	s_cmp_ge_i32 s16, s37
	s_waitcnt lgkmcnt(4)
	v_fma_f64 v[36:37], v[57:58], v[38:39], v[36:37]
	v_fma_f64 v[34:35], v[59:60], v[38:39], v[34:35]
	s_waitcnt lgkmcnt(3)
	v_fma_f64 v[38:39], v[57:58], v[61:62], v[32:33]
	v_fma_f64 v[42:43], v[59:60], v[61:62], v[30:31]
	ds_read2_b64 v[30:33], v44 offset0:64 offset1:80
	s_waitcnt lgkmcnt(2)
	v_fma_f64 v[57:58], v[69:70], v[40:41], v[36:37]
	v_fma_f64 v[40:41], v[71:72], v[40:41], v[34:35]
	;; [unrolled: 1-line block ×4, first 2 shown]
	ds_read2_b64 v[34:37], v44 offset0:96 offset1:112
	s_waitcnt lgkmcnt(1)
	v_fma_f64 v[57:58], v[30:31], v[65:66], v[57:58]
	v_fma_f64 v[59:60], v[32:33], v[65:66], v[40:41]
	;; [unrolled: 1-line block ×4, first 2 shown]
	ds_read_b128 v[30:33], v45 offset:32
	ds_read2_b64 v[38:41], v44 offset0:128 offset1:144
	s_waitcnt lgkmcnt(2)
	v_fma_f64 v[69:70], v[34:35], v[67:68], v[57:58]
	v_fma_f64 v[71:72], v[36:37], v[67:68], v[59:60]
	;; [unrolled: 1-line block ×4, first 2 shown]
	ds_read_b128 v[34:37], v45 offset:4128
	ds_read_b128 v[57:60], v45 offset:48
	ds_read2_b64 v[61:64], v44 offset0:160 offset1:176
	ds_read_b128 v[65:68], v45 offset:4144
	s_waitcnt lgkmcnt(4)
	v_fma_f64 v[69:70], v[38:39], v[30:31], v[69:70]
	v_fma_f64 v[30:31], v[40:41], v[30:31], v[71:72]
	s_waitcnt lgkmcnt(3)
	v_fma_f64 v[71:72], v[38:39], v[34:35], v[73:74]
	v_fma_f64 v[34:35], v[40:41], v[34:35], v[42:43]
	ds_read2_b64 v[38:41], v44 offset0:192 offset1:208
	s_waitcnt lgkmcnt(2)
	v_fma_f64 v[42:43], v[61:62], v[32:33], v[69:70]
	v_fma_f64 v[69:70], v[63:64], v[32:33], v[30:31]
	v_fma_f64 v[61:62], v[61:62], v[36:37], v[71:72]
	v_fma_f64 v[34:35], v[63:64], v[36:37], v[34:35]
	ds_read2_b64 v[30:33], v44 offset0:224 offset1:240
	s_waitcnt lgkmcnt(1)
	v_fma_f64 v[42:43], v[38:39], v[57:58], v[42:43]
	v_fma_f64 v[57:58], v[40:41], v[57:58], v[69:70]
	v_fma_f64 v[61:62], v[38:39], v[65:66], v[61:62]
	v_fma_f64 v[63:64], v[40:41], v[65:66], v[34:35]
	ds_read_b128 v[34:37], v45 offset:64
	ds_read2_b64 v[38:41], v52 offset1:16
	s_waitcnt lgkmcnt(2)
	v_fma_f64 v[42:43], v[30:31], v[59:60], v[42:43]
	v_fma_f64 v[69:70], v[32:33], v[59:60], v[57:58]
	v_fma_f64 v[71:72], v[30:31], v[67:68], v[61:62]
	v_fma_f64 v[73:74], v[32:33], v[67:68], v[63:64]
	ds_read_b128 v[30:33], v45 offset:4160
	ds_read2_b64 v[57:60], v52 offset0:32 offset1:48
	ds_read_b128 v[61:64], v45 offset:80
	ds_read_b128 v[65:68], v45 offset:4176
	s_waitcnt lgkmcnt(4)
	v_fma_f64 v[42:43], v[38:39], v[34:35], v[42:43]
	v_fma_f64 v[34:35], v[40:41], v[34:35], v[69:70]
	s_waitcnt lgkmcnt(3)
	v_fma_f64 v[69:70], v[38:39], v[30:31], v[71:72]
	v_fma_f64 v[30:31], v[40:41], v[30:31], v[73:74]
	ds_read2_b64 v[38:41], v52 offset0:64 offset1:80
	s_waitcnt lgkmcnt(3)
	v_fma_f64 v[42:43], v[57:58], v[36:37], v[42:43]
	v_fma_f64 v[34:35], v[59:60], v[36:37], v[34:35]
	v_fma_f64 v[36:37], v[57:58], v[32:33], v[69:70]
	v_fma_f64 v[57:58], v[59:60], v[32:33], v[30:31]
	ds_read2_b64 v[30:33], v52 offset0:96 offset1:112
	s_waitcnt lgkmcnt(1)
	v_fma_f64 v[42:43], v[38:39], v[61:62], v[42:43]
	v_fma_f64 v[59:60], v[40:41], v[61:62], v[34:35]
	v_fma_f64 v[61:62], v[38:39], v[65:66], v[36:37]
	v_fma_f64 v[57:58], v[40:41], v[65:66], v[57:58]
	ds_read_b128 v[34:37], v45 offset:96
	ds_read2_b64 v[38:41], v52 offset0:128 offset1:144
	s_waitcnt lgkmcnt(2)
	v_fma_f64 v[42:43], v[30:31], v[63:64], v[42:43]
	v_fma_f64 v[69:70], v[32:33], v[63:64], v[59:60]
	v_fma_f64 v[71:72], v[30:31], v[67:68], v[61:62]
	v_fma_f64 v[73:74], v[32:33], v[67:68], v[57:58]
	ds_read_b128 v[30:33], v45 offset:4192
	ds_read2_b64 v[57:60], v52 offset0:160 offset1:176
	ds_read_b128 v[61:64], v45 offset:112
	ds_read_b128 v[65:68], v45 offset:4208
	s_waitcnt lgkmcnt(4)
	v_fma_f64 v[42:43], v[38:39], v[34:35], v[42:43]
	v_fma_f64 v[34:35], v[40:41], v[34:35], v[69:70]
	s_waitcnt lgkmcnt(3)
	v_fma_f64 v[69:70], v[38:39], v[30:31], v[71:72]
	v_fma_f64 v[30:31], v[40:41], v[30:31], v[73:74]
	ds_read2_b64 v[38:41], v52 offset0:192 offset1:208
	s_waitcnt lgkmcnt(3)
	v_fma_f64 v[42:43], v[57:58], v[36:37], v[42:43]
	v_fma_f64 v[34:35], v[59:60], v[36:37], v[34:35]
	v_fma_f64 v[36:37], v[57:58], v[32:33], v[69:70]
	v_fma_f64 v[57:58], v[59:60], v[32:33], v[30:31]
	ds_read2_b64 v[30:33], v52 offset0:224 offset1:240
	s_waitcnt lgkmcnt(1)
	v_fma_f64 v[42:43], v[38:39], v[61:62], v[42:43]
	v_fma_f64 v[59:60], v[40:41], v[61:62], v[34:35]
	v_fma_f64 v[61:62], v[38:39], v[65:66], v[36:37]
	v_fma_f64 v[57:58], v[40:41], v[65:66], v[57:58]
	ds_read_b128 v[34:37], v45 offset:128
	ds_read2_b64 v[38:41], v53 offset1:16
	s_waitcnt lgkmcnt(2)
	v_fma_f64 v[42:43], v[30:31], v[63:64], v[42:43]
	v_fma_f64 v[69:70], v[32:33], v[63:64], v[59:60]
	v_fma_f64 v[71:72], v[30:31], v[67:68], v[61:62]
	v_fma_f64 v[73:74], v[32:33], v[67:68], v[57:58]
	ds_read_b128 v[30:33], v45 offset:4224
	ds_read2_b64 v[57:60], v53 offset0:32 offset1:48
	ds_read_b128 v[61:64], v45 offset:144
	ds_read_b128 v[65:68], v45 offset:4240
	s_waitcnt lgkmcnt(4)
	v_fma_f64 v[42:43], v[38:39], v[34:35], v[42:43]
	v_fma_f64 v[34:35], v[40:41], v[34:35], v[69:70]
	s_waitcnt lgkmcnt(3)
	v_fma_f64 v[69:70], v[38:39], v[30:31], v[71:72]
	v_fma_f64 v[30:31], v[40:41], v[30:31], v[73:74]
	ds_read2_b64 v[38:41], v53 offset0:64 offset1:80
	s_waitcnt lgkmcnt(3)
	v_fma_f64 v[42:43], v[57:58], v[36:37], v[42:43]
	v_fma_f64 v[34:35], v[59:60], v[36:37], v[34:35]
	v_fma_f64 v[36:37], v[57:58], v[32:33], v[69:70]
	v_fma_f64 v[57:58], v[59:60], v[32:33], v[30:31]
	ds_read2_b64 v[30:33], v53 offset0:96 offset1:112
	s_waitcnt lgkmcnt(1)
	v_fma_f64 v[42:43], v[38:39], v[61:62], v[42:43]
	v_fma_f64 v[59:60], v[40:41], v[61:62], v[34:35]
	v_fma_f64 v[61:62], v[38:39], v[65:66], v[36:37]
	v_fma_f64 v[57:58], v[40:41], v[65:66], v[57:58]
	ds_read_b128 v[34:37], v45 offset:160
	ds_read2_b64 v[38:41], v53 offset0:128 offset1:144
	s_waitcnt lgkmcnt(2)
	v_fma_f64 v[42:43], v[30:31], v[63:64], v[42:43]
	v_fma_f64 v[69:70], v[32:33], v[63:64], v[59:60]
	v_fma_f64 v[71:72], v[30:31], v[67:68], v[61:62]
	v_fma_f64 v[73:74], v[32:33], v[67:68], v[57:58]
	ds_read_b128 v[30:33], v45 offset:4256
	ds_read2_b64 v[57:60], v53 offset0:160 offset1:176
	ds_read_b128 v[61:64], v45 offset:176
	ds_read_b128 v[65:68], v45 offset:4272
	s_waitcnt lgkmcnt(4)
	v_fma_f64 v[42:43], v[38:39], v[34:35], v[42:43]
	v_fma_f64 v[34:35], v[40:41], v[34:35], v[69:70]
	s_waitcnt lgkmcnt(3)
	v_fma_f64 v[69:70], v[38:39], v[30:31], v[71:72]
	v_fma_f64 v[30:31], v[40:41], v[30:31], v[73:74]
	ds_read2_b64 v[38:41], v53 offset0:192 offset1:208
	s_waitcnt lgkmcnt(3)
	v_fma_f64 v[42:43], v[57:58], v[36:37], v[42:43]
	v_fma_f64 v[34:35], v[59:60], v[36:37], v[34:35]
	v_fma_f64 v[36:37], v[57:58], v[32:33], v[69:70]
	v_fma_f64 v[57:58], v[59:60], v[32:33], v[30:31]
	ds_read2_b64 v[30:33], v53 offset0:224 offset1:240
	s_waitcnt lgkmcnt(1)
	v_fma_f64 v[42:43], v[38:39], v[61:62], v[42:43]
	v_fma_f64 v[59:60], v[40:41], v[61:62], v[34:35]
	v_fma_f64 v[61:62], v[38:39], v[65:66], v[36:37]
	v_fma_f64 v[57:58], v[40:41], v[65:66], v[57:58]
	ds_read_b128 v[34:37], v45 offset:192
	ds_read2_b64 v[38:41], v54 offset1:16
	s_waitcnt lgkmcnt(2)
	v_fma_f64 v[42:43], v[30:31], v[63:64], v[42:43]
	v_fma_f64 v[69:70], v[32:33], v[63:64], v[59:60]
	v_fma_f64 v[71:72], v[30:31], v[67:68], v[61:62]
	v_fma_f64 v[73:74], v[32:33], v[67:68], v[57:58]
	ds_read_b128 v[30:33], v45 offset:4288
	ds_read2_b64 v[57:60], v54 offset0:32 offset1:48
	ds_read_b128 v[61:64], v45 offset:208
	ds_read_b128 v[65:68], v45 offset:4304
	s_waitcnt lgkmcnt(4)
	v_fma_f64 v[42:43], v[38:39], v[34:35], v[42:43]
	v_fma_f64 v[34:35], v[40:41], v[34:35], v[69:70]
	s_waitcnt lgkmcnt(3)
	v_fma_f64 v[69:70], v[38:39], v[30:31], v[71:72]
	v_fma_f64 v[30:31], v[40:41], v[30:31], v[73:74]
	ds_read2_b64 v[38:41], v54 offset0:64 offset1:80
	s_waitcnt lgkmcnt(3)
	v_fma_f64 v[42:43], v[57:58], v[36:37], v[42:43]
	v_fma_f64 v[34:35], v[59:60], v[36:37], v[34:35]
	v_fma_f64 v[36:37], v[57:58], v[32:33], v[69:70]
	v_fma_f64 v[57:58], v[59:60], v[32:33], v[30:31]
	ds_read2_b64 v[30:33], v54 offset0:96 offset1:112
	s_waitcnt lgkmcnt(1)
	v_fma_f64 v[42:43], v[38:39], v[61:62], v[42:43]
	v_fma_f64 v[59:60], v[40:41], v[61:62], v[34:35]
	v_fma_f64 v[61:62], v[38:39], v[65:66], v[36:37]
	v_fma_f64 v[57:58], v[40:41], v[65:66], v[57:58]
	ds_read_b128 v[34:37], v45 offset:224
	ds_read2_b64 v[38:41], v54 offset0:128 offset1:144
	s_waitcnt lgkmcnt(2)
	v_fma_f64 v[42:43], v[30:31], v[63:64], v[42:43]
	v_fma_f64 v[69:70], v[32:33], v[63:64], v[59:60]
	v_fma_f64 v[71:72], v[30:31], v[67:68], v[61:62]
	v_fma_f64 v[73:74], v[32:33], v[67:68], v[57:58]
	ds_read_b128 v[30:33], v45 offset:4320
	ds_read2_b64 v[57:60], v54 offset0:160 offset1:176
	ds_read_b128 v[61:64], v45 offset:240
	ds_read_b128 v[65:68], v45 offset:4336
	s_waitcnt lgkmcnt(4)
	v_fma_f64 v[42:43], v[38:39], v[34:35], v[42:43]
	v_fma_f64 v[34:35], v[40:41], v[34:35], v[69:70]
	s_waitcnt lgkmcnt(3)
	v_fma_f64 v[69:70], v[38:39], v[30:31], v[71:72]
	v_fma_f64 v[30:31], v[40:41], v[30:31], v[73:74]
	ds_read2_b64 v[38:41], v54 offset0:192 offset1:208
	s_waitcnt lgkmcnt(3)
	v_fma_f64 v[42:43], v[57:58], v[36:37], v[42:43]
	v_fma_f64 v[34:35], v[59:60], v[36:37], v[34:35]
	;; [unrolled: 1-line block ×4, first 2 shown]
	ds_read2_b64 v[57:60], v54 offset0:224 offset1:240
	s_waitcnt lgkmcnt(0)
	s_barrier
	buffer_gl0_inv
	v_fma_f64 v[32:33], v[38:39], v[61:62], v[42:43]
	v_fma_f64 v[34:35], v[40:41], v[61:62], v[34:35]
	;; [unrolled: 1-line block ×8, first 2 shown]
	s_cbranch_scc1 .LBB45_44
.LBB45_7:                               ;   Parent Loop BB45_4 Depth=1
                                        ; =>  This Inner Loop Header: Depth=2
	v_add_co_u32 v40, s5, v4, s16
	v_add_co_ci_u32_e64 v41, null, s17, v5, s5
	v_cmp_eq_u64_e64 s8, s[16:17], v[10:11]
                                        ; implicit-def: $vgpr42_vgpr43
	v_cmp_le_i64_e64 s6, s[34:35], v[40:41]
	v_cmp_lt_i64_e64 s5, v[40:41], v[2:3]
	s_and_b32 s21, s28, s8
	v_add_co_u32 v38, s8, v0, s12
	v_add_co_ci_u32_e64 v39, null, s13, v48, s8
	s_or_b32 s9, s6, s5
	s_or_b32 s8, s9, s21
	s_nor_b32 s8, s0, s8
	s_and_saveexec_b32 s9, s8
	s_xor_b32 s8, exec_lo, s9
	s_cbranch_execz .LBB45_9
; %bb.8:                                ;   in Loop: Header=BB45_7 Depth=2
	global_load_dwordx2 v[42:43], v[38:39], off
.LBB45_9:                               ;   in Loop: Header=BB45_7 Depth=2
	s_andn2_saveexec_b32 s8, s8
	s_cbranch_execz .LBB45_11
; %bb.10:                               ;   in Loop: Header=BB45_7 Depth=2
	v_cndmask_b32_e64 v25, 0, 0x3ff00000, s21
	s_waitcnt vmcnt(0)
	v_mov_b32_e32 v43, v25
	v_mov_b32_e32 v42, v24
.LBB45_11:                              ;   in Loop: Header=BB45_7 Depth=2
	s_or_b32 exec_lo, exec_lo, s8
	v_cmp_eq_u64_e64 s8, s[16:17], v[12:13]
	v_cmp_gt_i64_e64 s9, v[8:9], v[40:41]
	s_waitcnt vmcnt(0)
	ds_write_b64 v46, v[42:43]
	s_and_b32 s8, s28, s8
	s_or_b32 s6, s6, s9
	s_or_b32 s6, s6, s8
	s_nor_b32 s6, s3, s6
	s_and_saveexec_b32 s9, s6
	s_xor_b32 s9, exec_lo, s9
	s_cbranch_execz .LBB45_13
; %bb.12:                               ;   in Loop: Header=BB45_7 Depth=2
	v_add_co_u32 v42, s6, v49, s12
	v_add_co_ci_u32_e64 v43, null, s13, v50, s6
	global_load_dwordx2 v[42:43], v[42:43], off
	s_waitcnt vmcnt(0)
	ds_write_b64 v46, v[42:43] offset:128
.LBB45_13:                              ;   in Loop: Header=BB45_7 Depth=2
	s_andn2_saveexec_b32 s6, s9
	s_cbranch_execz .LBB45_19
; %bb.14:                               ;   in Loop: Header=BB45_7 Depth=2
	s_xor_b32 s8, s8, -1
	s_and_saveexec_b32 s9, s8
	s_xor_b32 s8, exec_lo, s9
; %bb.15:                               ;   in Loop: Header=BB45_7 Depth=2
	v_mov_b32_e32 v25, v24
	ds_write_b64 v46, v[24:25] offset:128
; %bb.16:                               ;   in Loop: Header=BB45_7 Depth=2
	s_andn2_saveexec_b32 s8, s8
; %bb.17:                               ;   in Loop: Header=BB45_7 Depth=2
	v_mov_b32_e32 v25, v51
	ds_write_b64 v46, v[24:25] offset:128
; %bb.18:                               ;   in Loop: Header=BB45_7 Depth=2
	s_or_b32 exec_lo, exec_lo, s8
.LBB45_19:                              ;   in Loop: Header=BB45_7 Depth=2
	s_or_b32 exec_lo, exec_lo, s6
	v_add_co_u32 v40, s6, v40, 16
	v_add_co_ci_u32_e64 v41, null, 0, v41, s6
	v_cmp_eq_u64_e64 s8, s[16:17], v[16:17]
	v_cmp_le_i64_e64 s6, s[34:35], v[40:41]
	v_cmp_lt_i64_e64 s9, v[40:41], v[2:3]
                                        ; implicit-def: $vgpr40_vgpr41
	s_and_b32 s8, s28, s8
	s_or_b32 s9, s6, s9
	s_or_b32 s9, s9, s8
	s_nor_b32 s9, s0, s9
	s_and_saveexec_b32 s22, s9
	s_xor_b32 s9, exec_lo, s22
	s_cbranch_execz .LBB45_21
; %bb.20:                               ;   in Loop: Header=BB45_7 Depth=2
	global_load_dwordx2 v[40:41], v[38:39], off offset:128
.LBB45_21:                              ;   in Loop: Header=BB45_7 Depth=2
	s_andn2_saveexec_b32 s9, s9
	s_cbranch_execz .LBB45_23
; %bb.22:                               ;   in Loop: Header=BB45_7 Depth=2
	v_cndmask_b32_e64 v25, 0, 0x3ff00000, s8
	s_waitcnt vmcnt(0)
	v_mov_b32_e32 v41, v25
	v_mov_b32_e32 v40, v24
.LBB45_23:                              ;   in Loop: Header=BB45_7 Depth=2
	s_or_b32 exec_lo, exec_lo, s9
	s_or_b32 s5, s6, s5
	s_waitcnt vmcnt(0)
	ds_write_b64 v46, v[40:41] offset:4096
	s_or_b32 s5, s5, s21
	s_nor_b32 s5, s3, s5
	s_and_saveexec_b32 s6, s5
	s_xor_b32 s6, exec_lo, s6
	s_cbranch_execz .LBB45_25
; %bb.24:                               ;   in Loop: Header=BB45_7 Depth=2
	v_add_co_u32 v38, s5, v49, s12
	v_add_co_ci_u32_e64 v39, null, s13, v50, s5
	global_load_dwordx2 v[38:39], v[38:39], off offset:128
	s_waitcnt vmcnt(0)
	ds_write_b64 v46, v[38:39] offset:4224
.LBB45_25:                              ;   in Loop: Header=BB45_7 Depth=2
	s_andn2_saveexec_b32 s5, s6
	s_cbranch_execz .LBB45_31
; %bb.26:                               ;   in Loop: Header=BB45_7 Depth=2
	s_xor_b32 s6, s21, -1
	s_and_saveexec_b32 s8, s6
	s_xor_b32 s6, exec_lo, s8
; %bb.27:                               ;   in Loop: Header=BB45_7 Depth=2
	v_mov_b32_e32 v25, v24
	ds_write_b64 v46, v[24:25] offset:4224
; %bb.28:                               ;   in Loop: Header=BB45_7 Depth=2
	s_andn2_saveexec_b32 s6, s6
; %bb.29:                               ;   in Loop: Header=BB45_7 Depth=2
	v_mov_b32_e32 v25, v51
	ds_write_b64 v46, v[24:25] offset:4224
; %bb.30:                               ;   in Loop: Header=BB45_7 Depth=2
	s_or_b32 exec_lo, exec_lo, s6
.LBB45_31:                              ;   in Loop: Header=BB45_7 Depth=2
	s_or_b32 exec_lo, exec_lo, s5
	v_add_co_u32 v40, s5, v2, s16
	v_add_co_ci_u32_e64 v41, null, s17, v3, s5
	v_add_co_u32 v38, s6, v26, s12
	v_mov_b32_e32 v42, 0
	v_cmp_gt_i64_e64 s5, s[34:35], v[40:41]
	v_mov_b32_e32 v43, 0
	v_add_co_ci_u32_e64 v39, null, s13, v27, s6
	s_and_b32 s8, vcc_lo, s5
	s_and_saveexec_b32 s6, s8
	s_cbranch_execz .LBB45_33
; %bb.32:                               ;   in Loop: Header=BB45_7 Depth=2
	global_load_dwordx2 v[42:43], v[38:39], off offset:-128
.LBB45_33:                              ;   in Loop: Header=BB45_7 Depth=2
	s_or_b32 exec_lo, exec_lo, s6
	v_cmp_gt_i64_e64 s6, s[14:15], v[40:41]
	s_waitcnt vmcnt(0)
	ds_write_b64 v47, v[42:43]
	s_and_b32 s8, vcc_lo, s6
	s_xor_b32 s8, s8, -1
	s_and_saveexec_b32 s9, s8
	s_xor_b32 s8, exec_lo, s9
; %bb.34:                               ;   in Loop: Header=BB45_7 Depth=2
	v_mov_b32_e32 v25, v24
                                        ; implicit-def: $vgpr38_vgpr39
	ds_write_b64 v47, v[24:25] offset:128
; %bb.35:                               ;   in Loop: Header=BB45_7 Depth=2
	s_andn2_saveexec_b32 s8, s8
	s_cbranch_execz .LBB45_37
; %bb.36:                               ;   in Loop: Header=BB45_7 Depth=2
	global_load_dwordx2 v[38:39], v[38:39], off
	s_waitcnt vmcnt(0)
	ds_write_b64 v47, v[38:39] offset:128
.LBB45_37:                              ;   in Loop: Header=BB45_7 Depth=2
	s_or_b32 exec_lo, exec_lo, s8
	v_add_co_u32 v38, s8, v28, s12
	v_mov_b32_e32 v40, 0
	v_mov_b32_e32 v41, 0
	v_add_co_ci_u32_e64 v39, null, s13, v29, s8
	s_and_b32 s8, s4, s5
	s_and_saveexec_b32 s5, s8
	s_cbranch_execz .LBB45_39
; %bb.38:                               ;   in Loop: Header=BB45_7 Depth=2
	global_load_dwordx2 v[40:41], v[38:39], off
.LBB45_39:                              ;   in Loop: Header=BB45_7 Depth=2
	s_or_b32 exec_lo, exec_lo, s5
	s_and_b32 s5, s4, s6
	s_waitcnt vmcnt(0)
	ds_write_b64 v47, v[40:41] offset:4096
	s_xor_b32 s5, s5, -1
	s_and_saveexec_b32 s6, s5
	s_xor_b32 s5, exec_lo, s6
; %bb.40:                               ;   in Loop: Header=BB45_7 Depth=2
	v_mov_b32_e32 v25, v24
                                        ; implicit-def: $vgpr38_vgpr39
	ds_write_b64 v47, v[24:25] offset:4224
; %bb.41:                               ;   in Loop: Header=BB45_7 Depth=2
	s_andn2_saveexec_b32 s5, s5
	s_cbranch_execz .LBB45_6
; %bb.42:                               ;   in Loop: Header=BB45_7 Depth=2
	global_load_dwordx2 v[38:39], v[38:39], off offset:128
	s_waitcnt vmcnt(0)
	ds_write_b64 v47, v[38:39] offset:4224
	s_branch .LBB45_6
.LBB45_43:                              ;   in Loop: Header=BB45_4 Depth=1
	v_mov_b32_e32 v36, 0
	v_mov_b32_e32 v34, 0
	;; [unrolled: 1-line block ×8, first 2 shown]
.LBB45_44:                              ;   in Loop: Header=BB45_4 Depth=1
	v_mul_lo_u32 v23, s41, v55
	v_mul_lo_u32 v27, s40, v56
	v_mad_u64_u32 v[25:26], null, s40, v55, 0
	v_cmp_gt_i32_e32 vcc_lo, s30, v55
	v_add3_u32 v26, v26, v27, v23
	v_lshlrev_b64 v[25:26], 3, v[25:26]
	v_add_co_u32 v23, s4, s27, v25
	v_add_co_ci_u32_e64 v25, null, s36, v26, s4
	s_and_b32 s4, s1, vcc_lo
	s_and_saveexec_b32 s5, s4
	s_cbranch_execz .LBB45_46
; %bb.45:                               ;   in Loop: Header=BB45_4 Depth=1
	v_add_co_u32 v26, s4, v23, v14
	v_add_co_ci_u32_e64 v27, null, v25, v15, s4
	global_load_dwordx2 v[28:29], v[26:27], off
	s_waitcnt vmcnt(0)
	v_fma_f64 v[28:29], s[10:11], v[36:37], v[28:29]
	global_store_dwordx2 v[26:27], v[28:29], off
.LBB45_46:                              ;   in Loop: Header=BB45_4 Depth=1
	s_or_b32 exec_lo, exec_lo, s5
	s_and_b32 s5, s2, vcc_lo
	s_and_saveexec_b32 s4, s5
	s_cbranch_execz .LBB45_48
; %bb.47:                               ;   in Loop: Header=BB45_4 Depth=1
	v_lshlrev_b64 v[26:27], 3, v[6:7]
	v_add_co_u32 v26, vcc_lo, v23, v26
	v_add_co_ci_u32_e64 v27, null, v25, v27, vcc_lo
	global_load_dwordx2 v[28:29], v[26:27], off
	s_waitcnt vmcnt(0)
	v_fma_f64 v[28:29], s[10:11], v[34:35], v[28:29]
	global_store_dwordx2 v[26:27], v[28:29], off
.LBB45_48:                              ;   in Loop: Header=BB45_4 Depth=1
	s_or_b32 exec_lo, exec_lo, s4
	v_add_nc_u32_e32 v23, 16, v55
	v_ashrrev_i32_e32 v27, 31, v23
	v_mul_lo_u32 v28, s41, v23
	v_mad_u64_u32 v[25:26], null, s40, v23, 0
	v_cmp_gt_i32_e32 vcc_lo, s30, v23
	v_mul_lo_u32 v27, s40, v27
	v_add3_u32 v26, v26, v27, v28
	v_lshlrev_b64 v[25:26], 3, v[25:26]
	v_add_co_u32 v23, s4, s27, v25
	v_add_co_ci_u32_e64 v25, null, s36, v26, s4
	s_and_b32 s4, s1, vcc_lo
	s_and_saveexec_b32 s5, s4
	s_cbranch_execz .LBB45_50
; %bb.49:                               ;   in Loop: Header=BB45_4 Depth=1
	v_add_co_u32 v26, s4, v23, v14
	v_add_co_ci_u32_e64 v27, null, v25, v15, s4
	global_load_dwordx2 v[28:29], v[26:27], off
	s_waitcnt vmcnt(0)
	v_fma_f64 v[28:29], s[10:11], v[32:33], v[28:29]
	global_store_dwordx2 v[26:27], v[28:29], off
.LBB45_50:                              ;   in Loop: Header=BB45_4 Depth=1
	s_or_b32 exec_lo, exec_lo, s5
	s_and_b32 s5, s2, vcc_lo
	s_and_saveexec_b32 s4, s5
	s_cbranch_execz .LBB45_3
; %bb.51:                               ;   in Loop: Header=BB45_4 Depth=1
	v_lshlrev_b64 v[26:27], 3, v[6:7]
	v_add_co_u32 v26, vcc_lo, v23, v26
	v_add_co_ci_u32_e64 v27, null, v25, v27, vcc_lo
	global_load_dwordx2 v[28:29], v[26:27], off
	s_waitcnt vmcnt(0)
	v_fma_f64 v[28:29], s[10:11], v[30:31], v[28:29]
	global_store_dwordx2 v[26:27], v[28:29], off
	s_branch .LBB45_3
.LBB45_52:
	s_endpgm
	.section	.rodata,"a",@progbits
	.p2align	6, 0x0
	.amdhsa_kernel _ZL30rocblas_trmm_outofplace_kernelIdLi32ELi2ELb1ELb0ELb1ELb1EdKddEv17rocblas_diagonal_iiT6_lPT7_lllS4_lllPT8_llli
		.amdhsa_group_segment_fixed_size 16384
		.amdhsa_private_segment_fixed_size 0
		.amdhsa_kernarg_size 392
		.amdhsa_user_sgpr_count 6
		.amdhsa_user_sgpr_private_segment_buffer 1
		.amdhsa_user_sgpr_dispatch_ptr 0
		.amdhsa_user_sgpr_queue_ptr 0
		.amdhsa_user_sgpr_kernarg_segment_ptr 1
		.amdhsa_user_sgpr_dispatch_id 0
		.amdhsa_user_sgpr_flat_scratch_init 0
		.amdhsa_user_sgpr_private_segment_size 0
		.amdhsa_wavefront_size32 1
		.amdhsa_uses_dynamic_stack 0
		.amdhsa_system_sgpr_private_segment_wavefront_offset 0
		.amdhsa_system_sgpr_workgroup_id_x 1
		.amdhsa_system_sgpr_workgroup_id_y 1
		.amdhsa_system_sgpr_workgroup_id_z 1
		.amdhsa_system_sgpr_workgroup_info 0
		.amdhsa_system_vgpr_workitem_id 1
		.amdhsa_next_free_vgpr 77
		.amdhsa_next_free_sgpr 46
		.amdhsa_reserve_vcc 1
		.amdhsa_reserve_flat_scratch 0
		.amdhsa_float_round_mode_32 0
		.amdhsa_float_round_mode_16_64 0
		.amdhsa_float_denorm_mode_32 3
		.amdhsa_float_denorm_mode_16_64 3
		.amdhsa_dx10_clamp 1
		.amdhsa_ieee_mode 1
		.amdhsa_fp16_overflow 0
		.amdhsa_workgroup_processor_mode 1
		.amdhsa_memory_ordered 1
		.amdhsa_forward_progress 1
		.amdhsa_shared_vgpr_count 0
		.amdhsa_exception_fp_ieee_invalid_op 0
		.amdhsa_exception_fp_denorm_src 0
		.amdhsa_exception_fp_ieee_div_zero 0
		.amdhsa_exception_fp_ieee_overflow 0
		.amdhsa_exception_fp_ieee_underflow 0
		.amdhsa_exception_fp_ieee_inexact 0
		.amdhsa_exception_int_div_zero 0
	.end_amdhsa_kernel
	.section	.text._ZL30rocblas_trmm_outofplace_kernelIdLi32ELi2ELb1ELb0ELb1ELb1EdKddEv17rocblas_diagonal_iiT6_lPT7_lllS4_lllPT8_llli,"axG",@progbits,_ZL30rocblas_trmm_outofplace_kernelIdLi32ELi2ELb1ELb0ELb1ELb1EdKddEv17rocblas_diagonal_iiT6_lPT7_lllS4_lllPT8_llli,comdat
.Lfunc_end45:
	.size	_ZL30rocblas_trmm_outofplace_kernelIdLi32ELi2ELb1ELb0ELb1ELb1EdKddEv17rocblas_diagonal_iiT6_lPT7_lllS4_lllPT8_llli, .Lfunc_end45-_ZL30rocblas_trmm_outofplace_kernelIdLi32ELi2ELb1ELb0ELb1ELb1EdKddEv17rocblas_diagonal_iiT6_lPT7_lllS4_lllPT8_llli
                                        ; -- End function
	.set _ZL30rocblas_trmm_outofplace_kernelIdLi32ELi2ELb1ELb0ELb1ELb1EdKddEv17rocblas_diagonal_iiT6_lPT7_lllS4_lllPT8_llli.num_vgpr, 77
	.set _ZL30rocblas_trmm_outofplace_kernelIdLi32ELi2ELb1ELb0ELb1ELb1EdKddEv17rocblas_diagonal_iiT6_lPT7_lllS4_lllPT8_llli.num_agpr, 0
	.set _ZL30rocblas_trmm_outofplace_kernelIdLi32ELi2ELb1ELb0ELb1ELb1EdKddEv17rocblas_diagonal_iiT6_lPT7_lllS4_lllPT8_llli.numbered_sgpr, 46
	.set _ZL30rocblas_trmm_outofplace_kernelIdLi32ELi2ELb1ELb0ELb1ELb1EdKddEv17rocblas_diagonal_iiT6_lPT7_lllS4_lllPT8_llli.num_named_barrier, 0
	.set _ZL30rocblas_trmm_outofplace_kernelIdLi32ELi2ELb1ELb0ELb1ELb1EdKddEv17rocblas_diagonal_iiT6_lPT7_lllS4_lllPT8_llli.private_seg_size, 0
	.set _ZL30rocblas_trmm_outofplace_kernelIdLi32ELi2ELb1ELb0ELb1ELb1EdKddEv17rocblas_diagonal_iiT6_lPT7_lllS4_lllPT8_llli.uses_vcc, 1
	.set _ZL30rocblas_trmm_outofplace_kernelIdLi32ELi2ELb1ELb0ELb1ELb1EdKddEv17rocblas_diagonal_iiT6_lPT7_lllS4_lllPT8_llli.uses_flat_scratch, 0
	.set _ZL30rocblas_trmm_outofplace_kernelIdLi32ELi2ELb1ELb0ELb1ELb1EdKddEv17rocblas_diagonal_iiT6_lPT7_lllS4_lllPT8_llli.has_dyn_sized_stack, 0
	.set _ZL30rocblas_trmm_outofplace_kernelIdLi32ELi2ELb1ELb0ELb1ELb1EdKddEv17rocblas_diagonal_iiT6_lPT7_lllS4_lllPT8_llli.has_recursion, 0
	.set _ZL30rocblas_trmm_outofplace_kernelIdLi32ELi2ELb1ELb0ELb1ELb1EdKddEv17rocblas_diagonal_iiT6_lPT7_lllS4_lllPT8_llli.has_indirect_call, 0
	.section	.AMDGPU.csdata,"",@progbits
; Kernel info:
; codeLenInByte = 3848
; TotalNumSgprs: 48
; NumVgprs: 77
; ScratchSize: 0
; MemoryBound: 0
; FloatMode: 240
; IeeeMode: 1
; LDSByteSize: 16384 bytes/workgroup (compile time only)
; SGPRBlocks: 0
; VGPRBlocks: 9
; NumSGPRsForWavesPerEU: 48
; NumVGPRsForWavesPerEU: 77
; Occupancy: 12
; WaveLimiterHint : 0
; COMPUTE_PGM_RSRC2:SCRATCH_EN: 0
; COMPUTE_PGM_RSRC2:USER_SGPR: 6
; COMPUTE_PGM_RSRC2:TRAP_HANDLER: 0
; COMPUTE_PGM_RSRC2:TGID_X_EN: 1
; COMPUTE_PGM_RSRC2:TGID_Y_EN: 1
; COMPUTE_PGM_RSRC2:TGID_Z_EN: 1
; COMPUTE_PGM_RSRC2:TIDIG_COMP_CNT: 1
	.section	.text._ZL30rocblas_trmm_outofplace_kernelIdLi32ELi2ELb1ELb1ELb1ELb1EPKdS0_dEv17rocblas_diagonal_iiT6_lPT7_lllS5_lllPT8_llli,"axG",@progbits,_ZL30rocblas_trmm_outofplace_kernelIdLi32ELi2ELb1ELb1ELb1ELb1EPKdS0_dEv17rocblas_diagonal_iiT6_lPT7_lllS5_lllPT8_llli,comdat
	.globl	_ZL30rocblas_trmm_outofplace_kernelIdLi32ELi2ELb1ELb1ELb1ELb1EPKdS0_dEv17rocblas_diagonal_iiT6_lPT7_lllS5_lllPT8_llli ; -- Begin function _ZL30rocblas_trmm_outofplace_kernelIdLi32ELi2ELb1ELb1ELb1ELb1EPKdS0_dEv17rocblas_diagonal_iiT6_lPT7_lllS5_lllPT8_llli
	.p2align	8
	.type	_ZL30rocblas_trmm_outofplace_kernelIdLi32ELi2ELb1ELb1ELb1ELb1EPKdS0_dEv17rocblas_diagonal_iiT6_lPT7_lllS5_lllPT8_llli,@function
_ZL30rocblas_trmm_outofplace_kernelIdLi32ELi2ELb1ELb1ELb1ELb1EPKdS0_dEv17rocblas_diagonal_iiT6_lPT7_lllS5_lllPT8_llli: ; @_ZL30rocblas_trmm_outofplace_kernelIdLi32ELi2ELb1ELb1ELb1ELb1EPKdS0_dEv17rocblas_diagonal_iiT6_lPT7_lllS5_lllPT8_llli
; %bb.0:
	s_load_dwordx16 s[12:27], s[4:5], 0x10
	s_waitcnt lgkmcnt(0)
	s_mul_i32 s0, s15, s8
	s_mul_hi_u32 s1, s14, s8
	s_add_i32 s1, s1, s0
	s_mul_i32 s0, s14, s8
	s_lshl_b64 s[0:1], s[0:1], 3
	s_add_u32 s0, s12, s0
	s_addc_u32 s1, s13, s1
	s_load_dwordx2 s[10:11], s[0:1], 0x0
	s_waitcnt lgkmcnt(0)
	v_cmp_eq_f64_e64 s0, s[10:11], 0
	s_and_b32 vcc_lo, exec_lo, s0
	s_cbranch_vccnz .LBB46_51
; %bb.1:
	s_load_dwordx4 s[12:15], s[4:5], 0x0
	s_waitcnt lgkmcnt(0)
	s_add_i32 s0, s14, -1
	s_ashr_i32 s1, s0, 31
	s_lshr_b32 s1, s1, 27
	s_add_i32 s0, s0, s1
	s_ashr_i32 s15, s0, 5
	s_cmp_gt_i32 s7, s15
	s_cbranch_scc1 .LBB46_51
; %bb.2:
	s_clause 0x1
	s_load_dwordx4 s[28:31], s[4:5], 0x70
	s_load_dwordx8 s[36:43], s[4:5], 0x50
	s_mul_i32 s1, s23, s8
	s_mul_hi_u32 s2, s22, s8
	s_mul_i32 s0, s22, s8
	s_add_i32 s1, s2, s1
	s_load_dword s33, s[4:5], 0x8c
	s_lshl_b64 s[34:35], s[0:1], 3
	v_lshlrev_b32_e32 v3, 8, v1
	s_add_u32 s0, s16, s34
	s_addc_u32 s1, s17, s35
	s_lshl_b64 s[44:45], s[18:19], 3
	v_lshlrev_b32_e32 v42, 3, v0
	s_add_u32 s3, s0, s44
	s_addc_u32 s4, s1, s45
	v_add_nc_u32_e32 v43, 0x2000, v3
	v_lshlrev_b32_e32 v20, 3, v1
	v_add_nc_u32_e32 v44, v42, v3
	s_mov_b32 s18, s13
	v_mov_b32_e32 v2, 0
	s_waitcnt lgkmcnt(0)
	s_mul_i32 s1, s31, s8
	s_mul_hi_u32 s2, s30, s8
	s_mul_i32 s0, s30, s8
	s_add_i32 s1, s2, s1
	v_add_nc_u32_e32 v45, v43, v42
	s_lshl_b64 s[0:1], s[0:1], 3
	v_mov_b32_e32 v50, 0x3ff00000
	s_add_u32 s2, s40, s0
	s_addc_u32 s5, s41, s1
	s_lshl_b64 s[0:1], s[42:43], 3
	v_add_nc_u32_e32 v51, 0x800, v42
	s_add_u32 s30, s2, s0
	s_addc_u32 s31, s5, s1
	s_lshl_b32 s40, s6, 5
	s_cmp_gt_i32 s6, -1
	v_add_nc_u32_e32 v4, s40, v0
	s_mul_i32 s5, s39, s8
	s_cselect_b32 s39, -1, 0
	s_cmpk_eq_i32 s12, 0x84
	s_mul_hi_u32 s6, s38, s8
	v_ashrrev_i32_e32 v5, 31, v4
	v_mul_lo_u32 v3, s21, v4
	v_mad_u64_u32 v[6:7], null, s20, v4, 0
	s_cselect_b32 s41, -1, 0
	v_mul_lo_u32 v8, s20, v5
	s_ashr_i32 s19, s13, 31
	s_ashr_i32 s42, s14, 31
	v_lshlrev_b64 v[12:13], 3, v[4:5]
	s_add_u32 s22, s13, -16
	s_addc_u32 s23, s19, -1
	s_add_i32 s5, s6, s5
	v_add_nc_u32_e32 v21, 16, v4
	v_add3_u32 v7, v7, v8, v3
	v_cmp_le_i32_e64 s0, s13, v4
	v_cmp_gt_i32_e64 s1, s13, v4
	v_add_nc_u32_e32 v52, 0x1000, v42
	v_cmp_gt_i32_e64 s2, s13, v21
	v_lshlrev_b64 v[8:9], 3, v[6:7]
	v_add_co_u32 v6, vcc_lo, v4, 16
	v_add_co_ci_u32_e64 v7, null, 0, v5, vcc_lo
	v_ashrrev_i32_e32 v22, 31, v21
	v_add_co_u32 v3, vcc_lo, s3, v8
	v_add_co_ci_u32_e64 v8, null, s4, v9, vcc_lo
	s_mul_i32 s4, s38, s8
	v_add_co_u32 v46, vcc_lo, v3, v20
	v_add_co_ci_u32_e64 v47, null, 0, v8, vcc_lo
	v_sub_co_u32 v8, vcc_lo, v4, v1
	v_subrev_co_ci_u32_e64 v9, null, 0, v5, vcc_lo
	s_lshl_b64 s[4:5], s[4:5], 3
	s_lshl_b64 s[8:9], s[26:27], 3
	v_add_co_u32 v10, vcc_lo, v8, 16
	v_add_co_ci_u32_e64 v11, null, 0, v9, vcc_lo
	s_add_u32 s4, s4, s8
	v_add_co_u32 v3, vcc_lo, 0x80, v12
	s_addc_u32 s5, s5, s9
	s_add_u32 s6, s24, s4
	v_add_co_ci_u32_e64 v14, null, 0, v13, vcc_lo
	s_addc_u32 s8, s25, s5
	s_lshl_b64 s[12:13], s[36:37], 3
	s_lshl_b32 s24, s33, 5
	s_add_u32 s4, s44, s34
	s_addc_u32 s5, s45, s35
	v_mul_lo_u32 v18, s20, v14
	v_mad_u64_u32 v[23:24], null, s20, v3, s[4:5]
	v_mul_lo_u32 v3, s21, v3
	v_add_co_u32 v16, s4, s6, v42
	v_add_co_ci_u32_e64 v17, null, s8, 0, s4
	v_add_co_u32 v14, vcc_lo, v8, -16
	v_add_co_ci_u32_e64 v15, null, -1, v9, vcc_lo
	v_add3_u32 v3, v3, v24, v18
	v_add_co_u32 v18, vcc_lo, 0x80, v16
	v_add_co_ci_u32_e64 v19, null, 0, v17, vcc_lo
	v_add_co_u32 v23, vcc_lo, v23, v20
	v_add_co_ci_u32_e64 v3, null, 0, v3, vcc_lo
	v_cmp_le_i64_e64 s3, s[18:19], v[6:7]
	v_add_co_u32 v48, vcc_lo, s16, v23
	v_lshlrev_b64 v[22:23], 3, v[21:22]
	v_lshl_add_u32 v20, s7, 5, v1
	v_add_co_ci_u32_e64 v49, null, s17, v3, vcc_lo
	v_add_nc_u32_e32 v53, 0x1800, v42
	s_branch .LBB46_4
.LBB46_3:                               ;   in Loop: Header=BB46_4 Depth=1
	s_or_b32 exec_lo, exec_lo, s4
	v_add_nc_u32_e32 v20, s24, v20
	s_add_i32 s7, s33, s7
	s_cmp_le_i32 s7, s15
	s_cbranch_scc0 .LBB46_51
.LBB46_4:                               ; =>This Loop Header: Depth=1
                                        ;     Child Loop BB46_7 Depth 2
	v_lshl_add_u32 v54, s7, 5, v1
	v_mov_b32_e32 v34, 0
	v_mov_b32_e32 v32, 0
	;; [unrolled: 1-line block ×8, first 2 shown]
	v_ashrrev_i32_e32 v55, 31, v54
	s_andn2_b32 vcc_lo, exec_lo, s39
	s_cbranch_vccnz .LBB46_43
; %bb.5:                                ;   in Loop: Header=BB46_4 Depth=1
	v_ashrrev_i32_e32 v21, 31, v20
	v_mad_u64_u32 v[24:25], null, s12, v20, v[18:19]
	v_mul_lo_u32 v3, s13, v20
	v_mov_b32_e32 v30, 0
	v_lshlrev_b64 v[26:27], 3, v[20:21]
	v_mul_lo_u32 v21, s12, v21
	v_mov_b32_e32 v32, 0
	v_mov_b32_e32 v34, 0
	;; [unrolled: 1-line block ×4, first 2 shown]
	v_add_co_u32 v26, vcc_lo, 0x80, v26
	v_add_co_ci_u32_e64 v27, null, 0, v27, vcc_lo
	v_sub_co_u32 v28, vcc_lo, s14, v54
	v_mul_lo_u32 v37, s37, v26
	v_mul_lo_u32 v36, s36, v27
	v_mad_u64_u32 v[26:27], null, s36, v26, v[16:17]
	v_sub_co_ci_u32_e64 v29, null, s42, v55, vcc_lo
	v_add3_u32 v25, v3, v25, v21
	v_mov_b32_e32 v35, 0
	s_mov_b64 s[16:17], 0
	v_cmp_lt_i64_e32 vcc_lo, 0, v[28:29]
	v_cmp_lt_i64_e64 s4, 16, v[28:29]
	v_mov_b32_e32 v28, 0
	v_mov_b32_e32 v29, 0
	v_add3_u32 v27, v37, v27, v36
	s_mov_b64 s[20:21], 0
	s_branch .LBB46_7
.LBB46_6:                               ;   in Loop: Header=BB46_7 Depth=2
	s_or_b32 exec_lo, exec_lo, s5
	s_waitcnt lgkmcnt(0)
	s_barrier
	buffer_gl0_inv
	ds_read_b128 v[36:39], v43
	ds_read2_b64 v[56:59], v42 offset1:16
	ds_read_b128 v[60:63], v43 offset:4096
	ds_read_b128 v[64:67], v43 offset:16
	ds_read2_b64 v[68:71], v42 offset0:32 offset1:48
	ds_read_b128 v[72:75], v43 offset:4112
	s_add_u32 s20, s20, 32
	s_addc_u32 s21, s21, 0
	s_sub_i32 s5, s20, 32
	s_add_u32 s16, s16, 0x100
	s_addc_u32 s17, s17, 0
	s_cmp_ge_i32 s5, s40
	s_waitcnt lgkmcnt(4)
	v_fma_f64 v[34:35], v[56:57], v[36:37], v[34:35]
	v_fma_f64 v[32:33], v[58:59], v[36:37], v[32:33]
	s_waitcnt lgkmcnt(3)
	v_fma_f64 v[36:37], v[56:57], v[60:61], v[30:31]
	v_fma_f64 v[40:41], v[58:59], v[60:61], v[28:29]
	ds_read2_b64 v[28:31], v42 offset0:64 offset1:80
	s_waitcnt lgkmcnt(2)
	v_fma_f64 v[56:57], v[68:69], v[38:39], v[34:35]
	v_fma_f64 v[38:39], v[70:71], v[38:39], v[32:33]
	;; [unrolled: 1-line block ×4, first 2 shown]
	ds_read2_b64 v[32:35], v42 offset0:96 offset1:112
	s_waitcnt lgkmcnt(1)
	v_fma_f64 v[56:57], v[28:29], v[64:65], v[56:57]
	v_fma_f64 v[58:59], v[30:31], v[64:65], v[38:39]
	v_fma_f64 v[60:61], v[28:29], v[72:73], v[36:37]
	v_fma_f64 v[40:41], v[30:31], v[72:73], v[40:41]
	ds_read_b128 v[28:31], v43 offset:32
	ds_read2_b64 v[36:39], v42 offset0:128 offset1:144
	s_waitcnt lgkmcnt(2)
	v_fma_f64 v[68:69], v[32:33], v[66:67], v[56:57]
	v_fma_f64 v[70:71], v[34:35], v[66:67], v[58:59]
	;; [unrolled: 1-line block ×4, first 2 shown]
	ds_read_b128 v[32:35], v43 offset:4128
	ds_read_b128 v[56:59], v43 offset:48
	ds_read2_b64 v[60:63], v42 offset0:160 offset1:176
	ds_read_b128 v[64:67], v43 offset:4144
	s_waitcnt lgkmcnt(4)
	v_fma_f64 v[68:69], v[36:37], v[28:29], v[68:69]
	v_fma_f64 v[28:29], v[38:39], v[28:29], v[70:71]
	s_waitcnt lgkmcnt(3)
	v_fma_f64 v[70:71], v[36:37], v[32:33], v[72:73]
	v_fma_f64 v[32:33], v[38:39], v[32:33], v[40:41]
	ds_read2_b64 v[36:39], v42 offset0:192 offset1:208
	s_waitcnt lgkmcnt(2)
	v_fma_f64 v[40:41], v[60:61], v[30:31], v[68:69]
	v_fma_f64 v[68:69], v[62:63], v[30:31], v[28:29]
	v_fma_f64 v[60:61], v[60:61], v[34:35], v[70:71]
	v_fma_f64 v[32:33], v[62:63], v[34:35], v[32:33]
	ds_read2_b64 v[28:31], v42 offset0:224 offset1:240
	s_waitcnt lgkmcnt(1)
	v_fma_f64 v[40:41], v[36:37], v[56:57], v[40:41]
	v_fma_f64 v[56:57], v[38:39], v[56:57], v[68:69]
	v_fma_f64 v[60:61], v[36:37], v[64:65], v[60:61]
	v_fma_f64 v[62:63], v[38:39], v[64:65], v[32:33]
	ds_read_b128 v[32:35], v43 offset:64
	ds_read2_b64 v[36:39], v51 offset1:16
	s_waitcnt lgkmcnt(2)
	v_fma_f64 v[40:41], v[28:29], v[58:59], v[40:41]
	v_fma_f64 v[68:69], v[30:31], v[58:59], v[56:57]
	v_fma_f64 v[70:71], v[28:29], v[66:67], v[60:61]
	v_fma_f64 v[72:73], v[30:31], v[66:67], v[62:63]
	ds_read_b128 v[28:31], v43 offset:4160
	ds_read2_b64 v[56:59], v51 offset0:32 offset1:48
	ds_read_b128 v[60:63], v43 offset:80
	ds_read_b128 v[64:67], v43 offset:4176
	s_waitcnt lgkmcnt(4)
	v_fma_f64 v[40:41], v[36:37], v[32:33], v[40:41]
	v_fma_f64 v[32:33], v[38:39], v[32:33], v[68:69]
	s_waitcnt lgkmcnt(3)
	v_fma_f64 v[68:69], v[36:37], v[28:29], v[70:71]
	v_fma_f64 v[28:29], v[38:39], v[28:29], v[72:73]
	ds_read2_b64 v[36:39], v51 offset0:64 offset1:80
	s_waitcnt lgkmcnt(3)
	v_fma_f64 v[40:41], v[56:57], v[34:35], v[40:41]
	v_fma_f64 v[32:33], v[58:59], v[34:35], v[32:33]
	v_fma_f64 v[34:35], v[56:57], v[30:31], v[68:69]
	v_fma_f64 v[56:57], v[58:59], v[30:31], v[28:29]
	ds_read2_b64 v[28:31], v51 offset0:96 offset1:112
	s_waitcnt lgkmcnt(1)
	v_fma_f64 v[40:41], v[36:37], v[60:61], v[40:41]
	v_fma_f64 v[58:59], v[38:39], v[60:61], v[32:33]
	v_fma_f64 v[60:61], v[36:37], v[64:65], v[34:35]
	v_fma_f64 v[56:57], v[38:39], v[64:65], v[56:57]
	ds_read_b128 v[32:35], v43 offset:96
	ds_read2_b64 v[36:39], v51 offset0:128 offset1:144
	s_waitcnt lgkmcnt(2)
	v_fma_f64 v[40:41], v[28:29], v[62:63], v[40:41]
	v_fma_f64 v[68:69], v[30:31], v[62:63], v[58:59]
	v_fma_f64 v[70:71], v[28:29], v[66:67], v[60:61]
	v_fma_f64 v[72:73], v[30:31], v[66:67], v[56:57]
	ds_read_b128 v[28:31], v43 offset:4192
	ds_read2_b64 v[56:59], v51 offset0:160 offset1:176
	ds_read_b128 v[60:63], v43 offset:112
	ds_read_b128 v[64:67], v43 offset:4208
	s_waitcnt lgkmcnt(4)
	v_fma_f64 v[40:41], v[36:37], v[32:33], v[40:41]
	v_fma_f64 v[32:33], v[38:39], v[32:33], v[68:69]
	s_waitcnt lgkmcnt(3)
	v_fma_f64 v[68:69], v[36:37], v[28:29], v[70:71]
	v_fma_f64 v[28:29], v[38:39], v[28:29], v[72:73]
	ds_read2_b64 v[36:39], v51 offset0:192 offset1:208
	s_waitcnt lgkmcnt(3)
	v_fma_f64 v[40:41], v[56:57], v[34:35], v[40:41]
	v_fma_f64 v[32:33], v[58:59], v[34:35], v[32:33]
	v_fma_f64 v[34:35], v[56:57], v[30:31], v[68:69]
	v_fma_f64 v[56:57], v[58:59], v[30:31], v[28:29]
	ds_read2_b64 v[28:31], v51 offset0:224 offset1:240
	s_waitcnt lgkmcnt(1)
	v_fma_f64 v[40:41], v[36:37], v[60:61], v[40:41]
	v_fma_f64 v[58:59], v[38:39], v[60:61], v[32:33]
	v_fma_f64 v[60:61], v[36:37], v[64:65], v[34:35]
	v_fma_f64 v[56:57], v[38:39], v[64:65], v[56:57]
	ds_read_b128 v[32:35], v43 offset:128
	ds_read2_b64 v[36:39], v52 offset1:16
	s_waitcnt lgkmcnt(2)
	v_fma_f64 v[40:41], v[28:29], v[62:63], v[40:41]
	v_fma_f64 v[68:69], v[30:31], v[62:63], v[58:59]
	v_fma_f64 v[70:71], v[28:29], v[66:67], v[60:61]
	v_fma_f64 v[72:73], v[30:31], v[66:67], v[56:57]
	ds_read_b128 v[28:31], v43 offset:4224
	ds_read2_b64 v[56:59], v52 offset0:32 offset1:48
	ds_read_b128 v[60:63], v43 offset:144
	ds_read_b128 v[64:67], v43 offset:4240
	s_waitcnt lgkmcnt(4)
	v_fma_f64 v[40:41], v[36:37], v[32:33], v[40:41]
	v_fma_f64 v[32:33], v[38:39], v[32:33], v[68:69]
	s_waitcnt lgkmcnt(3)
	v_fma_f64 v[68:69], v[36:37], v[28:29], v[70:71]
	v_fma_f64 v[28:29], v[38:39], v[28:29], v[72:73]
	ds_read2_b64 v[36:39], v52 offset0:64 offset1:80
	s_waitcnt lgkmcnt(3)
	v_fma_f64 v[40:41], v[56:57], v[34:35], v[40:41]
	v_fma_f64 v[32:33], v[58:59], v[34:35], v[32:33]
	v_fma_f64 v[34:35], v[56:57], v[30:31], v[68:69]
	v_fma_f64 v[56:57], v[58:59], v[30:31], v[28:29]
	ds_read2_b64 v[28:31], v52 offset0:96 offset1:112
	s_waitcnt lgkmcnt(1)
	v_fma_f64 v[40:41], v[36:37], v[60:61], v[40:41]
	v_fma_f64 v[58:59], v[38:39], v[60:61], v[32:33]
	v_fma_f64 v[60:61], v[36:37], v[64:65], v[34:35]
	v_fma_f64 v[56:57], v[38:39], v[64:65], v[56:57]
	ds_read_b128 v[32:35], v43 offset:160
	ds_read2_b64 v[36:39], v52 offset0:128 offset1:144
	s_waitcnt lgkmcnt(2)
	v_fma_f64 v[40:41], v[28:29], v[62:63], v[40:41]
	v_fma_f64 v[68:69], v[30:31], v[62:63], v[58:59]
	v_fma_f64 v[70:71], v[28:29], v[66:67], v[60:61]
	v_fma_f64 v[72:73], v[30:31], v[66:67], v[56:57]
	ds_read_b128 v[28:31], v43 offset:4256
	ds_read2_b64 v[56:59], v52 offset0:160 offset1:176
	ds_read_b128 v[60:63], v43 offset:176
	;; [unrolled: 58-line block ×3, first 2 shown]
	ds_read_b128 v[64:67], v43 offset:4336
	s_waitcnt lgkmcnt(4)
	v_fma_f64 v[40:41], v[36:37], v[32:33], v[40:41]
	v_fma_f64 v[32:33], v[38:39], v[32:33], v[68:69]
	s_waitcnt lgkmcnt(3)
	v_fma_f64 v[68:69], v[36:37], v[28:29], v[70:71]
	v_fma_f64 v[28:29], v[38:39], v[28:29], v[72:73]
	ds_read2_b64 v[36:39], v53 offset0:192 offset1:208
	s_waitcnt lgkmcnt(3)
	v_fma_f64 v[40:41], v[56:57], v[34:35], v[40:41]
	v_fma_f64 v[32:33], v[58:59], v[34:35], v[32:33]
	;; [unrolled: 1-line block ×4, first 2 shown]
	ds_read2_b64 v[56:59], v53 offset0:224 offset1:240
	s_waitcnt lgkmcnt(0)
	s_barrier
	buffer_gl0_inv
	v_fma_f64 v[30:31], v[36:37], v[60:61], v[40:41]
	v_fma_f64 v[32:33], v[38:39], v[60:61], v[32:33]
	;; [unrolled: 1-line block ×8, first 2 shown]
	s_cbranch_scc1 .LBB46_43
.LBB46_7:                               ;   Parent Loop BB46_4 Depth=1
                                        ; =>  This Inner Loop Header: Depth=2
	v_add_co_u32 v38, s5, v1, s20
	v_add_co_ci_u32_e64 v39, null, 0, s21, s5
	v_cmp_eq_u64_e64 s8, s[20:21], v[8:9]
                                        ; implicit-def: $vgpr40_vgpr41
	v_cmp_le_i64_e64 s6, s[18:19], v[38:39]
	v_cmp_gt_i64_e64 s5, v[38:39], v[4:5]
	s_and_b32 s25, s41, s8
	v_add_co_u32 v36, s8, v46, s16
	v_add_co_ci_u32_e64 v37, null, s17, v47, s8
	s_or_b32 s9, s6, s5
	s_or_b32 s8, s9, s25
	s_nor_b32 s8, s0, s8
	s_and_saveexec_b32 s9, s8
	s_xor_b32 s8, exec_lo, s9
	s_cbranch_execz .LBB46_9
; %bb.8:                                ;   in Loop: Header=BB46_7 Depth=2
	global_load_dwordx2 v[40:41], v[36:37], off
.LBB46_9:                               ;   in Loop: Header=BB46_7 Depth=2
	s_andn2_saveexec_b32 s8, s8
	s_cbranch_execz .LBB46_11
; %bb.10:                               ;   in Loop: Header=BB46_7 Depth=2
	v_cndmask_b32_e64 v3, 0, 0x3ff00000, s25
	s_waitcnt vmcnt(0)
	v_mov_b32_e32 v41, v3
	v_mov_b32_e32 v40, v2
.LBB46_11:                              ;   in Loop: Header=BB46_7 Depth=2
	s_or_b32 exec_lo, exec_lo, s8
	v_cmp_eq_u64_e64 s8, s[20:21], v[10:11]
	v_cmp_lt_i64_e64 s9, v[6:7], v[38:39]
	s_waitcnt vmcnt(0)
	ds_write_b64 v44, v[40:41]
	s_and_b32 s8, s41, s8
	s_or_b32 s6, s6, s9
	s_or_b32 s6, s6, s8
	s_nor_b32 s6, s3, s6
	s_and_saveexec_b32 s9, s6
	s_xor_b32 s9, exec_lo, s9
	s_cbranch_execz .LBB46_13
; %bb.12:                               ;   in Loop: Header=BB46_7 Depth=2
	v_add_co_u32 v40, s6, v48, s16
	v_add_co_ci_u32_e64 v41, null, s17, v49, s6
	global_load_dwordx2 v[40:41], v[40:41], off
	s_waitcnt vmcnt(0)
	ds_write_b64 v44, v[40:41] offset:128
.LBB46_13:                              ;   in Loop: Header=BB46_7 Depth=2
	s_andn2_saveexec_b32 s6, s9
	s_cbranch_execz .LBB46_19
; %bb.14:                               ;   in Loop: Header=BB46_7 Depth=2
	s_xor_b32 s8, s8, -1
	s_and_saveexec_b32 s9, s8
	s_xor_b32 s8, exec_lo, s9
; %bb.15:                               ;   in Loop: Header=BB46_7 Depth=2
	v_mov_b32_e32 v3, v2
	ds_write_b64 v44, v[2:3] offset:128
; %bb.16:                               ;   in Loop: Header=BB46_7 Depth=2
	s_andn2_saveexec_b32 s8, s8
; %bb.17:                               ;   in Loop: Header=BB46_7 Depth=2
	v_mov_b32_e32 v3, v50
	ds_write_b64 v44, v[2:3] offset:128
; %bb.18:                               ;   in Loop: Header=BB46_7 Depth=2
	s_or_b32 exec_lo, exec_lo, s8
.LBB46_19:                              ;   in Loop: Header=BB46_7 Depth=2
	s_or_b32 exec_lo, exec_lo, s6
	v_add_co_u32 v38, s6, v38, 16
	v_add_co_ci_u32_e64 v39, null, 0, v39, s6
	v_cmp_eq_u64_e64 s8, s[20:21], v[14:15]
	v_cmp_le_i64_e64 s6, s[18:19], v[38:39]
	v_cmp_gt_i64_e64 s9, v[38:39], v[4:5]
                                        ; implicit-def: $vgpr38_vgpr39
	s_and_b32 s8, s41, s8
	s_or_b32 s9, s6, s9
	s_or_b32 s9, s9, s8
	s_nor_b32 s9, s0, s9
	s_and_saveexec_b32 s26, s9
	s_xor_b32 s9, exec_lo, s26
	s_cbranch_execz .LBB46_21
; %bb.20:                               ;   in Loop: Header=BB46_7 Depth=2
	global_load_dwordx2 v[38:39], v[36:37], off offset:128
.LBB46_21:                              ;   in Loop: Header=BB46_7 Depth=2
	s_andn2_saveexec_b32 s9, s9
	s_cbranch_execz .LBB46_23
; %bb.22:                               ;   in Loop: Header=BB46_7 Depth=2
	v_cndmask_b32_e64 v3, 0, 0x3ff00000, s8
	s_waitcnt vmcnt(0)
	v_mov_b32_e32 v39, v3
	v_mov_b32_e32 v38, v2
.LBB46_23:                              ;   in Loop: Header=BB46_7 Depth=2
	s_or_b32 exec_lo, exec_lo, s9
	s_or_b32 s5, s6, s5
	s_waitcnt vmcnt(0)
	ds_write_b64 v44, v[38:39] offset:4096
	s_or_b32 s5, s5, s25
	s_nor_b32 s5, s3, s5
	s_and_saveexec_b32 s6, s5
	s_xor_b32 s6, exec_lo, s6
	s_cbranch_execz .LBB46_25
; %bb.24:                               ;   in Loop: Header=BB46_7 Depth=2
	v_add_co_u32 v36, s5, v48, s16
	v_add_co_ci_u32_e64 v37, null, s17, v49, s5
	global_load_dwordx2 v[36:37], v[36:37], off offset:128
	s_waitcnt vmcnt(0)
	ds_write_b64 v44, v[36:37] offset:4224
.LBB46_25:                              ;   in Loop: Header=BB46_7 Depth=2
	s_andn2_saveexec_b32 s5, s6
	s_cbranch_execz .LBB46_31
; %bb.26:                               ;   in Loop: Header=BB46_7 Depth=2
	s_xor_b32 s6, s25, -1
	s_and_saveexec_b32 s8, s6
	s_xor_b32 s6, exec_lo, s8
; %bb.27:                               ;   in Loop: Header=BB46_7 Depth=2
	v_mov_b32_e32 v3, v2
	ds_write_b64 v44, v[2:3] offset:4224
; %bb.28:                               ;   in Loop: Header=BB46_7 Depth=2
	s_andn2_saveexec_b32 s6, s6
; %bb.29:                               ;   in Loop: Header=BB46_7 Depth=2
	v_mov_b32_e32 v3, v50
	ds_write_b64 v44, v[2:3] offset:4224
; %bb.30:                               ;   in Loop: Header=BB46_7 Depth=2
	s_or_b32 exec_lo, exec_lo, s6
.LBB46_31:                              ;   in Loop: Header=BB46_7 Depth=2
	s_or_b32 exec_lo, exec_lo, s5
	v_add_co_u32 v38, s5, v0, s20
	v_add_co_ci_u32_e64 v39, null, 0, s21, s5
	v_add_co_u32 v36, s6, v24, s16
	v_mov_b32_e32 v40, 0
	v_cmp_gt_i64_e64 s5, s[18:19], v[38:39]
	v_mov_b32_e32 v41, 0
	v_add_co_ci_u32_e64 v37, null, s17, v25, s6
	s_and_b32 s8, vcc_lo, s5
	s_and_saveexec_b32 s6, s8
	s_cbranch_execz .LBB46_33
; %bb.32:                               ;   in Loop: Header=BB46_7 Depth=2
	global_load_dwordx2 v[40:41], v[36:37], off offset:-128
.LBB46_33:                              ;   in Loop: Header=BB46_7 Depth=2
	s_or_b32 exec_lo, exec_lo, s6
	v_cmp_gt_i64_e64 s6, s[22:23], v[38:39]
	s_waitcnt vmcnt(0)
	ds_write_b64 v45, v[40:41]
	s_and_b32 s8, vcc_lo, s6
	s_xor_b32 s8, s8, -1
	s_and_saveexec_b32 s9, s8
	s_xor_b32 s8, exec_lo, s9
; %bb.34:                               ;   in Loop: Header=BB46_7 Depth=2
	v_mov_b32_e32 v3, v2
                                        ; implicit-def: $vgpr36_vgpr37
	ds_write_b64 v45, v[2:3] offset:128
; %bb.35:                               ;   in Loop: Header=BB46_7 Depth=2
	s_andn2_saveexec_b32 s8, s8
	s_cbranch_execz .LBB46_37
; %bb.36:                               ;   in Loop: Header=BB46_7 Depth=2
	global_load_dwordx2 v[36:37], v[36:37], off
	s_waitcnt vmcnt(0)
	ds_write_b64 v45, v[36:37] offset:128
.LBB46_37:                              ;   in Loop: Header=BB46_7 Depth=2
	s_or_b32 exec_lo, exec_lo, s8
	v_add_co_u32 v36, s8, v26, s16
	v_mov_b32_e32 v38, 0
	v_mov_b32_e32 v39, 0
	v_add_co_ci_u32_e64 v37, null, s17, v27, s8
	s_and_b32 s8, s4, s5
	s_and_saveexec_b32 s5, s8
	s_cbranch_execz .LBB46_39
; %bb.38:                               ;   in Loop: Header=BB46_7 Depth=2
	global_load_dwordx2 v[38:39], v[36:37], off
.LBB46_39:                              ;   in Loop: Header=BB46_7 Depth=2
	s_or_b32 exec_lo, exec_lo, s5
	s_and_b32 s5, s4, s6
	s_waitcnt vmcnt(0)
	ds_write_b64 v45, v[38:39] offset:4096
	s_xor_b32 s5, s5, -1
	s_and_saveexec_b32 s6, s5
	s_xor_b32 s5, exec_lo, s6
; %bb.40:                               ;   in Loop: Header=BB46_7 Depth=2
	v_mov_b32_e32 v3, v2
                                        ; implicit-def: $vgpr36_vgpr37
	ds_write_b64 v45, v[2:3] offset:4224
; %bb.41:                               ;   in Loop: Header=BB46_7 Depth=2
	s_andn2_saveexec_b32 s5, s5
	s_cbranch_execz .LBB46_6
; %bb.42:                               ;   in Loop: Header=BB46_7 Depth=2
	global_load_dwordx2 v[36:37], v[36:37], off offset:128
	s_waitcnt vmcnt(0)
	ds_write_b64 v45, v[36:37] offset:4224
	s_branch .LBB46_6
.LBB46_43:                              ;   in Loop: Header=BB46_4 Depth=1
	v_mul_lo_u32 v3, s29, v54
	v_mul_lo_u32 v21, s28, v55
	v_mad_u64_u32 v[24:25], null, s28, v54, 0
	v_cmp_gt_i32_e32 vcc_lo, s14, v54
	v_add3_u32 v25, v25, v21, v3
	v_lshlrev_b64 v[24:25], 3, v[24:25]
	v_add_co_u32 v3, s4, s30, v24
	v_add_co_ci_u32_e64 v21, null, s31, v25, s4
	s_and_b32 s4, s1, vcc_lo
	s_and_saveexec_b32 s5, s4
	s_cbranch_execz .LBB46_45
; %bb.44:                               ;   in Loop: Header=BB46_4 Depth=1
	v_add_co_u32 v24, s4, v3, v12
	v_add_co_ci_u32_e64 v25, null, v21, v13, s4
	global_load_dwordx2 v[26:27], v[24:25], off
	s_waitcnt vmcnt(0)
	v_fma_f64 v[26:27], s[10:11], v[34:35], v[26:27]
	global_store_dwordx2 v[24:25], v[26:27], off
.LBB46_45:                              ;   in Loop: Header=BB46_4 Depth=1
	s_or_b32 exec_lo, exec_lo, s5
	s_and_b32 s5, s2, vcc_lo
	s_and_saveexec_b32 s4, s5
	s_cbranch_execz .LBB46_47
; %bb.46:                               ;   in Loop: Header=BB46_4 Depth=1
	v_add_co_u32 v24, vcc_lo, v3, v22
	v_add_co_ci_u32_e64 v25, null, v21, v23, vcc_lo
	global_load_dwordx2 v[26:27], v[24:25], off
	s_waitcnt vmcnt(0)
	v_fma_f64 v[26:27], s[10:11], v[32:33], v[26:27]
	global_store_dwordx2 v[24:25], v[26:27], off
.LBB46_47:                              ;   in Loop: Header=BB46_4 Depth=1
	s_or_b32 exec_lo, exec_lo, s4
	v_add_nc_u32_e32 v3, 16, v54
	v_ashrrev_i32_e32 v21, 31, v3
	v_mul_lo_u32 v26, s29, v3
	v_mad_u64_u32 v[24:25], null, s28, v3, 0
	v_cmp_gt_i32_e32 vcc_lo, s14, v3
	v_mul_lo_u32 v21, s28, v21
	v_add3_u32 v25, v25, v21, v26
	v_lshlrev_b64 v[24:25], 3, v[24:25]
	v_add_co_u32 v3, s4, s30, v24
	v_add_co_ci_u32_e64 v21, null, s31, v25, s4
	s_and_b32 s4, s1, vcc_lo
	s_and_saveexec_b32 s5, s4
	s_cbranch_execz .LBB46_49
; %bb.48:                               ;   in Loop: Header=BB46_4 Depth=1
	v_add_co_u32 v24, s4, v3, v12
	v_add_co_ci_u32_e64 v25, null, v21, v13, s4
	global_load_dwordx2 v[26:27], v[24:25], off
	s_waitcnt vmcnt(0)
	v_fma_f64 v[26:27], s[10:11], v[30:31], v[26:27]
	global_store_dwordx2 v[24:25], v[26:27], off
.LBB46_49:                              ;   in Loop: Header=BB46_4 Depth=1
	s_or_b32 exec_lo, exec_lo, s5
	s_and_b32 s5, s2, vcc_lo
	s_and_saveexec_b32 s4, s5
	s_cbranch_execz .LBB46_3
; %bb.50:                               ;   in Loop: Header=BB46_4 Depth=1
	v_add_co_u32 v24, vcc_lo, v3, v22
	v_add_co_ci_u32_e64 v25, null, v21, v23, vcc_lo
	global_load_dwordx2 v[26:27], v[24:25], off
	s_waitcnt vmcnt(0)
	v_fma_f64 v[26:27], s[10:11], v[28:29], v[26:27]
	global_store_dwordx2 v[24:25], v[26:27], off
	s_branch .LBB46_3
.LBB46_51:
	s_endpgm
	.section	.rodata,"a",@progbits
	.p2align	6, 0x0
	.amdhsa_kernel _ZL30rocblas_trmm_outofplace_kernelIdLi32ELi2ELb1ELb1ELb1ELb1EPKdS0_dEv17rocblas_diagonal_iiT6_lPT7_lllS5_lllPT8_llli
		.amdhsa_group_segment_fixed_size 16384
		.amdhsa_private_segment_fixed_size 0
		.amdhsa_kernarg_size 392
		.amdhsa_user_sgpr_count 6
		.amdhsa_user_sgpr_private_segment_buffer 1
		.amdhsa_user_sgpr_dispatch_ptr 0
		.amdhsa_user_sgpr_queue_ptr 0
		.amdhsa_user_sgpr_kernarg_segment_ptr 1
		.amdhsa_user_sgpr_dispatch_id 0
		.amdhsa_user_sgpr_flat_scratch_init 0
		.amdhsa_user_sgpr_private_segment_size 0
		.amdhsa_wavefront_size32 1
		.amdhsa_uses_dynamic_stack 0
		.amdhsa_system_sgpr_private_segment_wavefront_offset 0
		.amdhsa_system_sgpr_workgroup_id_x 1
		.amdhsa_system_sgpr_workgroup_id_y 1
		.amdhsa_system_sgpr_workgroup_id_z 1
		.amdhsa_system_sgpr_workgroup_info 0
		.amdhsa_system_vgpr_workitem_id 1
		.amdhsa_next_free_vgpr 76
		.amdhsa_next_free_sgpr 46
		.amdhsa_reserve_vcc 1
		.amdhsa_reserve_flat_scratch 0
		.amdhsa_float_round_mode_32 0
		.amdhsa_float_round_mode_16_64 0
		.amdhsa_float_denorm_mode_32 3
		.amdhsa_float_denorm_mode_16_64 3
		.amdhsa_dx10_clamp 1
		.amdhsa_ieee_mode 1
		.amdhsa_fp16_overflow 0
		.amdhsa_workgroup_processor_mode 1
		.amdhsa_memory_ordered 1
		.amdhsa_forward_progress 1
		.amdhsa_shared_vgpr_count 0
		.amdhsa_exception_fp_ieee_invalid_op 0
		.amdhsa_exception_fp_denorm_src 0
		.amdhsa_exception_fp_ieee_div_zero 0
		.amdhsa_exception_fp_ieee_overflow 0
		.amdhsa_exception_fp_ieee_underflow 0
		.amdhsa_exception_fp_ieee_inexact 0
		.amdhsa_exception_int_div_zero 0
	.end_amdhsa_kernel
	.section	.text._ZL30rocblas_trmm_outofplace_kernelIdLi32ELi2ELb1ELb1ELb1ELb1EPKdS0_dEv17rocblas_diagonal_iiT6_lPT7_lllS5_lllPT8_llli,"axG",@progbits,_ZL30rocblas_trmm_outofplace_kernelIdLi32ELi2ELb1ELb1ELb1ELb1EPKdS0_dEv17rocblas_diagonal_iiT6_lPT7_lllS5_lllPT8_llli,comdat
.Lfunc_end46:
	.size	_ZL30rocblas_trmm_outofplace_kernelIdLi32ELi2ELb1ELb1ELb1ELb1EPKdS0_dEv17rocblas_diagonal_iiT6_lPT7_lllS5_lllPT8_llli, .Lfunc_end46-_ZL30rocblas_trmm_outofplace_kernelIdLi32ELi2ELb1ELb1ELb1ELb1EPKdS0_dEv17rocblas_diagonal_iiT6_lPT7_lllS5_lllPT8_llli
                                        ; -- End function
	.set _ZL30rocblas_trmm_outofplace_kernelIdLi32ELi2ELb1ELb1ELb1ELb1EPKdS0_dEv17rocblas_diagonal_iiT6_lPT7_lllS5_lllPT8_llli.num_vgpr, 76
	.set _ZL30rocblas_trmm_outofplace_kernelIdLi32ELi2ELb1ELb1ELb1ELb1EPKdS0_dEv17rocblas_diagonal_iiT6_lPT7_lllS5_lllPT8_llli.num_agpr, 0
	.set _ZL30rocblas_trmm_outofplace_kernelIdLi32ELi2ELb1ELb1ELb1ELb1EPKdS0_dEv17rocblas_diagonal_iiT6_lPT7_lllS5_lllPT8_llli.numbered_sgpr, 46
	.set _ZL30rocblas_trmm_outofplace_kernelIdLi32ELi2ELb1ELb1ELb1ELb1EPKdS0_dEv17rocblas_diagonal_iiT6_lPT7_lllS5_lllPT8_llli.num_named_barrier, 0
	.set _ZL30rocblas_trmm_outofplace_kernelIdLi32ELi2ELb1ELb1ELb1ELb1EPKdS0_dEv17rocblas_diagonal_iiT6_lPT7_lllS5_lllPT8_llli.private_seg_size, 0
	.set _ZL30rocblas_trmm_outofplace_kernelIdLi32ELi2ELb1ELb1ELb1ELb1EPKdS0_dEv17rocblas_diagonal_iiT6_lPT7_lllS5_lllPT8_llli.uses_vcc, 1
	.set _ZL30rocblas_trmm_outofplace_kernelIdLi32ELi2ELb1ELb1ELb1ELb1EPKdS0_dEv17rocblas_diagonal_iiT6_lPT7_lllS5_lllPT8_llli.uses_flat_scratch, 0
	.set _ZL30rocblas_trmm_outofplace_kernelIdLi32ELi2ELb1ELb1ELb1ELb1EPKdS0_dEv17rocblas_diagonal_iiT6_lPT7_lllS5_lllPT8_llli.has_dyn_sized_stack, 0
	.set _ZL30rocblas_trmm_outofplace_kernelIdLi32ELi2ELb1ELb1ELb1ELb1EPKdS0_dEv17rocblas_diagonal_iiT6_lPT7_lllS5_lllPT8_llli.has_recursion, 0
	.set _ZL30rocblas_trmm_outofplace_kernelIdLi32ELi2ELb1ELb1ELb1ELb1EPKdS0_dEv17rocblas_diagonal_iiT6_lPT7_lllS5_lllPT8_llli.has_indirect_call, 0
	.section	.AMDGPU.csdata,"",@progbits
; Kernel info:
; codeLenInByte = 3868
; TotalNumSgprs: 48
; NumVgprs: 76
; ScratchSize: 0
; MemoryBound: 0
; FloatMode: 240
; IeeeMode: 1
; LDSByteSize: 16384 bytes/workgroup (compile time only)
; SGPRBlocks: 0
; VGPRBlocks: 9
; NumSGPRsForWavesPerEU: 48
; NumVGPRsForWavesPerEU: 76
; Occupancy: 12
; WaveLimiterHint : 0
; COMPUTE_PGM_RSRC2:SCRATCH_EN: 0
; COMPUTE_PGM_RSRC2:USER_SGPR: 6
; COMPUTE_PGM_RSRC2:TRAP_HANDLER: 0
; COMPUTE_PGM_RSRC2:TGID_X_EN: 1
; COMPUTE_PGM_RSRC2:TGID_Y_EN: 1
; COMPUTE_PGM_RSRC2:TGID_Z_EN: 1
; COMPUTE_PGM_RSRC2:TIDIG_COMP_CNT: 1
	.section	.text._ZL30rocblas_trmm_outofplace_kernelIdLi32ELi2ELb1ELb1ELb1ELb1EdKddEv17rocblas_diagonal_iiT6_lPT7_lllS4_lllPT8_llli,"axG",@progbits,_ZL30rocblas_trmm_outofplace_kernelIdLi32ELi2ELb1ELb1ELb1ELb1EdKddEv17rocblas_diagonal_iiT6_lPT7_lllS4_lllPT8_llli,comdat
	.globl	_ZL30rocblas_trmm_outofplace_kernelIdLi32ELi2ELb1ELb1ELb1ELb1EdKddEv17rocblas_diagonal_iiT6_lPT7_lllS4_lllPT8_llli ; -- Begin function _ZL30rocblas_trmm_outofplace_kernelIdLi32ELi2ELb1ELb1ELb1ELb1EdKddEv17rocblas_diagonal_iiT6_lPT7_lllS4_lllPT8_llli
	.p2align	8
	.type	_ZL30rocblas_trmm_outofplace_kernelIdLi32ELi2ELb1ELb1ELb1ELb1EdKddEv17rocblas_diagonal_iiT6_lPT7_lllS4_lllPT8_llli,@function
_ZL30rocblas_trmm_outofplace_kernelIdLi32ELi2ELb1ELb1ELb1ELb1EdKddEv17rocblas_diagonal_iiT6_lPT7_lllS4_lllPT8_llli: ; @_ZL30rocblas_trmm_outofplace_kernelIdLi32ELi2ELb1ELb1ELb1ELb1EdKddEv17rocblas_diagonal_iiT6_lPT7_lllS4_lllPT8_llli
; %bb.0:
	s_load_dwordx2 s[10:11], s[4:5], 0x10
	s_waitcnt lgkmcnt(0)
	v_cmp_eq_f64_e64 s0, s[10:11], 0
	s_and_b32 vcc_lo, exec_lo, s0
	s_cbranch_vccnz .LBB47_51
; %bb.1:
	s_load_dwordx4 s[28:31], s[4:5], 0x0
	s_waitcnt lgkmcnt(0)
	s_add_i32 s0, s30, -1
	s_ashr_i32 s1, s0, 31
	s_lshr_b32 s1, s1, 27
	s_add_i32 s0, s0, s1
	s_ashr_i32 s31, s0, 5
	s_cmp_gt_i32 s7, s31
	s_cbranch_scc1 .LBB47_51
; %bb.2:
	s_clause 0x2
	s_load_dwordx16 s[12:27], s[4:5], 0x20
	s_load_dwordx8 s[36:43], s[4:5], 0x60
	s_load_dword s33, s[4:5], 0x8c
	v_lshlrev_b32_e32 v3, 8, v1
	v_lshlrev_b32_e32 v42, 3, v0
	;; [unrolled: 1-line block ×3, first 2 shown]
	s_mov_b32 s34, s29
	v_mov_b32_e32 v2, 0
	v_add_nc_u32_e32 v44, 0x2000, v3
	v_add_nc_u32_e32 v43, v42, v3
	v_mov_b32_e32 v50, 0x3ff00000
	v_add_nc_u32_e32 v51, 0x800, v42
	v_add_nc_u32_e32 v52, 0x1000, v42
	;; [unrolled: 1-line block ×4, first 2 shown]
	s_waitcnt lgkmcnt(0)
	s_mul_i32 s1, s19, s8
	s_mul_hi_u32 s2, s18, s8
	s_mul_i32 s0, s18, s8
	s_add_i32 s1, s2, s1
	s_mul_i32 s2, s43, s8
	s_lshl_b64 s[4:5], s[0:1], 3
	s_mul_hi_u32 s1, s42, s8
	s_add_u32 s3, s12, s4
	s_addc_u32 s9, s13, s5
	s_lshl_b64 s[44:45], s[14:15], 3
	s_mul_i32 s0, s42, s8
	s_add_u32 s18, s3, s44
	s_addc_u32 s19, s9, s45
	s_add_i32 s1, s1, s2
	s_mul_i32 s3, s27, s8
	s_lshl_b64 s[0:1], s[0:1], 3
	s_add_u32 s2, s36, s0
	s_addc_u32 s9, s37, s1
	s_lshl_b64 s[0:1], s[38:39], 3
	s_mul_hi_u32 s39, s26, s8
	s_add_u32 s27, s2, s0
	s_addc_u32 s36, s9, s1
	s_lshl_b32 s37, s6, 5
	s_cmp_gt_i32 s6, -1
	v_add_nc_u32_e32 v4, s37, v0
	s_cselect_b32 s38, -1, 0
	s_cmpk_eq_i32 s28, 0x84
	s_mul_i32 s2, s26, s8
	s_cselect_b32 s26, -1, 0
	v_ashrrev_i32_e32 v5, 31, v4
	v_mul_lo_u32 v3, s17, v4
	v_mad_u64_u32 v[8:9], null, s16, v4, 0
	s_ashr_i32 s35, s29, 31
	v_mul_lo_u32 v6, s16, v5
	s_ashr_i32 s28, s30, 31
	v_lshlrev_b64 v[12:13], 3, v[4:5]
	s_add_u32 s14, s29, -16
	s_addc_u32 s15, s35, -1
	s_add_i32 s3, s39, s3
	v_add_nc_u32_e32 v21, 16, v4
	s_lshl_b64 s[8:9], s[2:3], 3
	v_add3_u32 v9, v9, v6, v3
	v_add_co_u32 v6, vcc_lo, v4, 16
	v_add_co_ci_u32_e64 v7, null, 0, v5, vcc_lo
	v_lshlrev_b64 v[10:11], 3, v[8:9]
	v_sub_co_u32 v8, vcc_lo, v4, v1
	v_subrev_co_ci_u32_e64 v9, null, 0, v5, vcc_lo
	v_ashrrev_i32_e32 v22, 31, v21
	v_add_co_u32 v3, vcc_lo, s18, v10
	v_add_co_ci_u32_e64 v10, null, s19, v11, vcc_lo
	s_lshl_b64 s[18:19], s[22:23], 3
	v_add_co_u32 v46, vcc_lo, v3, v20
	v_add_co_ci_u32_e64 v47, null, 0, v10, vcc_lo
	v_add_co_u32 v10, vcc_lo, v8, 16
	v_add_co_ci_u32_e64 v11, null, 0, v9, vcc_lo
	s_add_u32 s6, s8, s18
	v_add_co_u32 v3, vcc_lo, 0x80, v12
	s_addc_u32 s8, s9, s19
	s_add_u32 s6, s20, s6
	v_add_co_ci_u32_e64 v14, null, 0, v13, vcc_lo
	s_addc_u32 s8, s21, s8
	s_lshl_b64 s[18:19], s[24:25], 3
	s_lshl_b32 s20, s33, 5
	s_add_u32 s4, s44, s4
	s_addc_u32 s5, s45, s5
	v_mul_lo_u32 v18, s16, v14
	v_mad_u64_u32 v[23:24], null, s16, v3, s[4:5]
	v_mul_lo_u32 v3, s17, v3
	v_add_co_u32 v16, s4, s6, v42
	v_add_co_ci_u32_e64 v17, null, s8, 0, s4
	v_add_co_u32 v14, vcc_lo, v8, -16
	v_add_co_ci_u32_e64 v15, null, -1, v9, vcc_lo
	v_add3_u32 v3, v3, v24, v18
	v_add_co_u32 v18, vcc_lo, 0x80, v16
	v_add_co_ci_u32_e64 v19, null, 0, v17, vcc_lo
	v_add_co_u32 v23, vcc_lo, v23, v20
	v_add_co_ci_u32_e64 v3, null, 0, v3, vcc_lo
	v_cmp_le_i64_e64 s3, s[34:35], v[6:7]
	v_add_co_u32 v48, vcc_lo, s12, v23
	v_lshlrev_b64 v[22:23], 3, v[21:22]
	v_cmp_le_i32_e64 s0, s29, v4
	v_cmp_gt_i32_e64 s1, s29, v4
	v_cmp_gt_i32_e64 s2, s29, v21
	v_lshl_add_u32 v20, s7, 5, v1
	v_add_co_ci_u32_e64 v49, null, s13, v3, vcc_lo
	s_branch .LBB47_4
.LBB47_3:                               ;   in Loop: Header=BB47_4 Depth=1
	s_or_b32 exec_lo, exec_lo, s4
	v_add_nc_u32_e32 v20, s20, v20
	s_add_i32 s7, s33, s7
	s_cmp_le_i32 s7, s31
	s_cbranch_scc0 .LBB47_51
.LBB47_4:                               ; =>This Loop Header: Depth=1
                                        ;     Child Loop BB47_7 Depth 2
	v_lshl_add_u32 v54, s7, 5, v1
	v_mov_b32_e32 v34, 0
	v_mov_b32_e32 v32, 0
	;; [unrolled: 1-line block ×8, first 2 shown]
	v_ashrrev_i32_e32 v55, 31, v54
	s_andn2_b32 vcc_lo, exec_lo, s38
	s_cbranch_vccnz .LBB47_43
; %bb.5:                                ;   in Loop: Header=BB47_4 Depth=1
	v_ashrrev_i32_e32 v21, 31, v20
	v_mad_u64_u32 v[24:25], null, s18, v20, v[18:19]
	v_mul_lo_u32 v3, s19, v20
	v_mov_b32_e32 v30, 0
	v_lshlrev_b64 v[26:27], 3, v[20:21]
	v_mul_lo_u32 v21, s18, v21
	v_mov_b32_e32 v32, 0
	v_mov_b32_e32 v34, 0
	;; [unrolled: 1-line block ×4, first 2 shown]
	v_add_co_u32 v26, vcc_lo, 0x80, v26
	v_add_co_ci_u32_e64 v27, null, 0, v27, vcc_lo
	v_sub_co_u32 v28, vcc_lo, s30, v54
	v_mul_lo_u32 v37, s25, v26
	v_mul_lo_u32 v36, s24, v27
	v_mad_u64_u32 v[26:27], null, s24, v26, v[16:17]
	v_sub_co_ci_u32_e64 v29, null, s28, v55, vcc_lo
	v_add3_u32 v25, v3, v25, v21
	v_mov_b32_e32 v35, 0
	s_mov_b64 s[12:13], 0
	v_cmp_lt_i64_e32 vcc_lo, 0, v[28:29]
	v_cmp_lt_i64_e64 s4, 16, v[28:29]
	v_mov_b32_e32 v28, 0
	v_mov_b32_e32 v29, 0
	v_add3_u32 v27, v37, v27, v36
	s_mov_b64 s[16:17], 0
	s_branch .LBB47_7
.LBB47_6:                               ;   in Loop: Header=BB47_7 Depth=2
	s_or_b32 exec_lo, exec_lo, s5
	s_waitcnt lgkmcnt(0)
	s_barrier
	buffer_gl0_inv
	ds_read_b128 v[36:39], v44
	ds_read2_b64 v[56:59], v42 offset1:16
	ds_read_b128 v[60:63], v44 offset:4096
	ds_read_b128 v[64:67], v44 offset:16
	ds_read2_b64 v[68:71], v42 offset0:32 offset1:48
	ds_read_b128 v[72:75], v44 offset:4112
	s_add_u32 s16, s16, 32
	s_addc_u32 s17, s17, 0
	s_sub_i32 s5, s16, 32
	s_add_u32 s12, s12, 0x100
	s_addc_u32 s13, s13, 0
	s_cmp_ge_i32 s5, s37
	s_waitcnt lgkmcnt(4)
	v_fma_f64 v[34:35], v[56:57], v[36:37], v[34:35]
	v_fma_f64 v[32:33], v[58:59], v[36:37], v[32:33]
	s_waitcnt lgkmcnt(3)
	v_fma_f64 v[36:37], v[56:57], v[60:61], v[30:31]
	v_fma_f64 v[40:41], v[58:59], v[60:61], v[28:29]
	ds_read2_b64 v[28:31], v42 offset0:64 offset1:80
	s_waitcnt lgkmcnt(2)
	v_fma_f64 v[56:57], v[68:69], v[38:39], v[34:35]
	v_fma_f64 v[38:39], v[70:71], v[38:39], v[32:33]
	;; [unrolled: 1-line block ×4, first 2 shown]
	ds_read2_b64 v[32:35], v42 offset0:96 offset1:112
	s_waitcnt lgkmcnt(1)
	v_fma_f64 v[56:57], v[28:29], v[64:65], v[56:57]
	v_fma_f64 v[58:59], v[30:31], v[64:65], v[38:39]
	;; [unrolled: 1-line block ×4, first 2 shown]
	ds_read_b128 v[28:31], v44 offset:32
	ds_read2_b64 v[36:39], v42 offset0:128 offset1:144
	s_waitcnt lgkmcnt(2)
	v_fma_f64 v[68:69], v[32:33], v[66:67], v[56:57]
	v_fma_f64 v[70:71], v[34:35], v[66:67], v[58:59]
	;; [unrolled: 1-line block ×4, first 2 shown]
	ds_read_b128 v[32:35], v44 offset:4128
	ds_read_b128 v[56:59], v44 offset:48
	ds_read2_b64 v[60:63], v42 offset0:160 offset1:176
	ds_read_b128 v[64:67], v44 offset:4144
	s_waitcnt lgkmcnt(4)
	v_fma_f64 v[68:69], v[36:37], v[28:29], v[68:69]
	v_fma_f64 v[28:29], v[38:39], v[28:29], v[70:71]
	s_waitcnt lgkmcnt(3)
	v_fma_f64 v[70:71], v[36:37], v[32:33], v[72:73]
	v_fma_f64 v[32:33], v[38:39], v[32:33], v[40:41]
	ds_read2_b64 v[36:39], v42 offset0:192 offset1:208
	s_waitcnt lgkmcnt(2)
	v_fma_f64 v[40:41], v[60:61], v[30:31], v[68:69]
	v_fma_f64 v[68:69], v[62:63], v[30:31], v[28:29]
	v_fma_f64 v[60:61], v[60:61], v[34:35], v[70:71]
	v_fma_f64 v[32:33], v[62:63], v[34:35], v[32:33]
	ds_read2_b64 v[28:31], v42 offset0:224 offset1:240
	s_waitcnt lgkmcnt(1)
	v_fma_f64 v[40:41], v[36:37], v[56:57], v[40:41]
	v_fma_f64 v[56:57], v[38:39], v[56:57], v[68:69]
	v_fma_f64 v[60:61], v[36:37], v[64:65], v[60:61]
	v_fma_f64 v[62:63], v[38:39], v[64:65], v[32:33]
	ds_read_b128 v[32:35], v44 offset:64
	ds_read2_b64 v[36:39], v51 offset1:16
	s_waitcnt lgkmcnt(2)
	v_fma_f64 v[40:41], v[28:29], v[58:59], v[40:41]
	v_fma_f64 v[68:69], v[30:31], v[58:59], v[56:57]
	v_fma_f64 v[70:71], v[28:29], v[66:67], v[60:61]
	v_fma_f64 v[72:73], v[30:31], v[66:67], v[62:63]
	ds_read_b128 v[28:31], v44 offset:4160
	ds_read2_b64 v[56:59], v51 offset0:32 offset1:48
	ds_read_b128 v[60:63], v44 offset:80
	ds_read_b128 v[64:67], v44 offset:4176
	s_waitcnt lgkmcnt(4)
	v_fma_f64 v[40:41], v[36:37], v[32:33], v[40:41]
	v_fma_f64 v[32:33], v[38:39], v[32:33], v[68:69]
	s_waitcnt lgkmcnt(3)
	v_fma_f64 v[68:69], v[36:37], v[28:29], v[70:71]
	v_fma_f64 v[28:29], v[38:39], v[28:29], v[72:73]
	ds_read2_b64 v[36:39], v51 offset0:64 offset1:80
	s_waitcnt lgkmcnt(3)
	v_fma_f64 v[40:41], v[56:57], v[34:35], v[40:41]
	v_fma_f64 v[32:33], v[58:59], v[34:35], v[32:33]
	v_fma_f64 v[34:35], v[56:57], v[30:31], v[68:69]
	v_fma_f64 v[56:57], v[58:59], v[30:31], v[28:29]
	ds_read2_b64 v[28:31], v51 offset0:96 offset1:112
	s_waitcnt lgkmcnt(1)
	v_fma_f64 v[40:41], v[36:37], v[60:61], v[40:41]
	v_fma_f64 v[58:59], v[38:39], v[60:61], v[32:33]
	v_fma_f64 v[60:61], v[36:37], v[64:65], v[34:35]
	v_fma_f64 v[56:57], v[38:39], v[64:65], v[56:57]
	ds_read_b128 v[32:35], v44 offset:96
	ds_read2_b64 v[36:39], v51 offset0:128 offset1:144
	s_waitcnt lgkmcnt(2)
	v_fma_f64 v[40:41], v[28:29], v[62:63], v[40:41]
	v_fma_f64 v[68:69], v[30:31], v[62:63], v[58:59]
	v_fma_f64 v[70:71], v[28:29], v[66:67], v[60:61]
	v_fma_f64 v[72:73], v[30:31], v[66:67], v[56:57]
	ds_read_b128 v[28:31], v44 offset:4192
	ds_read2_b64 v[56:59], v51 offset0:160 offset1:176
	ds_read_b128 v[60:63], v44 offset:112
	ds_read_b128 v[64:67], v44 offset:4208
	s_waitcnt lgkmcnt(4)
	v_fma_f64 v[40:41], v[36:37], v[32:33], v[40:41]
	v_fma_f64 v[32:33], v[38:39], v[32:33], v[68:69]
	s_waitcnt lgkmcnt(3)
	v_fma_f64 v[68:69], v[36:37], v[28:29], v[70:71]
	v_fma_f64 v[28:29], v[38:39], v[28:29], v[72:73]
	ds_read2_b64 v[36:39], v51 offset0:192 offset1:208
	s_waitcnt lgkmcnt(3)
	v_fma_f64 v[40:41], v[56:57], v[34:35], v[40:41]
	v_fma_f64 v[32:33], v[58:59], v[34:35], v[32:33]
	v_fma_f64 v[34:35], v[56:57], v[30:31], v[68:69]
	v_fma_f64 v[56:57], v[58:59], v[30:31], v[28:29]
	ds_read2_b64 v[28:31], v51 offset0:224 offset1:240
	s_waitcnt lgkmcnt(1)
	v_fma_f64 v[40:41], v[36:37], v[60:61], v[40:41]
	v_fma_f64 v[58:59], v[38:39], v[60:61], v[32:33]
	v_fma_f64 v[60:61], v[36:37], v[64:65], v[34:35]
	v_fma_f64 v[56:57], v[38:39], v[64:65], v[56:57]
	ds_read_b128 v[32:35], v44 offset:128
	ds_read2_b64 v[36:39], v52 offset1:16
	s_waitcnt lgkmcnt(2)
	v_fma_f64 v[40:41], v[28:29], v[62:63], v[40:41]
	v_fma_f64 v[68:69], v[30:31], v[62:63], v[58:59]
	v_fma_f64 v[70:71], v[28:29], v[66:67], v[60:61]
	v_fma_f64 v[72:73], v[30:31], v[66:67], v[56:57]
	ds_read_b128 v[28:31], v44 offset:4224
	ds_read2_b64 v[56:59], v52 offset0:32 offset1:48
	ds_read_b128 v[60:63], v44 offset:144
	ds_read_b128 v[64:67], v44 offset:4240
	s_waitcnt lgkmcnt(4)
	v_fma_f64 v[40:41], v[36:37], v[32:33], v[40:41]
	v_fma_f64 v[32:33], v[38:39], v[32:33], v[68:69]
	s_waitcnt lgkmcnt(3)
	v_fma_f64 v[68:69], v[36:37], v[28:29], v[70:71]
	v_fma_f64 v[28:29], v[38:39], v[28:29], v[72:73]
	ds_read2_b64 v[36:39], v52 offset0:64 offset1:80
	s_waitcnt lgkmcnt(3)
	v_fma_f64 v[40:41], v[56:57], v[34:35], v[40:41]
	v_fma_f64 v[32:33], v[58:59], v[34:35], v[32:33]
	v_fma_f64 v[34:35], v[56:57], v[30:31], v[68:69]
	v_fma_f64 v[56:57], v[58:59], v[30:31], v[28:29]
	ds_read2_b64 v[28:31], v52 offset0:96 offset1:112
	s_waitcnt lgkmcnt(1)
	v_fma_f64 v[40:41], v[36:37], v[60:61], v[40:41]
	v_fma_f64 v[58:59], v[38:39], v[60:61], v[32:33]
	v_fma_f64 v[60:61], v[36:37], v[64:65], v[34:35]
	v_fma_f64 v[56:57], v[38:39], v[64:65], v[56:57]
	ds_read_b128 v[32:35], v44 offset:160
	ds_read2_b64 v[36:39], v52 offset0:128 offset1:144
	s_waitcnt lgkmcnt(2)
	v_fma_f64 v[40:41], v[28:29], v[62:63], v[40:41]
	v_fma_f64 v[68:69], v[30:31], v[62:63], v[58:59]
	v_fma_f64 v[70:71], v[28:29], v[66:67], v[60:61]
	v_fma_f64 v[72:73], v[30:31], v[66:67], v[56:57]
	ds_read_b128 v[28:31], v44 offset:4256
	ds_read2_b64 v[56:59], v52 offset0:160 offset1:176
	ds_read_b128 v[60:63], v44 offset:176
	;; [unrolled: 58-line block ×3, first 2 shown]
	ds_read_b128 v[64:67], v44 offset:4336
	s_waitcnt lgkmcnt(4)
	v_fma_f64 v[40:41], v[36:37], v[32:33], v[40:41]
	v_fma_f64 v[32:33], v[38:39], v[32:33], v[68:69]
	s_waitcnt lgkmcnt(3)
	v_fma_f64 v[68:69], v[36:37], v[28:29], v[70:71]
	v_fma_f64 v[28:29], v[38:39], v[28:29], v[72:73]
	ds_read2_b64 v[36:39], v53 offset0:192 offset1:208
	s_waitcnt lgkmcnt(3)
	v_fma_f64 v[40:41], v[56:57], v[34:35], v[40:41]
	v_fma_f64 v[32:33], v[58:59], v[34:35], v[32:33]
	;; [unrolled: 1-line block ×4, first 2 shown]
	ds_read2_b64 v[56:59], v53 offset0:224 offset1:240
	s_waitcnt lgkmcnt(0)
	s_barrier
	buffer_gl0_inv
	v_fma_f64 v[30:31], v[36:37], v[60:61], v[40:41]
	v_fma_f64 v[32:33], v[38:39], v[60:61], v[32:33]
	;; [unrolled: 1-line block ×8, first 2 shown]
	s_cbranch_scc1 .LBB47_43
.LBB47_7:                               ;   Parent Loop BB47_4 Depth=1
                                        ; =>  This Inner Loop Header: Depth=2
	v_add_co_u32 v38, s5, v1, s16
	v_add_co_ci_u32_e64 v39, null, 0, s17, s5
	v_cmp_eq_u64_e64 s8, s[16:17], v[8:9]
                                        ; implicit-def: $vgpr40_vgpr41
	v_cmp_le_i64_e64 s6, s[34:35], v[38:39]
	v_cmp_gt_i64_e64 s5, v[38:39], v[4:5]
	s_and_b32 s21, s26, s8
	v_add_co_u32 v36, s8, v46, s12
	v_add_co_ci_u32_e64 v37, null, s13, v47, s8
	s_or_b32 s9, s6, s5
	s_or_b32 s8, s9, s21
	s_nor_b32 s8, s0, s8
	s_and_saveexec_b32 s9, s8
	s_xor_b32 s8, exec_lo, s9
	s_cbranch_execz .LBB47_9
; %bb.8:                                ;   in Loop: Header=BB47_7 Depth=2
	global_load_dwordx2 v[40:41], v[36:37], off
.LBB47_9:                               ;   in Loop: Header=BB47_7 Depth=2
	s_andn2_saveexec_b32 s8, s8
	s_cbranch_execz .LBB47_11
; %bb.10:                               ;   in Loop: Header=BB47_7 Depth=2
	v_cndmask_b32_e64 v3, 0, 0x3ff00000, s21
	s_waitcnt vmcnt(0)
	v_mov_b32_e32 v41, v3
	v_mov_b32_e32 v40, v2
.LBB47_11:                              ;   in Loop: Header=BB47_7 Depth=2
	s_or_b32 exec_lo, exec_lo, s8
	v_cmp_eq_u64_e64 s8, s[16:17], v[10:11]
	v_cmp_lt_i64_e64 s9, v[6:7], v[38:39]
	s_waitcnt vmcnt(0)
	ds_write_b64 v43, v[40:41]
	s_and_b32 s8, s26, s8
	s_or_b32 s6, s6, s9
	s_or_b32 s6, s6, s8
	s_nor_b32 s6, s3, s6
	s_and_saveexec_b32 s9, s6
	s_xor_b32 s9, exec_lo, s9
	s_cbranch_execz .LBB47_13
; %bb.12:                               ;   in Loop: Header=BB47_7 Depth=2
	v_add_co_u32 v40, s6, v48, s12
	v_add_co_ci_u32_e64 v41, null, s13, v49, s6
	global_load_dwordx2 v[40:41], v[40:41], off
	s_waitcnt vmcnt(0)
	ds_write_b64 v43, v[40:41] offset:128
.LBB47_13:                              ;   in Loop: Header=BB47_7 Depth=2
	s_andn2_saveexec_b32 s6, s9
	s_cbranch_execz .LBB47_19
; %bb.14:                               ;   in Loop: Header=BB47_7 Depth=2
	s_xor_b32 s8, s8, -1
	s_and_saveexec_b32 s9, s8
	s_xor_b32 s8, exec_lo, s9
; %bb.15:                               ;   in Loop: Header=BB47_7 Depth=2
	v_mov_b32_e32 v3, v2
	ds_write_b64 v43, v[2:3] offset:128
; %bb.16:                               ;   in Loop: Header=BB47_7 Depth=2
	s_andn2_saveexec_b32 s8, s8
; %bb.17:                               ;   in Loop: Header=BB47_7 Depth=2
	v_mov_b32_e32 v3, v50
	ds_write_b64 v43, v[2:3] offset:128
; %bb.18:                               ;   in Loop: Header=BB47_7 Depth=2
	s_or_b32 exec_lo, exec_lo, s8
.LBB47_19:                              ;   in Loop: Header=BB47_7 Depth=2
	s_or_b32 exec_lo, exec_lo, s6
	v_add_co_u32 v38, s6, v38, 16
	v_add_co_ci_u32_e64 v39, null, 0, v39, s6
	v_cmp_eq_u64_e64 s8, s[16:17], v[14:15]
	v_cmp_le_i64_e64 s6, s[34:35], v[38:39]
	v_cmp_gt_i64_e64 s9, v[38:39], v[4:5]
                                        ; implicit-def: $vgpr38_vgpr39
	s_and_b32 s8, s26, s8
	s_or_b32 s9, s6, s9
	s_or_b32 s9, s9, s8
	s_nor_b32 s9, s0, s9
	s_and_saveexec_b32 s22, s9
	s_xor_b32 s9, exec_lo, s22
	s_cbranch_execz .LBB47_21
; %bb.20:                               ;   in Loop: Header=BB47_7 Depth=2
	global_load_dwordx2 v[38:39], v[36:37], off offset:128
.LBB47_21:                              ;   in Loop: Header=BB47_7 Depth=2
	s_andn2_saveexec_b32 s9, s9
	s_cbranch_execz .LBB47_23
; %bb.22:                               ;   in Loop: Header=BB47_7 Depth=2
	v_cndmask_b32_e64 v3, 0, 0x3ff00000, s8
	s_waitcnt vmcnt(0)
	v_mov_b32_e32 v39, v3
	v_mov_b32_e32 v38, v2
.LBB47_23:                              ;   in Loop: Header=BB47_7 Depth=2
	s_or_b32 exec_lo, exec_lo, s9
	s_or_b32 s5, s6, s5
	s_waitcnt vmcnt(0)
	ds_write_b64 v43, v[38:39] offset:4096
	s_or_b32 s5, s5, s21
	s_nor_b32 s5, s3, s5
	s_and_saveexec_b32 s6, s5
	s_xor_b32 s6, exec_lo, s6
	s_cbranch_execz .LBB47_25
; %bb.24:                               ;   in Loop: Header=BB47_7 Depth=2
	v_add_co_u32 v36, s5, v48, s12
	v_add_co_ci_u32_e64 v37, null, s13, v49, s5
	global_load_dwordx2 v[36:37], v[36:37], off offset:128
	s_waitcnt vmcnt(0)
	ds_write_b64 v43, v[36:37] offset:4224
.LBB47_25:                              ;   in Loop: Header=BB47_7 Depth=2
	s_andn2_saveexec_b32 s5, s6
	s_cbranch_execz .LBB47_31
; %bb.26:                               ;   in Loop: Header=BB47_7 Depth=2
	s_xor_b32 s6, s21, -1
	s_and_saveexec_b32 s8, s6
	s_xor_b32 s6, exec_lo, s8
; %bb.27:                               ;   in Loop: Header=BB47_7 Depth=2
	v_mov_b32_e32 v3, v2
	ds_write_b64 v43, v[2:3] offset:4224
; %bb.28:                               ;   in Loop: Header=BB47_7 Depth=2
	s_andn2_saveexec_b32 s6, s6
; %bb.29:                               ;   in Loop: Header=BB47_7 Depth=2
	v_mov_b32_e32 v3, v50
	ds_write_b64 v43, v[2:3] offset:4224
; %bb.30:                               ;   in Loop: Header=BB47_7 Depth=2
	s_or_b32 exec_lo, exec_lo, s6
.LBB47_31:                              ;   in Loop: Header=BB47_7 Depth=2
	s_or_b32 exec_lo, exec_lo, s5
	v_add_co_u32 v38, s5, v0, s16
	v_add_co_ci_u32_e64 v39, null, 0, s17, s5
	v_add_co_u32 v36, s6, v24, s12
	v_mov_b32_e32 v40, 0
	v_cmp_gt_i64_e64 s5, s[34:35], v[38:39]
	v_mov_b32_e32 v41, 0
	v_add_co_ci_u32_e64 v37, null, s13, v25, s6
	s_and_b32 s8, vcc_lo, s5
	s_and_saveexec_b32 s6, s8
	s_cbranch_execz .LBB47_33
; %bb.32:                               ;   in Loop: Header=BB47_7 Depth=2
	global_load_dwordx2 v[40:41], v[36:37], off offset:-128
.LBB47_33:                              ;   in Loop: Header=BB47_7 Depth=2
	s_or_b32 exec_lo, exec_lo, s6
	v_cmp_gt_i64_e64 s6, s[14:15], v[38:39]
	s_waitcnt vmcnt(0)
	ds_write_b64 v45, v[40:41]
	s_and_b32 s8, vcc_lo, s6
	s_xor_b32 s8, s8, -1
	s_and_saveexec_b32 s9, s8
	s_xor_b32 s8, exec_lo, s9
; %bb.34:                               ;   in Loop: Header=BB47_7 Depth=2
	v_mov_b32_e32 v3, v2
                                        ; implicit-def: $vgpr36_vgpr37
	ds_write_b64 v45, v[2:3] offset:128
; %bb.35:                               ;   in Loop: Header=BB47_7 Depth=2
	s_andn2_saveexec_b32 s8, s8
	s_cbranch_execz .LBB47_37
; %bb.36:                               ;   in Loop: Header=BB47_7 Depth=2
	global_load_dwordx2 v[36:37], v[36:37], off
	s_waitcnt vmcnt(0)
	ds_write_b64 v45, v[36:37] offset:128
.LBB47_37:                              ;   in Loop: Header=BB47_7 Depth=2
	s_or_b32 exec_lo, exec_lo, s8
	v_add_co_u32 v36, s8, v26, s12
	v_mov_b32_e32 v38, 0
	v_mov_b32_e32 v39, 0
	v_add_co_ci_u32_e64 v37, null, s13, v27, s8
	s_and_b32 s8, s4, s5
	s_and_saveexec_b32 s5, s8
	s_cbranch_execz .LBB47_39
; %bb.38:                               ;   in Loop: Header=BB47_7 Depth=2
	global_load_dwordx2 v[38:39], v[36:37], off
.LBB47_39:                              ;   in Loop: Header=BB47_7 Depth=2
	s_or_b32 exec_lo, exec_lo, s5
	s_and_b32 s5, s4, s6
	s_waitcnt vmcnt(0)
	ds_write_b64 v45, v[38:39] offset:4096
	s_xor_b32 s5, s5, -1
	s_and_saveexec_b32 s6, s5
	s_xor_b32 s5, exec_lo, s6
; %bb.40:                               ;   in Loop: Header=BB47_7 Depth=2
	v_mov_b32_e32 v3, v2
                                        ; implicit-def: $vgpr36_vgpr37
	ds_write_b64 v45, v[2:3] offset:4224
; %bb.41:                               ;   in Loop: Header=BB47_7 Depth=2
	s_andn2_saveexec_b32 s5, s5
	s_cbranch_execz .LBB47_6
; %bb.42:                               ;   in Loop: Header=BB47_7 Depth=2
	global_load_dwordx2 v[36:37], v[36:37], off offset:128
	s_waitcnt vmcnt(0)
	ds_write_b64 v45, v[36:37] offset:4224
	s_branch .LBB47_6
.LBB47_43:                              ;   in Loop: Header=BB47_4 Depth=1
	v_mul_lo_u32 v3, s41, v54
	v_mul_lo_u32 v21, s40, v55
	v_mad_u64_u32 v[24:25], null, s40, v54, 0
	v_cmp_gt_i32_e32 vcc_lo, s30, v54
	v_add3_u32 v25, v25, v21, v3
	v_lshlrev_b64 v[24:25], 3, v[24:25]
	v_add_co_u32 v3, s4, s27, v24
	v_add_co_ci_u32_e64 v21, null, s36, v25, s4
	s_and_b32 s4, s1, vcc_lo
	s_and_saveexec_b32 s5, s4
	s_cbranch_execz .LBB47_45
; %bb.44:                               ;   in Loop: Header=BB47_4 Depth=1
	v_add_co_u32 v24, s4, v3, v12
	v_add_co_ci_u32_e64 v25, null, v21, v13, s4
	global_load_dwordx2 v[26:27], v[24:25], off
	s_waitcnt vmcnt(0)
	v_fma_f64 v[26:27], s[10:11], v[34:35], v[26:27]
	global_store_dwordx2 v[24:25], v[26:27], off
.LBB47_45:                              ;   in Loop: Header=BB47_4 Depth=1
	s_or_b32 exec_lo, exec_lo, s5
	s_and_b32 s5, s2, vcc_lo
	s_and_saveexec_b32 s4, s5
	s_cbranch_execz .LBB47_47
; %bb.46:                               ;   in Loop: Header=BB47_4 Depth=1
	v_add_co_u32 v24, vcc_lo, v3, v22
	v_add_co_ci_u32_e64 v25, null, v21, v23, vcc_lo
	global_load_dwordx2 v[26:27], v[24:25], off
	s_waitcnt vmcnt(0)
	v_fma_f64 v[26:27], s[10:11], v[32:33], v[26:27]
	global_store_dwordx2 v[24:25], v[26:27], off
.LBB47_47:                              ;   in Loop: Header=BB47_4 Depth=1
	s_or_b32 exec_lo, exec_lo, s4
	v_add_nc_u32_e32 v3, 16, v54
	v_ashrrev_i32_e32 v21, 31, v3
	v_mul_lo_u32 v26, s41, v3
	v_mad_u64_u32 v[24:25], null, s40, v3, 0
	v_cmp_gt_i32_e32 vcc_lo, s30, v3
	v_mul_lo_u32 v21, s40, v21
	v_add3_u32 v25, v25, v21, v26
	v_lshlrev_b64 v[24:25], 3, v[24:25]
	v_add_co_u32 v3, s4, s27, v24
	v_add_co_ci_u32_e64 v21, null, s36, v25, s4
	s_and_b32 s4, s1, vcc_lo
	s_and_saveexec_b32 s5, s4
	s_cbranch_execz .LBB47_49
; %bb.48:                               ;   in Loop: Header=BB47_4 Depth=1
	v_add_co_u32 v24, s4, v3, v12
	v_add_co_ci_u32_e64 v25, null, v21, v13, s4
	global_load_dwordx2 v[26:27], v[24:25], off
	s_waitcnt vmcnt(0)
	v_fma_f64 v[26:27], s[10:11], v[30:31], v[26:27]
	global_store_dwordx2 v[24:25], v[26:27], off
.LBB47_49:                              ;   in Loop: Header=BB47_4 Depth=1
	s_or_b32 exec_lo, exec_lo, s5
	s_and_b32 s5, s2, vcc_lo
	s_and_saveexec_b32 s4, s5
	s_cbranch_execz .LBB47_3
; %bb.50:                               ;   in Loop: Header=BB47_4 Depth=1
	v_add_co_u32 v24, vcc_lo, v3, v22
	v_add_co_ci_u32_e64 v25, null, v21, v23, vcc_lo
	global_load_dwordx2 v[26:27], v[24:25], off
	s_waitcnt vmcnt(0)
	v_fma_f64 v[26:27], s[10:11], v[28:29], v[26:27]
	global_store_dwordx2 v[24:25], v[26:27], off
	s_branch .LBB47_3
.LBB47_51:
	s_endpgm
	.section	.rodata,"a",@progbits
	.p2align	6, 0x0
	.amdhsa_kernel _ZL30rocblas_trmm_outofplace_kernelIdLi32ELi2ELb1ELb1ELb1ELb1EdKddEv17rocblas_diagonal_iiT6_lPT7_lllS4_lllPT8_llli
		.amdhsa_group_segment_fixed_size 16384
		.amdhsa_private_segment_fixed_size 0
		.amdhsa_kernarg_size 392
		.amdhsa_user_sgpr_count 6
		.amdhsa_user_sgpr_private_segment_buffer 1
		.amdhsa_user_sgpr_dispatch_ptr 0
		.amdhsa_user_sgpr_queue_ptr 0
		.amdhsa_user_sgpr_kernarg_segment_ptr 1
		.amdhsa_user_sgpr_dispatch_id 0
		.amdhsa_user_sgpr_flat_scratch_init 0
		.amdhsa_user_sgpr_private_segment_size 0
		.amdhsa_wavefront_size32 1
		.amdhsa_uses_dynamic_stack 0
		.amdhsa_system_sgpr_private_segment_wavefront_offset 0
		.amdhsa_system_sgpr_workgroup_id_x 1
		.amdhsa_system_sgpr_workgroup_id_y 1
		.amdhsa_system_sgpr_workgroup_id_z 1
		.amdhsa_system_sgpr_workgroup_info 0
		.amdhsa_system_vgpr_workitem_id 1
		.amdhsa_next_free_vgpr 76
		.amdhsa_next_free_sgpr 46
		.amdhsa_reserve_vcc 1
		.amdhsa_reserve_flat_scratch 0
		.amdhsa_float_round_mode_32 0
		.amdhsa_float_round_mode_16_64 0
		.amdhsa_float_denorm_mode_32 3
		.amdhsa_float_denorm_mode_16_64 3
		.amdhsa_dx10_clamp 1
		.amdhsa_ieee_mode 1
		.amdhsa_fp16_overflow 0
		.amdhsa_workgroup_processor_mode 1
		.amdhsa_memory_ordered 1
		.amdhsa_forward_progress 1
		.amdhsa_shared_vgpr_count 0
		.amdhsa_exception_fp_ieee_invalid_op 0
		.amdhsa_exception_fp_denorm_src 0
		.amdhsa_exception_fp_ieee_div_zero 0
		.amdhsa_exception_fp_ieee_overflow 0
		.amdhsa_exception_fp_ieee_underflow 0
		.amdhsa_exception_fp_ieee_inexact 0
		.amdhsa_exception_int_div_zero 0
	.end_amdhsa_kernel
	.section	.text._ZL30rocblas_trmm_outofplace_kernelIdLi32ELi2ELb1ELb1ELb1ELb1EdKddEv17rocblas_diagonal_iiT6_lPT7_lllS4_lllPT8_llli,"axG",@progbits,_ZL30rocblas_trmm_outofplace_kernelIdLi32ELi2ELb1ELb1ELb1ELb1EdKddEv17rocblas_diagonal_iiT6_lPT7_lllS4_lllPT8_llli,comdat
.Lfunc_end47:
	.size	_ZL30rocblas_trmm_outofplace_kernelIdLi32ELi2ELb1ELb1ELb1ELb1EdKddEv17rocblas_diagonal_iiT6_lPT7_lllS4_lllPT8_llli, .Lfunc_end47-_ZL30rocblas_trmm_outofplace_kernelIdLi32ELi2ELb1ELb1ELb1ELb1EdKddEv17rocblas_diagonal_iiT6_lPT7_lllS4_lllPT8_llli
                                        ; -- End function
	.set _ZL30rocblas_trmm_outofplace_kernelIdLi32ELi2ELb1ELb1ELb1ELb1EdKddEv17rocblas_diagonal_iiT6_lPT7_lllS4_lllPT8_llli.num_vgpr, 76
	.set _ZL30rocblas_trmm_outofplace_kernelIdLi32ELi2ELb1ELb1ELb1ELb1EdKddEv17rocblas_diagonal_iiT6_lPT7_lllS4_lllPT8_llli.num_agpr, 0
	.set _ZL30rocblas_trmm_outofplace_kernelIdLi32ELi2ELb1ELb1ELb1ELb1EdKddEv17rocblas_diagonal_iiT6_lPT7_lllS4_lllPT8_llli.numbered_sgpr, 46
	.set _ZL30rocblas_trmm_outofplace_kernelIdLi32ELi2ELb1ELb1ELb1ELb1EdKddEv17rocblas_diagonal_iiT6_lPT7_lllS4_lllPT8_llli.num_named_barrier, 0
	.set _ZL30rocblas_trmm_outofplace_kernelIdLi32ELi2ELb1ELb1ELb1ELb1EdKddEv17rocblas_diagonal_iiT6_lPT7_lllS4_lllPT8_llli.private_seg_size, 0
	.set _ZL30rocblas_trmm_outofplace_kernelIdLi32ELi2ELb1ELb1ELb1ELb1EdKddEv17rocblas_diagonal_iiT6_lPT7_lllS4_lllPT8_llli.uses_vcc, 1
	.set _ZL30rocblas_trmm_outofplace_kernelIdLi32ELi2ELb1ELb1ELb1ELb1EdKddEv17rocblas_diagonal_iiT6_lPT7_lllS4_lllPT8_llli.uses_flat_scratch, 0
	.set _ZL30rocblas_trmm_outofplace_kernelIdLi32ELi2ELb1ELb1ELb1ELb1EdKddEv17rocblas_diagonal_iiT6_lPT7_lllS4_lllPT8_llli.has_dyn_sized_stack, 0
	.set _ZL30rocblas_trmm_outofplace_kernelIdLi32ELi2ELb1ELb1ELb1ELb1EdKddEv17rocblas_diagonal_iiT6_lPT7_lllS4_lllPT8_llli.has_recursion, 0
	.set _ZL30rocblas_trmm_outofplace_kernelIdLi32ELi2ELb1ELb1ELb1ELb1EdKddEv17rocblas_diagonal_iiT6_lPT7_lllS4_lllPT8_llli.has_indirect_call, 0
	.section	.AMDGPU.csdata,"",@progbits
; Kernel info:
; codeLenInByte = 3828
; TotalNumSgprs: 48
; NumVgprs: 76
; ScratchSize: 0
; MemoryBound: 0
; FloatMode: 240
; IeeeMode: 1
; LDSByteSize: 16384 bytes/workgroup (compile time only)
; SGPRBlocks: 0
; VGPRBlocks: 9
; NumSGPRsForWavesPerEU: 48
; NumVGPRsForWavesPerEU: 76
; Occupancy: 12
; WaveLimiterHint : 0
; COMPUTE_PGM_RSRC2:SCRATCH_EN: 0
; COMPUTE_PGM_RSRC2:USER_SGPR: 6
; COMPUTE_PGM_RSRC2:TRAP_HANDLER: 0
; COMPUTE_PGM_RSRC2:TGID_X_EN: 1
; COMPUTE_PGM_RSRC2:TGID_Y_EN: 1
; COMPUTE_PGM_RSRC2:TGID_Z_EN: 1
; COMPUTE_PGM_RSRC2:TIDIG_COMP_CNT: 1
	.section	.text._ZL30rocblas_trmm_outofplace_kernelIdLi32ELi2ELb0ELb0ELb0ELb0EPKdS0_dEv17rocblas_diagonal_iiT6_lPT7_lllS5_lllPT8_llli,"axG",@progbits,_ZL30rocblas_trmm_outofplace_kernelIdLi32ELi2ELb0ELb0ELb0ELb0EPKdS0_dEv17rocblas_diagonal_iiT6_lPT7_lllS5_lllPT8_llli,comdat
	.globl	_ZL30rocblas_trmm_outofplace_kernelIdLi32ELi2ELb0ELb0ELb0ELb0EPKdS0_dEv17rocblas_diagonal_iiT6_lPT7_lllS5_lllPT8_llli ; -- Begin function _ZL30rocblas_trmm_outofplace_kernelIdLi32ELi2ELb0ELb0ELb0ELb0EPKdS0_dEv17rocblas_diagonal_iiT6_lPT7_lllS5_lllPT8_llli
	.p2align	8
	.type	_ZL30rocblas_trmm_outofplace_kernelIdLi32ELi2ELb0ELb0ELb0ELb0EPKdS0_dEv17rocblas_diagonal_iiT6_lPT7_lllS5_lllPT8_llli,@function
_ZL30rocblas_trmm_outofplace_kernelIdLi32ELi2ELb0ELb0ELb0ELb0EPKdS0_dEv17rocblas_diagonal_iiT6_lPT7_lllS5_lllPT8_llli: ; @_ZL30rocblas_trmm_outofplace_kernelIdLi32ELi2ELb0ELb0ELb0ELb0EPKdS0_dEv17rocblas_diagonal_iiT6_lPT7_lllS5_lllPT8_llli
; %bb.0:
	s_load_dwordx16 s[12:27], s[4:5], 0x10
	s_waitcnt lgkmcnt(0)
	s_mul_i32 s0, s15, s8
	s_mul_hi_u32 s1, s14, s8
	s_add_i32 s1, s1, s0
	s_mul_i32 s0, s14, s8
	s_lshl_b64 s[0:1], s[0:1], 3
	s_add_u32 s0, s12, s0
	s_addc_u32 s1, s13, s1
	s_load_dwordx2 s[34:35], s[0:1], 0x0
	s_waitcnt lgkmcnt(0)
	v_cmp_eq_f64_e64 s0, s[34:35], 0
	s_and_b32 vcc_lo, exec_lo, s0
	s_cbranch_vccnz .LBB48_52
; %bb.1:
	s_load_dwordx4 s[12:15], s[4:5], 0x0
	s_waitcnt lgkmcnt(0)
	s_add_i32 s0, s14, -1
	s_ashr_i32 s1, s0, 31
	s_lshr_b32 s1, s1, 27
	s_add_i32 s0, s0, s1
	s_ashr_i32 s11, s0, 5
	s_cmp_gt_i32 s7, s11
	s_cbranch_scc1 .LBB48_52
; %bb.2:
	s_clause 0x2
	s_load_dwordx4 s[28:31], s[4:5], 0x70
	s_load_dwordx8 s[36:43], s[4:5], 0x50
	s_load_dword s33, s[4:5], 0x8c
	v_lshl_add_u32 v7, s6, 5, v0
	v_lshlrev_b32_e32 v50, 8, v1
	v_lshlrev_b32_e32 v2, 3, v0
	s_mul_i32 s4, s23, s8
	s_mul_hi_u32 s5, s22, s8
	v_cmp_gt_i32_e32 vcc_lo, s13, v7
	v_ashrrev_i32_e32 v8, 31, v7
	v_add_nc_u32_e32 v51, v50, v2
	v_or_b32_e32 v52, 0x2000, v2
	v_add_nc_u32_e32 v2, 16, v7
	v_mov_b32_e32 v12, 0
	v_add_nc_u32_e32 v53, v52, v50
	v_ashrrev_i32_e32 v3, 31, v2
	s_waitcnt lgkmcnt(0)
	s_mul_i32 s1, s31, s8
	s_mul_hi_u32 s2, s30, s8
	s_mul_i32 s0, s30, s8
	s_add_i32 s1, s2, s1
	s_lshl_b64 s[0:1], s[0:1], 3
	s_add_u32 s6, s40, s0
	s_addc_u32 s1, s41, s1
	s_lshl_b64 s[2:3], s[42:43], 3
	v_cmp_gt_i32_e64 s0, s13, v2
	s_add_u32 s40, s6, s2
	s_addc_u32 s41, s1, s3
	s_cmpk_eq_i32 s12, 0x84
	v_sub_co_u32 v4, s1, s13, v7
	s_cselect_b32 s42, -1, 0
	s_ashr_i32 s15, s14, 31
	s_ashr_i32 s2, s13, 31
	s_lshl_b64 s[30:31], s[36:37], 8
	s_add_u32 s12, s14, -16
	s_addc_u32 s13, s15, -1
	s_add_i32 s5, s5, s4
	s_mul_i32 s4, s22, s8
	s_lshl_b64 s[18:19], s[18:19], 3
	s_lshl_b64 s[4:5], s[4:5], 3
	s_lshl_b32 s3, s7, 5
	s_lshl_b32 s43, s33, 5
	s_add_u32 s4, s4, s18
	s_addc_u32 s5, s5, s19
	s_add_u32 s16, s16, s4
	s_addc_u32 s17, s17, s5
	s_mul_i32 s4, s39, s8
	s_mul_hi_u32 s5, s38, s8
	v_sub_co_ci_u32_e64 v5, null, s2, v8, s1
	s_add_u32 s18, s24, 0x80
	s_addc_u32 s19, s25, 0
	s_add_i32 s5, s5, s4
	s_mul_i32 s4, s38, s8
	v_lshlrev_b64 v[8:9], 3, v[7:8]
	s_lshl_b64 s[4:5], s[4:5], 3
	s_lshl_b64 s[8:9], s[26:27], 3
	s_lshl_b64 s[22:23], s[36:37], 3
	v_cmp_gt_i64_e64 s1, 1, v[4:5]
	v_cmp_gt_i64_e64 s2, 17, v[4:5]
	v_add_nc_u32_e32 v4, s3, v0
	v_add_nc_u32_e32 v6, s3, v1
	s_add_u32 s3, s4, s8
	s_addc_u32 s4, s5, s9
	v_add_co_u32 v10, s3, s3, v8
	v_add_co_ci_u32_e64 v11, null, s4, v9, s3
	v_mov_b32_e32 v0, 0x3ff00000
	s_lshl_b64 s[26:27], s[20:21], 3
	s_branch .LBB48_4
.LBB48_3:                               ;   in Loop: Header=BB48_4 Depth=1
	s_or_b32 exec_lo, exec_lo, s4
	v_add_nc_u32_e32 v4, s43, v4
	v_add_nc_u32_e32 v6, s43, v6
	s_add_i32 s7, s33, s7
	s_cmp_le_i32 s7, s11
	s_cbranch_scc0 .LBB48_52
.LBB48_4:                               ; =>This Loop Header: Depth=1
                                        ;     Child Loop BB48_7 Depth 2
	s_lshl_b32 s3, s7, 5
	v_ashrrev_i32_e32 v5, 31, v4
	v_add_nc_u32_e32 v14, s3, v1
	v_ashrrev_i32_e32 v7, 31, v6
	s_sub_i32 s44, s14, s3
	s_cmp_lt_i32 s44, 1
	v_ashrrev_i32_e32 v15, 31, v14
	s_cbranch_scc1 .LBB48_43
; %bb.5:                                ;   in Loop: Header=BB48_4 Depth=1
	v_lshlrev_b64 v[16:17], 3, v[6:7]
	v_mad_u64_u32 v[22:23], null, s22, v6, s[18:19]
	v_mul_lo_u32 v30, s22, v7
	v_mul_lo_u32 v31, s23, v6
	v_mad_u64_u32 v[24:25], null, s26, v6, s[16:17]
	v_add_co_u32 v13, s3, 0x80, v16
	v_add_co_ci_u32_e64 v26, null, 0, v17, s3
	v_sub_co_u32 v16, s3, v6, v4
	v_mul_lo_u32 v29, s21, v13
	v_mul_lo_u32 v28, s20, v26
	v_mad_u64_u32 v[20:21], null, s20, v13, s[16:17]
	v_mul_lo_u32 v32, s26, v7
	v_mul_lo_u32 v33, s27, v6
	;; [unrolled: 1-line block ×4, first 2 shown]
	v_mad_u64_u32 v[26:27], null, s36, v13, s[24:25]
	v_sub_co_ci_u32_e64 v17, null, v7, v5, s3
	v_add3_u32 v21, v29, v21, v28
	v_add_co_u32 v28, s3, v14, 16
	v_add_co_ci_u32_e64 v29, null, 0, v15, s3
	v_add3_u32 v23, v31, v23, v30
	v_add_co_u32 v30, s5, v16, 16
	v_add3_u32 v25, v33, v25, v32
	v_add_co_ci_u32_e64 v31, null, 0, v17, s5
	v_add_co_u32 v32, s5, v16, -16
	v_lshlrev_b64 v[18:19], 3, v[4:5]
	v_add3_u32 v27, v35, v27, v34
	v_cmp_le_i64_e64 s4, s[14:15], v[28:29]
	v_mov_b32_e32 v36, 0
	v_mov_b32_e32 v38, 0
	;; [unrolled: 1-line block ×5, first 2 shown]
	v_cmp_le_i32_e64 s3, s14, v14
	v_add_co_ci_u32_e64 v33, null, -1, v17, s5
	v_mov_b32_e32 v37, 0
	v_mov_b32_e32 v39, 0
	;; [unrolled: 1-line block ×5, first 2 shown]
	s_mov_b64 s[38:39], 0
	s_branch .LBB48_7
.LBB48_6:                               ;   in Loop: Header=BB48_7 Depth=2
	s_or_b32 exec_lo, exec_lo, s5
	s_waitcnt lgkmcnt(0)
	s_barrier
	buffer_gl0_inv
	ds_read_b128 v[44:47], v50
	ds_read2_b64 v[54:57], v52 offset1:16
	ds_read_b128 v[58:61], v50 offset:4096
	ds_read_b128 v[62:65], v50 offset:16
	ds_read2_b64 v[66:69], v52 offset0:32 offset1:48
	ds_read_b128 v[70:73], v50 offset:4112
	v_add_nc_u32_e32 v13, 0x800, v52
	v_add_co_u32 v20, s5, 0x100, v20
	v_add_co_ci_u32_e64 v21, null, 0, v21, s5
	v_add_co_u32 v34, s5, v34, s30
	v_add_co_ci_u32_e64 v35, null, s31, v35, s5
	;; [unrolled: 2-line block ×3, first 2 shown]
	s_add_u32 s38, s38, 32
	s_addc_u32 s39, s39, 0
	s_waitcnt lgkmcnt(4)
	v_fma_f64 v[42:43], v[54:55], v[44:45], v[42:43]
	v_fma_f64 v[40:41], v[56:57], v[44:45], v[40:41]
	s_waitcnt lgkmcnt(3)
	v_fma_f64 v[44:45], v[54:55], v[58:59], v[38:39]
	v_fma_f64 v[48:49], v[56:57], v[58:59], v[36:37]
	ds_read2_b64 v[36:39], v52 offset0:64 offset1:80
	s_cmp_ge_i32 s38, s44
	s_waitcnt lgkmcnt(2)
	v_fma_f64 v[54:55], v[66:67], v[46:47], v[42:43]
	v_fma_f64 v[46:47], v[68:69], v[46:47], v[40:41]
	;; [unrolled: 1-line block ×4, first 2 shown]
	ds_read2_b64 v[40:43], v52 offset0:96 offset1:112
	s_waitcnt lgkmcnt(1)
	v_fma_f64 v[54:55], v[36:37], v[62:63], v[54:55]
	v_fma_f64 v[56:57], v[38:39], v[62:63], v[46:47]
	;; [unrolled: 1-line block ×4, first 2 shown]
	ds_read_b128 v[36:39], v50 offset:32
	ds_read2_b64 v[44:47], v52 offset0:128 offset1:144
	s_waitcnt lgkmcnt(2)
	v_fma_f64 v[66:67], v[40:41], v[64:65], v[54:55]
	v_fma_f64 v[68:69], v[42:43], v[64:65], v[56:57]
	;; [unrolled: 1-line block ×4, first 2 shown]
	ds_read_b128 v[40:43], v50 offset:4128
	ds_read_b128 v[54:57], v50 offset:48
	ds_read2_b64 v[58:61], v52 offset0:160 offset1:176
	ds_read_b128 v[62:65], v50 offset:4144
	s_waitcnt lgkmcnt(4)
	v_fma_f64 v[66:67], v[44:45], v[36:37], v[66:67]
	v_fma_f64 v[36:37], v[46:47], v[36:37], v[68:69]
	s_waitcnt lgkmcnt(3)
	v_fma_f64 v[68:69], v[44:45], v[40:41], v[70:71]
	v_fma_f64 v[40:41], v[46:47], v[40:41], v[48:49]
	ds_read2_b64 v[44:47], v52 offset0:192 offset1:208
	s_waitcnt lgkmcnt(2)
	v_fma_f64 v[48:49], v[58:59], v[38:39], v[66:67]
	v_fma_f64 v[66:67], v[60:61], v[38:39], v[36:37]
	;; [unrolled: 1-line block ×4, first 2 shown]
	ds_read2_b64 v[36:39], v52 offset0:224 offset1:240
	s_waitcnt lgkmcnt(1)
	v_fma_f64 v[48:49], v[44:45], v[54:55], v[48:49]
	v_fma_f64 v[54:55], v[46:47], v[54:55], v[66:67]
	;; [unrolled: 1-line block ×4, first 2 shown]
	ds_read_b128 v[40:43], v50 offset:64
	ds_read2_b64 v[44:47], v13 offset1:16
	s_waitcnt lgkmcnt(2)
	v_fma_f64 v[48:49], v[36:37], v[56:57], v[48:49]
	v_fma_f64 v[66:67], v[38:39], v[56:57], v[54:55]
	;; [unrolled: 1-line block ×4, first 2 shown]
	ds_read_b128 v[36:39], v50 offset:4160
	ds_read_b128 v[54:57], v50 offset:80
	;; [unrolled: 1-line block ×3, first 2 shown]
	ds_read2_b64 v[62:65], v13 offset0:32 offset1:48
	s_waitcnt lgkmcnt(4)
	v_fma_f64 v[48:49], v[44:45], v[40:41], v[48:49]
	v_fma_f64 v[40:41], v[46:47], v[40:41], v[66:67]
	s_waitcnt lgkmcnt(3)
	v_fma_f64 v[66:67], v[44:45], v[36:37], v[68:69]
	v_fma_f64 v[36:37], v[46:47], v[36:37], v[70:71]
	ds_read2_b64 v[44:47], v13 offset0:64 offset1:80
	s_waitcnt lgkmcnt(1)
	v_fma_f64 v[48:49], v[62:63], v[42:43], v[48:49]
	v_fma_f64 v[40:41], v[64:65], v[42:43], v[40:41]
	;; [unrolled: 1-line block ×4, first 2 shown]
	ds_read2_b64 v[36:39], v13 offset0:96 offset1:112
	s_waitcnt lgkmcnt(1)
	v_fma_f64 v[48:49], v[44:45], v[54:55], v[48:49]
	v_fma_f64 v[54:55], v[46:47], v[54:55], v[40:41]
	;; [unrolled: 1-line block ×4, first 2 shown]
	ds_read_b128 v[40:43], v50 offset:96
	ds_read2_b64 v[44:47], v13 offset0:128 offset1:144
	s_waitcnt lgkmcnt(2)
	v_fma_f64 v[48:49], v[36:37], v[56:57], v[48:49]
	v_fma_f64 v[66:67], v[38:39], v[56:57], v[54:55]
	;; [unrolled: 1-line block ×4, first 2 shown]
	ds_read_b128 v[36:39], v50 offset:4192
	ds_read_b128 v[54:57], v50 offset:112
	;; [unrolled: 1-line block ×3, first 2 shown]
	ds_read2_b64 v[62:65], v13 offset0:160 offset1:176
	s_waitcnt lgkmcnt(4)
	v_fma_f64 v[48:49], v[44:45], v[40:41], v[48:49]
	v_fma_f64 v[40:41], v[46:47], v[40:41], v[66:67]
	s_waitcnt lgkmcnt(3)
	v_fma_f64 v[66:67], v[44:45], v[36:37], v[68:69]
	v_fma_f64 v[36:37], v[46:47], v[36:37], v[70:71]
	ds_read2_b64 v[44:47], v13 offset0:192 offset1:208
	s_waitcnt lgkmcnt(1)
	v_fma_f64 v[48:49], v[62:63], v[42:43], v[48:49]
	v_fma_f64 v[40:41], v[64:65], v[42:43], v[40:41]
	;; [unrolled: 1-line block ×4, first 2 shown]
	ds_read2_b64 v[36:39], v13 offset0:224 offset1:240
	v_add_nc_u32_e32 v13, 0x1000, v52
	s_waitcnt lgkmcnt(1)
	v_fma_f64 v[48:49], v[44:45], v[54:55], v[48:49]
	v_fma_f64 v[54:55], v[46:47], v[54:55], v[40:41]
	;; [unrolled: 1-line block ×4, first 2 shown]
	ds_read_b128 v[40:43], v50 offset:128
	ds_read2_b64 v[44:47], v13 offset1:16
	s_waitcnt lgkmcnt(2)
	v_fma_f64 v[48:49], v[36:37], v[56:57], v[48:49]
	v_fma_f64 v[66:67], v[38:39], v[56:57], v[54:55]
	;; [unrolled: 1-line block ×4, first 2 shown]
	ds_read_b128 v[36:39], v50 offset:4224
	ds_read_b128 v[54:57], v50 offset:144
	;; [unrolled: 1-line block ×3, first 2 shown]
	ds_read2_b64 v[62:65], v13 offset0:32 offset1:48
	s_waitcnt lgkmcnt(4)
	v_fma_f64 v[48:49], v[44:45], v[40:41], v[48:49]
	v_fma_f64 v[40:41], v[46:47], v[40:41], v[66:67]
	s_waitcnt lgkmcnt(3)
	v_fma_f64 v[66:67], v[44:45], v[36:37], v[68:69]
	v_fma_f64 v[36:37], v[46:47], v[36:37], v[70:71]
	ds_read2_b64 v[44:47], v13 offset0:64 offset1:80
	s_waitcnt lgkmcnt(1)
	v_fma_f64 v[48:49], v[62:63], v[42:43], v[48:49]
	v_fma_f64 v[40:41], v[64:65], v[42:43], v[40:41]
	;; [unrolled: 1-line block ×4, first 2 shown]
	ds_read2_b64 v[36:39], v13 offset0:96 offset1:112
	s_waitcnt lgkmcnt(1)
	v_fma_f64 v[48:49], v[44:45], v[54:55], v[48:49]
	v_fma_f64 v[54:55], v[46:47], v[54:55], v[40:41]
	;; [unrolled: 1-line block ×4, first 2 shown]
	ds_read_b128 v[40:43], v50 offset:160
	ds_read2_b64 v[44:47], v13 offset0:128 offset1:144
	s_waitcnt lgkmcnt(2)
	v_fma_f64 v[48:49], v[36:37], v[56:57], v[48:49]
	v_fma_f64 v[66:67], v[38:39], v[56:57], v[54:55]
	;; [unrolled: 1-line block ×4, first 2 shown]
	ds_read_b128 v[36:39], v50 offset:4256
	ds_read_b128 v[54:57], v50 offset:176
	;; [unrolled: 1-line block ×3, first 2 shown]
	ds_read2_b64 v[62:65], v13 offset0:160 offset1:176
	s_waitcnt lgkmcnt(4)
	v_fma_f64 v[48:49], v[44:45], v[40:41], v[48:49]
	v_fma_f64 v[40:41], v[46:47], v[40:41], v[66:67]
	s_waitcnt lgkmcnt(3)
	v_fma_f64 v[66:67], v[44:45], v[36:37], v[68:69]
	v_fma_f64 v[36:37], v[46:47], v[36:37], v[70:71]
	ds_read2_b64 v[44:47], v13 offset0:192 offset1:208
	s_waitcnt lgkmcnt(1)
	v_fma_f64 v[48:49], v[62:63], v[42:43], v[48:49]
	v_fma_f64 v[40:41], v[64:65], v[42:43], v[40:41]
	;; [unrolled: 1-line block ×4, first 2 shown]
	ds_read2_b64 v[36:39], v13 offset0:224 offset1:240
	v_add_nc_u32_e32 v13, 0x1800, v52
	s_waitcnt lgkmcnt(1)
	v_fma_f64 v[48:49], v[44:45], v[54:55], v[48:49]
	v_fma_f64 v[54:55], v[46:47], v[54:55], v[40:41]
	;; [unrolled: 1-line block ×4, first 2 shown]
	ds_read_b128 v[40:43], v50 offset:192
	ds_read2_b64 v[44:47], v13 offset1:16
	s_waitcnt lgkmcnt(2)
	v_fma_f64 v[48:49], v[36:37], v[56:57], v[48:49]
	v_fma_f64 v[66:67], v[38:39], v[56:57], v[54:55]
	v_fma_f64 v[68:69], v[36:37], v[60:61], v[64:65]
	v_fma_f64 v[70:71], v[38:39], v[60:61], v[58:59]
	ds_read_b128 v[36:39], v50 offset:4288
	ds_read_b128 v[54:57], v50 offset:208
	ds_read_b128 v[58:61], v50 offset:4304
	ds_read2_b64 v[62:65], v13 offset0:32 offset1:48
	s_waitcnt lgkmcnt(4)
	v_fma_f64 v[48:49], v[44:45], v[40:41], v[48:49]
	v_fma_f64 v[40:41], v[46:47], v[40:41], v[66:67]
	s_waitcnt lgkmcnt(3)
	v_fma_f64 v[66:67], v[44:45], v[36:37], v[68:69]
	v_fma_f64 v[36:37], v[46:47], v[36:37], v[70:71]
	ds_read2_b64 v[44:47], v13 offset0:64 offset1:80
	s_waitcnt lgkmcnt(1)
	v_fma_f64 v[48:49], v[62:63], v[42:43], v[48:49]
	v_fma_f64 v[40:41], v[64:65], v[42:43], v[40:41]
	;; [unrolled: 1-line block ×4, first 2 shown]
	ds_read2_b64 v[36:39], v13 offset0:96 offset1:112
	s_waitcnt lgkmcnt(1)
	v_fma_f64 v[48:49], v[44:45], v[54:55], v[48:49]
	v_fma_f64 v[54:55], v[46:47], v[54:55], v[40:41]
	v_fma_f64 v[64:65], v[44:45], v[58:59], v[42:43]
	v_fma_f64 v[58:59], v[46:47], v[58:59], v[62:63]
	ds_read_b128 v[40:43], v50 offset:224
	ds_read2_b64 v[44:47], v13 offset0:128 offset1:144
	s_waitcnt lgkmcnt(2)
	v_fma_f64 v[48:49], v[36:37], v[56:57], v[48:49]
	v_fma_f64 v[66:67], v[38:39], v[56:57], v[54:55]
	;; [unrolled: 1-line block ×4, first 2 shown]
	ds_read_b128 v[36:39], v50 offset:4320
	ds_read_b128 v[54:57], v50 offset:240
	;; [unrolled: 1-line block ×3, first 2 shown]
	ds_read2_b64 v[62:65], v13 offset0:160 offset1:176
	s_waitcnt lgkmcnt(4)
	v_fma_f64 v[48:49], v[44:45], v[40:41], v[48:49]
	v_fma_f64 v[40:41], v[46:47], v[40:41], v[66:67]
	s_waitcnt lgkmcnt(3)
	v_fma_f64 v[66:67], v[44:45], v[36:37], v[68:69]
	v_fma_f64 v[36:37], v[46:47], v[36:37], v[70:71]
	ds_read2_b64 v[44:47], v13 offset0:192 offset1:208
	s_waitcnt lgkmcnt(1)
	v_fma_f64 v[48:49], v[62:63], v[42:43], v[48:49]
	v_fma_f64 v[40:41], v[64:65], v[42:43], v[40:41]
	;; [unrolled: 1-line block ×4, first 2 shown]
	ds_read2_b64 v[62:65], v13 offset0:224 offset1:240
	s_waitcnt lgkmcnt(0)
	s_barrier
	buffer_gl0_inv
	v_fma_f64 v[38:39], v[44:45], v[54:55], v[48:49]
	v_fma_f64 v[40:41], v[46:47], v[54:55], v[40:41]
	;; [unrolled: 1-line block ×8, first 2 shown]
	s_cbranch_scc1 .LBB48_44
.LBB48_7:                               ;   Parent Loop BB48_4 Depth=1
                                        ; =>  This Inner Loop Header: Depth=2
	v_add_co_u32 v44, s5, v4, s38
	v_add_co_ci_u32_e64 v45, null, s39, v5, s5
	v_cmp_eq_u64_e64 s8, s[38:39], v[16:17]
	v_add_co_u32 v46, s9, v24, v18
	v_cmp_lt_i64_e64 s5, v[44:45], v[14:15]
	v_cmp_le_i64_e64 s6, s[14:15], v[44:45]
	v_add_co_ci_u32_e64 v47, null, v25, v19, s9
	s_and_b32 s45, s42, s8
                                        ; implicit-def: $vgpr48_vgpr49
	s_or_b32 s9, s3, s5
	s_or_b32 s8, s6, s9
	s_nor_b32 s8, s8, s45
	s_and_saveexec_b32 s9, s8
	s_xor_b32 s8, exec_lo, s9
	s_cbranch_execz .LBB48_9
; %bb.8:                                ;   in Loop: Header=BB48_7 Depth=2
	global_load_dwordx2 v[48:49], v[46:47], off
.LBB48_9:                               ;   in Loop: Header=BB48_7 Depth=2
	s_andn2_saveexec_b32 s8, s8
	s_cbranch_execz .LBB48_11
; %bb.10:                               ;   in Loop: Header=BB48_7 Depth=2
	v_cndmask_b32_e64 v13, 0, 0x3ff00000, s45
	s_waitcnt vmcnt(0)
	v_mov_b32_e32 v49, v13
	v_mov_b32_e32 v48, v12
.LBB48_11:                              ;   in Loop: Header=BB48_7 Depth=2
	s_or_b32 exec_lo, exec_lo, s8
	v_add_co_u32 v54, s8, v44, 16
	v_add_co_ci_u32_e64 v55, null, 0, v45, s8
	v_cmp_eq_u64_e64 s10, s[38:39], v[32:33]
	s_waitcnt vmcnt(0)
	ds_write_b64 v51, v[48:49]
	v_cmp_lt_i64_e64 s9, v[54:55], v[14:15]
	v_cmp_le_i64_e64 s8, s[14:15], v[54:55]
	s_and_b32 s10, s42, s10
	s_or_b32 s9, s3, s9
	s_or_b32 s9, s8, s9
	s_nor_b32 s9, s9, s10
	s_and_saveexec_b32 s46, s9
	s_xor_b32 s9, exec_lo, s46
	s_cbranch_execz .LBB48_13
; %bb.12:                               ;   in Loop: Header=BB48_7 Depth=2
	global_load_dwordx2 v[46:47], v[46:47], off offset:128
	s_waitcnt vmcnt(0)
	ds_write_b64 v51, v[46:47] offset:128
.LBB48_13:                              ;   in Loop: Header=BB48_7 Depth=2
	s_andn2_saveexec_b32 s9, s9
	s_cbranch_execz .LBB48_19
; %bb.14:                               ;   in Loop: Header=BB48_7 Depth=2
	s_xor_b32 s10, s10, -1
	s_and_saveexec_b32 s46, s10
	s_xor_b32 s10, exec_lo, s46
; %bb.15:                               ;   in Loop: Header=BB48_7 Depth=2
	v_mov_b32_e32 v13, v12
	ds_write_b64 v51, v[12:13] offset:128
; %bb.16:                               ;   in Loop: Header=BB48_7 Depth=2
	s_andn2_saveexec_b32 s10, s10
; %bb.17:                               ;   in Loop: Header=BB48_7 Depth=2
	v_mov_b32_e32 v13, v0
	ds_write_b64 v51, v[12:13] offset:128
; %bb.18:                               ;   in Loop: Header=BB48_7 Depth=2
	s_or_b32 exec_lo, exec_lo, s10
.LBB48_19:                              ;   in Loop: Header=BB48_7 Depth=2
	s_or_b32 exec_lo, exec_lo, s9
	v_cmp_eq_u64_e64 s9, s[38:39], v[30:31]
	v_cmp_lt_i64_e64 s10, v[44:45], v[28:29]
                                        ; implicit-def: $vgpr46_vgpr47
	s_and_b32 s46, s42, s9
	v_add_co_u32 v44, s9, v20, v18
	s_or_b32 s10, s4, s10
	v_add_co_ci_u32_e64 v45, null, v21, v19, s9
	s_or_b32 s9, s10, s46
	s_nor_b32 s6, s6, s9
	s_and_saveexec_b32 s9, s6
	s_xor_b32 s6, exec_lo, s9
	s_cbranch_execz .LBB48_21
; %bb.20:                               ;   in Loop: Header=BB48_7 Depth=2
	global_load_dwordx2 v[46:47], v[44:45], off
.LBB48_21:                              ;   in Loop: Header=BB48_7 Depth=2
	s_andn2_saveexec_b32 s6, s6
	s_cbranch_execz .LBB48_23
; %bb.22:                               ;   in Loop: Header=BB48_7 Depth=2
	v_cndmask_b32_e64 v13, 0, 0x3ff00000, s46
	s_waitcnt vmcnt(0)
	v_mov_b32_e32 v47, v13
	v_mov_b32_e32 v46, v12
.LBB48_23:                              ;   in Loop: Header=BB48_7 Depth=2
	s_or_b32 exec_lo, exec_lo, s6
	s_or_b32 s5, s4, s5
	s_waitcnt vmcnt(0)
	ds_write_b64 v51, v[46:47] offset:4096
	s_or_b32 s5, s8, s5
	s_nor_b32 s5, s5, s45
	s_and_saveexec_b32 s6, s5
	s_xor_b32 s5, exec_lo, s6
	s_cbranch_execz .LBB48_25
; %bb.24:                               ;   in Loop: Header=BB48_7 Depth=2
	global_load_dwordx2 v[44:45], v[44:45], off offset:128
	s_waitcnt vmcnt(0)
	ds_write_b64 v51, v[44:45] offset:4224
.LBB48_25:                              ;   in Loop: Header=BB48_7 Depth=2
	s_andn2_saveexec_b32 s5, s5
	s_cbranch_execz .LBB48_31
; %bb.26:                               ;   in Loop: Header=BB48_7 Depth=2
	s_xor_b32 s6, s45, -1
	s_and_saveexec_b32 s8, s6
	s_xor_b32 s6, exec_lo, s8
; %bb.27:                               ;   in Loop: Header=BB48_7 Depth=2
	v_mov_b32_e32 v13, v12
	ds_write_b64 v51, v[12:13] offset:4224
; %bb.28:                               ;   in Loop: Header=BB48_7 Depth=2
	s_andn2_saveexec_b32 s6, s6
; %bb.29:                               ;   in Loop: Header=BB48_7 Depth=2
	v_mov_b32_e32 v13, v0
	ds_write_b64 v51, v[12:13] offset:4224
; %bb.30:                               ;   in Loop: Header=BB48_7 Depth=2
	s_or_b32 exec_lo, exec_lo, s6
.LBB48_31:                              ;   in Loop: Header=BB48_7 Depth=2
	s_or_b32 exec_lo, exec_lo, s5
	v_add_co_u32 v44, s5, v6, s38
	v_add_co_ci_u32_e64 v45, null, s39, v7, s5
	v_add_co_u32 v46, s6, v22, v34
	v_mov_b32_e32 v48, 0
	v_cmp_le_i64_e64 s5, s[14:15], v[44:45]
	v_mov_b32_e32 v49, 0
	v_add_co_ci_u32_e64 v47, null, v23, v35, s6
	s_nor_b32 s8, s5, s1
	s_and_saveexec_b32 s6, s8
	s_cbranch_execz .LBB48_33
; %bb.32:                               ;   in Loop: Header=BB48_7 Depth=2
	global_load_dwordx2 v[48:49], v[46:47], off offset:-128
.LBB48_33:                              ;   in Loop: Header=BB48_7 Depth=2
	s_or_b32 exec_lo, exec_lo, s6
	s_nor_b32 s5, s5, s2
	s_waitcnt vmcnt(0)
	ds_write_b64 v53, v[48:49]
	s_and_saveexec_b32 s6, s5
	s_xor_b32 s5, exec_lo, s6
	s_cbranch_execz .LBB48_35
; %bb.34:                               ;   in Loop: Header=BB48_7 Depth=2
	global_load_dwordx2 v[46:47], v[46:47], off
	s_waitcnt vmcnt(0)
	ds_write_b64 v53, v[46:47] offset:128
.LBB48_35:                              ;   in Loop: Header=BB48_7 Depth=2
	s_andn2_saveexec_b32 s5, s5
; %bb.36:                               ;   in Loop: Header=BB48_7 Depth=2
	v_mov_b32_e32 v13, v12
	ds_write_b64 v53, v[12:13] offset:128
; %bb.37:                               ;   in Loop: Header=BB48_7 Depth=2
	s_or_b32 exec_lo, exec_lo, s5
	v_cmp_le_i64_e64 s5, s[12:13], v[44:45]
	v_add_co_u32 v44, s6, v26, v34
	v_mov_b32_e32 v46, 0
	v_mov_b32_e32 v47, 0
	v_add_co_ci_u32_e64 v45, null, v27, v35, s6
	s_nor_b32 s8, s5, s1
	s_and_saveexec_b32 s6, s8
	s_cbranch_execz .LBB48_39
; %bb.38:                               ;   in Loop: Header=BB48_7 Depth=2
	global_load_dwordx2 v[46:47], v[44:45], off
.LBB48_39:                              ;   in Loop: Header=BB48_7 Depth=2
	s_or_b32 exec_lo, exec_lo, s6
	s_nor_b32 s5, s5, s2
	s_waitcnt vmcnt(0)
	ds_write_b64 v53, v[46:47] offset:4096
	s_and_saveexec_b32 s6, s5
	s_xor_b32 s5, exec_lo, s6
	s_cbranch_execz .LBB48_41
; %bb.40:                               ;   in Loop: Header=BB48_7 Depth=2
	global_load_dwordx2 v[44:45], v[44:45], off offset:128
	s_waitcnt vmcnt(0)
	ds_write_b64 v53, v[44:45] offset:4224
.LBB48_41:                              ;   in Loop: Header=BB48_7 Depth=2
	s_andn2_saveexec_b32 s5, s5
	s_cbranch_execz .LBB48_6
; %bb.42:                               ;   in Loop: Header=BB48_7 Depth=2
	v_mov_b32_e32 v13, v12
	ds_write_b64 v53, v[12:13] offset:4224
	s_branch .LBB48_6
.LBB48_43:                              ;   in Loop: Header=BB48_4 Depth=1
	v_mov_b32_e32 v42, 0
	v_mov_b32_e32 v40, 0
	;; [unrolled: 1-line block ×8, first 2 shown]
.LBB48_44:                              ;   in Loop: Header=BB48_4 Depth=1
	v_mul_lo_u32 v5, s29, v14
	v_mul_lo_u32 v7, s28, v15
	v_mad_u64_u32 v[15:16], null, s28, v14, 0
	v_cmp_gt_i32_e64 s3, s14, v14
	v_add3_u32 v16, v16, v7, v5
	v_lshlrev_b64 v[15:16], 3, v[15:16]
	v_add_co_u32 v5, s4, s40, v15
	v_add_co_ci_u32_e64 v7, null, s41, v16, s4
	s_and_b32 s4, vcc_lo, s3
	s_and_saveexec_b32 s5, s4
	s_cbranch_execz .LBB48_46
; %bb.45:                               ;   in Loop: Header=BB48_4 Depth=1
	v_add_co_u32 v15, s4, v5, v8
	v_add_co_ci_u32_e64 v16, null, v7, v9, s4
	global_load_dwordx2 v[17:18], v[15:16], off
	s_waitcnt vmcnt(0)
	v_fma_f64 v[17:18], s[34:35], v[42:43], v[17:18]
	global_store_dwordx2 v[15:16], v[17:18], off
.LBB48_46:                              ;   in Loop: Header=BB48_4 Depth=1
	s_or_b32 exec_lo, exec_lo, s5
	s_and_b32 s3, s0, s3
	s_and_saveexec_b32 s4, s3
	s_cbranch_execz .LBB48_48
; %bb.47:                               ;   in Loop: Header=BB48_4 Depth=1
	v_lshlrev_b64 v[15:16], 3, v[2:3]
	v_add_co_u32 v15, s3, v5, v15
	v_add_co_ci_u32_e64 v16, null, v7, v16, s3
	global_load_dwordx2 v[17:18], v[15:16], off
	s_waitcnt vmcnt(0)
	v_fma_f64 v[17:18], s[34:35], v[40:41], v[17:18]
	global_store_dwordx2 v[15:16], v[17:18], off
.LBB48_48:                              ;   in Loop: Header=BB48_4 Depth=1
	s_or_b32 exec_lo, exec_lo, s4
	v_add_nc_u32_e32 v5, 16, v14
	v_ashrrev_i32_e32 v7, 31, v5
	v_mul_lo_u32 v15, s29, v5
	v_mad_u64_u32 v[13:14], null, s28, v5, 0
	v_cmp_gt_i32_e64 s3, s14, v5
	v_mul_lo_u32 v7, s28, v7
	v_add3_u32 v14, v14, v7, v15
	v_lshlrev_b64 v[13:14], 3, v[13:14]
	v_add_co_u32 v5, s4, s40, v13
	v_add_co_ci_u32_e64 v7, null, s41, v14, s4
	s_and_b32 s4, vcc_lo, s3
	s_and_saveexec_b32 s5, s4
	s_cbranch_execz .LBB48_50
; %bb.49:                               ;   in Loop: Header=BB48_4 Depth=1
	v_add_co_u32 v13, s4, v5, v8
	v_add_co_ci_u32_e64 v14, null, v7, v9, s4
	global_load_dwordx2 v[15:16], v[13:14], off
	s_waitcnt vmcnt(0)
	v_fma_f64 v[15:16], s[34:35], v[38:39], v[15:16]
	global_store_dwordx2 v[13:14], v[15:16], off
.LBB48_50:                              ;   in Loop: Header=BB48_4 Depth=1
	s_or_b32 exec_lo, exec_lo, s5
	s_and_b32 s3, s0, s3
	s_and_saveexec_b32 s4, s3
	s_cbranch_execz .LBB48_3
; %bb.51:                               ;   in Loop: Header=BB48_4 Depth=1
	v_lshlrev_b64 v[13:14], 3, v[2:3]
	v_add_co_u32 v13, s3, v5, v13
	v_add_co_ci_u32_e64 v14, null, v7, v14, s3
	global_load_dwordx2 v[15:16], v[13:14], off
	s_waitcnt vmcnt(0)
	v_fma_f64 v[15:16], s[34:35], v[36:37], v[15:16]
	global_store_dwordx2 v[13:14], v[15:16], off
	s_branch .LBB48_3
.LBB48_52:
	s_endpgm
	.section	.rodata,"a",@progbits
	.p2align	6, 0x0
	.amdhsa_kernel _ZL30rocblas_trmm_outofplace_kernelIdLi32ELi2ELb0ELb0ELb0ELb0EPKdS0_dEv17rocblas_diagonal_iiT6_lPT7_lllS5_lllPT8_llli
		.amdhsa_group_segment_fixed_size 16384
		.amdhsa_private_segment_fixed_size 0
		.amdhsa_kernarg_size 392
		.amdhsa_user_sgpr_count 6
		.amdhsa_user_sgpr_private_segment_buffer 1
		.amdhsa_user_sgpr_dispatch_ptr 0
		.amdhsa_user_sgpr_queue_ptr 0
		.amdhsa_user_sgpr_kernarg_segment_ptr 1
		.amdhsa_user_sgpr_dispatch_id 0
		.amdhsa_user_sgpr_flat_scratch_init 0
		.amdhsa_user_sgpr_private_segment_size 0
		.amdhsa_wavefront_size32 1
		.amdhsa_uses_dynamic_stack 0
		.amdhsa_system_sgpr_private_segment_wavefront_offset 0
		.amdhsa_system_sgpr_workgroup_id_x 1
		.amdhsa_system_sgpr_workgroup_id_y 1
		.amdhsa_system_sgpr_workgroup_id_z 1
		.amdhsa_system_sgpr_workgroup_info 0
		.amdhsa_system_vgpr_workitem_id 1
		.amdhsa_next_free_vgpr 74
		.amdhsa_next_free_sgpr 47
		.amdhsa_reserve_vcc 1
		.amdhsa_reserve_flat_scratch 0
		.amdhsa_float_round_mode_32 0
		.amdhsa_float_round_mode_16_64 0
		.amdhsa_float_denorm_mode_32 3
		.amdhsa_float_denorm_mode_16_64 3
		.amdhsa_dx10_clamp 1
		.amdhsa_ieee_mode 1
		.amdhsa_fp16_overflow 0
		.amdhsa_workgroup_processor_mode 1
		.amdhsa_memory_ordered 1
		.amdhsa_forward_progress 1
		.amdhsa_shared_vgpr_count 0
		.amdhsa_exception_fp_ieee_invalid_op 0
		.amdhsa_exception_fp_denorm_src 0
		.amdhsa_exception_fp_ieee_div_zero 0
		.amdhsa_exception_fp_ieee_overflow 0
		.amdhsa_exception_fp_ieee_underflow 0
		.amdhsa_exception_fp_ieee_inexact 0
		.amdhsa_exception_int_div_zero 0
	.end_amdhsa_kernel
	.section	.text._ZL30rocblas_trmm_outofplace_kernelIdLi32ELi2ELb0ELb0ELb0ELb0EPKdS0_dEv17rocblas_diagonal_iiT6_lPT7_lllS5_lllPT8_llli,"axG",@progbits,_ZL30rocblas_trmm_outofplace_kernelIdLi32ELi2ELb0ELb0ELb0ELb0EPKdS0_dEv17rocblas_diagonal_iiT6_lPT7_lllS5_lllPT8_llli,comdat
.Lfunc_end48:
	.size	_ZL30rocblas_trmm_outofplace_kernelIdLi32ELi2ELb0ELb0ELb0ELb0EPKdS0_dEv17rocblas_diagonal_iiT6_lPT7_lllS5_lllPT8_llli, .Lfunc_end48-_ZL30rocblas_trmm_outofplace_kernelIdLi32ELi2ELb0ELb0ELb0ELb0EPKdS0_dEv17rocblas_diagonal_iiT6_lPT7_lllS5_lllPT8_llli
                                        ; -- End function
	.set _ZL30rocblas_trmm_outofplace_kernelIdLi32ELi2ELb0ELb0ELb0ELb0EPKdS0_dEv17rocblas_diagonal_iiT6_lPT7_lllS5_lllPT8_llli.num_vgpr, 74
	.set _ZL30rocblas_trmm_outofplace_kernelIdLi32ELi2ELb0ELb0ELb0ELb0EPKdS0_dEv17rocblas_diagonal_iiT6_lPT7_lllS5_lllPT8_llli.num_agpr, 0
	.set _ZL30rocblas_trmm_outofplace_kernelIdLi32ELi2ELb0ELb0ELb0ELb0EPKdS0_dEv17rocblas_diagonal_iiT6_lPT7_lllS5_lllPT8_llli.numbered_sgpr, 47
	.set _ZL30rocblas_trmm_outofplace_kernelIdLi32ELi2ELb0ELb0ELb0ELb0EPKdS0_dEv17rocblas_diagonal_iiT6_lPT7_lllS5_lllPT8_llli.num_named_barrier, 0
	.set _ZL30rocblas_trmm_outofplace_kernelIdLi32ELi2ELb0ELb0ELb0ELb0EPKdS0_dEv17rocblas_diagonal_iiT6_lPT7_lllS5_lllPT8_llli.private_seg_size, 0
	.set _ZL30rocblas_trmm_outofplace_kernelIdLi32ELi2ELb0ELb0ELb0ELb0EPKdS0_dEv17rocblas_diagonal_iiT6_lPT7_lllS5_lllPT8_llli.uses_vcc, 1
	.set _ZL30rocblas_trmm_outofplace_kernelIdLi32ELi2ELb0ELb0ELb0ELb0EPKdS0_dEv17rocblas_diagonal_iiT6_lPT7_lllS5_lllPT8_llli.uses_flat_scratch, 0
	.set _ZL30rocblas_trmm_outofplace_kernelIdLi32ELi2ELb0ELb0ELb0ELb0EPKdS0_dEv17rocblas_diagonal_iiT6_lPT7_lllS5_lllPT8_llli.has_dyn_sized_stack, 0
	.set _ZL30rocblas_trmm_outofplace_kernelIdLi32ELi2ELb0ELb0ELb0ELb0EPKdS0_dEv17rocblas_diagonal_iiT6_lPT7_lllS5_lllPT8_llli.has_recursion, 0
	.set _ZL30rocblas_trmm_outofplace_kernelIdLi32ELi2ELb0ELb0ELb0ELb0EPKdS0_dEv17rocblas_diagonal_iiT6_lPT7_lllS5_lllPT8_llli.has_indirect_call, 0
	.section	.AMDGPU.csdata,"",@progbits
; Kernel info:
; codeLenInByte = 3808
; TotalNumSgprs: 49
; NumVgprs: 74
; ScratchSize: 0
; MemoryBound: 0
; FloatMode: 240
; IeeeMode: 1
; LDSByteSize: 16384 bytes/workgroup (compile time only)
; SGPRBlocks: 0
; VGPRBlocks: 9
; NumSGPRsForWavesPerEU: 49
; NumVGPRsForWavesPerEU: 74
; Occupancy: 12
; WaveLimiterHint : 0
; COMPUTE_PGM_RSRC2:SCRATCH_EN: 0
; COMPUTE_PGM_RSRC2:USER_SGPR: 6
; COMPUTE_PGM_RSRC2:TRAP_HANDLER: 0
; COMPUTE_PGM_RSRC2:TGID_X_EN: 1
; COMPUTE_PGM_RSRC2:TGID_Y_EN: 1
; COMPUTE_PGM_RSRC2:TGID_Z_EN: 1
; COMPUTE_PGM_RSRC2:TIDIG_COMP_CNT: 1
	.section	.text._ZL30rocblas_trmm_outofplace_kernelIdLi32ELi2ELb0ELb0ELb0ELb0EdKddEv17rocblas_diagonal_iiT6_lPT7_lllS4_lllPT8_llli,"axG",@progbits,_ZL30rocblas_trmm_outofplace_kernelIdLi32ELi2ELb0ELb0ELb0ELb0EdKddEv17rocblas_diagonal_iiT6_lPT7_lllS4_lllPT8_llli,comdat
	.globl	_ZL30rocblas_trmm_outofplace_kernelIdLi32ELi2ELb0ELb0ELb0ELb0EdKddEv17rocblas_diagonal_iiT6_lPT7_lllS4_lllPT8_llli ; -- Begin function _ZL30rocblas_trmm_outofplace_kernelIdLi32ELi2ELb0ELb0ELb0ELb0EdKddEv17rocblas_diagonal_iiT6_lPT7_lllS4_lllPT8_llli
	.p2align	8
	.type	_ZL30rocblas_trmm_outofplace_kernelIdLi32ELi2ELb0ELb0ELb0ELb0EdKddEv17rocblas_diagonal_iiT6_lPT7_lllS4_lllPT8_llli,@function
_ZL30rocblas_trmm_outofplace_kernelIdLi32ELi2ELb0ELb0ELb0ELb0EdKddEv17rocblas_diagonal_iiT6_lPT7_lllS4_lllPT8_llli: ; @_ZL30rocblas_trmm_outofplace_kernelIdLi32ELi2ELb0ELb0ELb0ELb0EdKddEv17rocblas_diagonal_iiT6_lPT7_lllS4_lllPT8_llli
; %bb.0:
	s_load_dwordx2 s[34:35], s[4:5], 0x10
	s_waitcnt lgkmcnt(0)
	v_cmp_eq_f64_e64 s0, s[34:35], 0
	s_and_b32 vcc_lo, exec_lo, s0
	s_cbranch_vccnz .LBB49_52
; %bb.1:
	s_load_dwordx4 s[28:31], s[4:5], 0x0
	s_waitcnt lgkmcnt(0)
	s_add_i32 s0, s30, -1
	s_ashr_i32 s1, s0, 31
	s_lshr_b32 s1, s1, 27
	s_add_i32 s0, s0, s1
	s_ashr_i32 s11, s0, 5
	s_cmp_gt_i32 s7, s11
	s_cbranch_scc1 .LBB49_52
; %bb.2:
	s_clause 0x2
	s_load_dwordx8 s[36:43], s[4:5], 0x60
	s_load_dwordx16 s[12:27], s[4:5], 0x20
	s_load_dword s33, s[4:5], 0x8c
	v_lshlrev_b32_e32 v2, 3, v0
	v_lshl_add_u32 v7, s6, 5, v0
	v_lshlrev_b32_e32 v50, 8, v1
	v_mov_b32_e32 v12, 0
	v_or_b32_e32 v51, 0x2000, v2
	v_ashrrev_i32_e32 v8, 31, v7
	v_add_nc_u32_e32 v52, v50, v2
	v_add_nc_u32_e32 v2, 16, v7
	v_cmp_gt_i32_e32 vcc_lo, s29, v7
	v_add_nc_u32_e32 v53, v51, v50
	v_ashrrev_i32_e32 v3, 31, v2
	s_waitcnt lgkmcnt(0)
	s_mul_i32 s0, s43, s8
	s_mul_hi_u32 s1, s42, s8
	s_mul_i32 s2, s42, s8
	s_add_i32 s3, s1, s0
	s_mul_i32 s5, s19, s8
	s_lshl_b64 s[2:3], s[2:3], 3
	v_cmp_gt_i32_e64 s0, s29, v2
	s_add_u32 s1, s36, s2
	s_addc_u32 s4, s37, s3
	s_lshl_b64 s[2:3], s[38:39], 3
	s_add_u32 s38, s1, s2
	s_addc_u32 s39, s4, s3
	s_cmpk_eq_i32 s28, 0x84
	s_mul_hi_u32 s2, s18, s8
	s_cselect_b32 s42, -1, 0
	s_ashr_i32 s31, s30, 31
	s_ashr_i32 s3, s29, 31
	s_lshl_b64 s[36:37], s[24:25], 8
	s_add_u32 s28, s30, -16
	v_sub_co_u32 v4, s1, s29, v7
	s_addc_u32 s29, s31, -1
	s_add_i32 s5, s2, s5
	s_mul_i32 s4, s18, s8
	s_lshl_b64 s[14:15], s[14:15], 3
	s_lshl_b64 s[4:5], s[4:5], 3
	v_sub_co_ci_u32_e64 v5, null, s3, v8, s1
	s_lshl_b32 s3, s7, 5
	s_lshl_b32 s43, s33, 5
	s_add_u32 s4, s4, s14
	s_addc_u32 s5, s5, s15
	s_add_u32 s12, s12, s4
	s_addc_u32 s13, s13, s5
	s_mul_i32 s4, s27, s8
	s_mul_hi_u32 s5, s26, s8
	s_add_u32 s14, s20, 0x80
	s_addc_u32 s15, s21, 0
	s_add_i32 s5, s5, s4
	s_mul_i32 s4, s26, s8
	v_lshlrev_b64 v[8:9], 3, v[7:8]
	s_lshl_b64 s[4:5], s[4:5], 3
	s_lshl_b64 s[8:9], s[22:23], 3
	;; [unrolled: 1-line block ×3, first 2 shown]
	v_cmp_gt_i64_e64 s1, 1, v[4:5]
	v_cmp_gt_i64_e64 s2, 17, v[4:5]
	v_add_nc_u32_e32 v4, s3, v0
	v_add_nc_u32_e32 v6, s3, v1
	s_add_u32 s3, s4, s8
	s_addc_u32 s4, s5, s9
	v_add_co_u32 v10, s3, s3, v8
	v_add_co_ci_u32_e64 v11, null, s4, v9, s3
	v_mov_b32_e32 v0, 0x3ff00000
	s_lshl_b64 s[22:23], s[16:17], 3
	s_branch .LBB49_4
.LBB49_3:                               ;   in Loop: Header=BB49_4 Depth=1
	s_or_b32 exec_lo, exec_lo, s4
	v_add_nc_u32_e32 v4, s43, v4
	v_add_nc_u32_e32 v6, s43, v6
	s_add_i32 s7, s33, s7
	s_cmp_le_i32 s7, s11
	s_cbranch_scc0 .LBB49_52
.LBB49_4:                               ; =>This Loop Header: Depth=1
                                        ;     Child Loop BB49_7 Depth 2
	s_lshl_b32 s3, s7, 5
	v_ashrrev_i32_e32 v5, 31, v4
	v_add_nc_u32_e32 v14, s3, v1
	v_ashrrev_i32_e32 v7, 31, v6
	s_sub_i32 s44, s30, s3
	s_cmp_lt_i32 s44, 1
	v_ashrrev_i32_e32 v15, 31, v14
	s_cbranch_scc1 .LBB49_43
; %bb.5:                                ;   in Loop: Header=BB49_4 Depth=1
	v_lshlrev_b64 v[16:17], 3, v[6:7]
	v_mad_u64_u32 v[22:23], null, s18, v6, s[14:15]
	v_mul_lo_u32 v30, s18, v7
	v_mul_lo_u32 v31, s19, v6
	v_mad_u64_u32 v[24:25], null, s22, v6, s[12:13]
	v_add_co_u32 v13, s3, 0x80, v16
	v_add_co_ci_u32_e64 v26, null, 0, v17, s3
	v_sub_co_u32 v16, s3, v6, v4
	v_mul_lo_u32 v29, s17, v13
	v_mul_lo_u32 v28, s16, v26
	v_mad_u64_u32 v[20:21], null, s16, v13, s[12:13]
	v_mul_lo_u32 v32, s22, v7
	v_mul_lo_u32 v33, s23, v6
	;; [unrolled: 1-line block ×4, first 2 shown]
	v_mad_u64_u32 v[26:27], null, s24, v13, s[20:21]
	v_sub_co_ci_u32_e64 v17, null, v7, v5, s3
	v_add3_u32 v21, v29, v21, v28
	v_add_co_u32 v28, s3, v14, 16
	v_add_co_ci_u32_e64 v29, null, 0, v15, s3
	v_add3_u32 v23, v31, v23, v30
	v_add_co_u32 v30, s5, v16, 16
	v_add3_u32 v25, v33, v25, v32
	v_add_co_ci_u32_e64 v31, null, 0, v17, s5
	v_add_co_u32 v32, s5, v16, -16
	v_lshlrev_b64 v[18:19], 3, v[4:5]
	v_add3_u32 v27, v35, v27, v34
	v_cmp_le_i64_e64 s4, s[30:31], v[28:29]
	v_mov_b32_e32 v36, 0
	v_mov_b32_e32 v38, 0
	;; [unrolled: 1-line block ×5, first 2 shown]
	v_cmp_le_i32_e64 s3, s30, v14
	v_add_co_ci_u32_e64 v33, null, -1, v17, s5
	v_mov_b32_e32 v37, 0
	v_mov_b32_e32 v39, 0
	;; [unrolled: 1-line block ×5, first 2 shown]
	s_mov_b64 s[26:27], 0
	s_branch .LBB49_7
.LBB49_6:                               ;   in Loop: Header=BB49_7 Depth=2
	s_or_b32 exec_lo, exec_lo, s5
	s_waitcnt lgkmcnt(0)
	s_barrier
	buffer_gl0_inv
	ds_read_b128 v[44:47], v50
	ds_read2_b64 v[54:57], v51 offset1:16
	ds_read_b128 v[58:61], v50 offset:4096
	ds_read_b128 v[62:65], v50 offset:16
	ds_read2_b64 v[66:69], v51 offset0:32 offset1:48
	ds_read_b128 v[70:73], v50 offset:4112
	v_add_nc_u32_e32 v13, 0x800, v51
	v_add_co_u32 v20, s5, 0x100, v20
	v_add_co_ci_u32_e64 v21, null, 0, v21, s5
	v_add_co_u32 v34, s5, v34, s36
	v_add_co_ci_u32_e64 v35, null, s37, v35, s5
	;; [unrolled: 2-line block ×3, first 2 shown]
	s_add_u32 s26, s26, 32
	s_addc_u32 s27, s27, 0
	s_waitcnt lgkmcnt(4)
	v_fma_f64 v[42:43], v[54:55], v[44:45], v[42:43]
	v_fma_f64 v[40:41], v[56:57], v[44:45], v[40:41]
	s_waitcnt lgkmcnt(3)
	v_fma_f64 v[44:45], v[54:55], v[58:59], v[38:39]
	v_fma_f64 v[48:49], v[56:57], v[58:59], v[36:37]
	ds_read2_b64 v[36:39], v51 offset0:64 offset1:80
	s_cmp_ge_i32 s26, s44
	s_waitcnt lgkmcnt(2)
	v_fma_f64 v[54:55], v[66:67], v[46:47], v[42:43]
	v_fma_f64 v[46:47], v[68:69], v[46:47], v[40:41]
	;; [unrolled: 1-line block ×4, first 2 shown]
	ds_read2_b64 v[40:43], v51 offset0:96 offset1:112
	s_waitcnt lgkmcnt(1)
	v_fma_f64 v[54:55], v[36:37], v[62:63], v[54:55]
	v_fma_f64 v[56:57], v[38:39], v[62:63], v[46:47]
	;; [unrolled: 1-line block ×4, first 2 shown]
	ds_read_b128 v[36:39], v50 offset:32
	ds_read2_b64 v[44:47], v51 offset0:128 offset1:144
	s_waitcnt lgkmcnt(2)
	v_fma_f64 v[66:67], v[40:41], v[64:65], v[54:55]
	v_fma_f64 v[68:69], v[42:43], v[64:65], v[56:57]
	;; [unrolled: 1-line block ×4, first 2 shown]
	ds_read_b128 v[40:43], v50 offset:4128
	ds_read_b128 v[54:57], v50 offset:48
	ds_read2_b64 v[58:61], v51 offset0:160 offset1:176
	ds_read_b128 v[62:65], v50 offset:4144
	s_waitcnt lgkmcnt(4)
	v_fma_f64 v[66:67], v[44:45], v[36:37], v[66:67]
	v_fma_f64 v[36:37], v[46:47], v[36:37], v[68:69]
	s_waitcnt lgkmcnt(3)
	v_fma_f64 v[68:69], v[44:45], v[40:41], v[70:71]
	v_fma_f64 v[40:41], v[46:47], v[40:41], v[48:49]
	ds_read2_b64 v[44:47], v51 offset0:192 offset1:208
	s_waitcnt lgkmcnt(2)
	v_fma_f64 v[48:49], v[58:59], v[38:39], v[66:67]
	v_fma_f64 v[66:67], v[60:61], v[38:39], v[36:37]
	;; [unrolled: 1-line block ×4, first 2 shown]
	ds_read2_b64 v[36:39], v51 offset0:224 offset1:240
	s_waitcnt lgkmcnt(1)
	v_fma_f64 v[48:49], v[44:45], v[54:55], v[48:49]
	v_fma_f64 v[54:55], v[46:47], v[54:55], v[66:67]
	;; [unrolled: 1-line block ×4, first 2 shown]
	ds_read_b128 v[40:43], v50 offset:64
	ds_read2_b64 v[44:47], v13 offset1:16
	s_waitcnt lgkmcnt(2)
	v_fma_f64 v[48:49], v[36:37], v[56:57], v[48:49]
	v_fma_f64 v[66:67], v[38:39], v[56:57], v[54:55]
	;; [unrolled: 1-line block ×4, first 2 shown]
	ds_read_b128 v[36:39], v50 offset:4160
	ds_read_b128 v[54:57], v50 offset:80
	ds_read_b128 v[58:61], v50 offset:4176
	ds_read2_b64 v[62:65], v13 offset0:32 offset1:48
	s_waitcnt lgkmcnt(4)
	v_fma_f64 v[48:49], v[44:45], v[40:41], v[48:49]
	v_fma_f64 v[40:41], v[46:47], v[40:41], v[66:67]
	s_waitcnt lgkmcnt(3)
	v_fma_f64 v[66:67], v[44:45], v[36:37], v[68:69]
	v_fma_f64 v[36:37], v[46:47], v[36:37], v[70:71]
	ds_read2_b64 v[44:47], v13 offset0:64 offset1:80
	s_waitcnt lgkmcnt(1)
	v_fma_f64 v[48:49], v[62:63], v[42:43], v[48:49]
	v_fma_f64 v[40:41], v[64:65], v[42:43], v[40:41]
	;; [unrolled: 1-line block ×4, first 2 shown]
	ds_read2_b64 v[36:39], v13 offset0:96 offset1:112
	s_waitcnt lgkmcnt(1)
	v_fma_f64 v[48:49], v[44:45], v[54:55], v[48:49]
	v_fma_f64 v[54:55], v[46:47], v[54:55], v[40:41]
	;; [unrolled: 1-line block ×4, first 2 shown]
	ds_read_b128 v[40:43], v50 offset:96
	ds_read2_b64 v[44:47], v13 offset0:128 offset1:144
	s_waitcnt lgkmcnt(2)
	v_fma_f64 v[48:49], v[36:37], v[56:57], v[48:49]
	v_fma_f64 v[66:67], v[38:39], v[56:57], v[54:55]
	;; [unrolled: 1-line block ×4, first 2 shown]
	ds_read_b128 v[36:39], v50 offset:4192
	ds_read_b128 v[54:57], v50 offset:112
	;; [unrolled: 1-line block ×3, first 2 shown]
	ds_read2_b64 v[62:65], v13 offset0:160 offset1:176
	s_waitcnt lgkmcnt(4)
	v_fma_f64 v[48:49], v[44:45], v[40:41], v[48:49]
	v_fma_f64 v[40:41], v[46:47], v[40:41], v[66:67]
	s_waitcnt lgkmcnt(3)
	v_fma_f64 v[66:67], v[44:45], v[36:37], v[68:69]
	v_fma_f64 v[36:37], v[46:47], v[36:37], v[70:71]
	ds_read2_b64 v[44:47], v13 offset0:192 offset1:208
	s_waitcnt lgkmcnt(1)
	v_fma_f64 v[48:49], v[62:63], v[42:43], v[48:49]
	v_fma_f64 v[40:41], v[64:65], v[42:43], v[40:41]
	;; [unrolled: 1-line block ×4, first 2 shown]
	ds_read2_b64 v[36:39], v13 offset0:224 offset1:240
	v_add_nc_u32_e32 v13, 0x1000, v51
	s_waitcnt lgkmcnt(1)
	v_fma_f64 v[48:49], v[44:45], v[54:55], v[48:49]
	v_fma_f64 v[54:55], v[46:47], v[54:55], v[40:41]
	;; [unrolled: 1-line block ×4, first 2 shown]
	ds_read_b128 v[40:43], v50 offset:128
	ds_read2_b64 v[44:47], v13 offset1:16
	s_waitcnt lgkmcnt(2)
	v_fma_f64 v[48:49], v[36:37], v[56:57], v[48:49]
	v_fma_f64 v[66:67], v[38:39], v[56:57], v[54:55]
	;; [unrolled: 1-line block ×4, first 2 shown]
	ds_read_b128 v[36:39], v50 offset:4224
	ds_read_b128 v[54:57], v50 offset:144
	;; [unrolled: 1-line block ×3, first 2 shown]
	ds_read2_b64 v[62:65], v13 offset0:32 offset1:48
	s_waitcnt lgkmcnt(4)
	v_fma_f64 v[48:49], v[44:45], v[40:41], v[48:49]
	v_fma_f64 v[40:41], v[46:47], v[40:41], v[66:67]
	s_waitcnt lgkmcnt(3)
	v_fma_f64 v[66:67], v[44:45], v[36:37], v[68:69]
	v_fma_f64 v[36:37], v[46:47], v[36:37], v[70:71]
	ds_read2_b64 v[44:47], v13 offset0:64 offset1:80
	s_waitcnt lgkmcnt(1)
	v_fma_f64 v[48:49], v[62:63], v[42:43], v[48:49]
	v_fma_f64 v[40:41], v[64:65], v[42:43], v[40:41]
	;; [unrolled: 1-line block ×4, first 2 shown]
	ds_read2_b64 v[36:39], v13 offset0:96 offset1:112
	s_waitcnt lgkmcnt(1)
	v_fma_f64 v[48:49], v[44:45], v[54:55], v[48:49]
	v_fma_f64 v[54:55], v[46:47], v[54:55], v[40:41]
	;; [unrolled: 1-line block ×4, first 2 shown]
	ds_read_b128 v[40:43], v50 offset:160
	ds_read2_b64 v[44:47], v13 offset0:128 offset1:144
	s_waitcnt lgkmcnt(2)
	v_fma_f64 v[48:49], v[36:37], v[56:57], v[48:49]
	v_fma_f64 v[66:67], v[38:39], v[56:57], v[54:55]
	;; [unrolled: 1-line block ×4, first 2 shown]
	ds_read_b128 v[36:39], v50 offset:4256
	ds_read_b128 v[54:57], v50 offset:176
	;; [unrolled: 1-line block ×3, first 2 shown]
	ds_read2_b64 v[62:65], v13 offset0:160 offset1:176
	s_waitcnt lgkmcnt(4)
	v_fma_f64 v[48:49], v[44:45], v[40:41], v[48:49]
	v_fma_f64 v[40:41], v[46:47], v[40:41], v[66:67]
	s_waitcnt lgkmcnt(3)
	v_fma_f64 v[66:67], v[44:45], v[36:37], v[68:69]
	v_fma_f64 v[36:37], v[46:47], v[36:37], v[70:71]
	ds_read2_b64 v[44:47], v13 offset0:192 offset1:208
	s_waitcnt lgkmcnt(1)
	v_fma_f64 v[48:49], v[62:63], v[42:43], v[48:49]
	v_fma_f64 v[40:41], v[64:65], v[42:43], v[40:41]
	;; [unrolled: 1-line block ×4, first 2 shown]
	ds_read2_b64 v[36:39], v13 offset0:224 offset1:240
	v_add_nc_u32_e32 v13, 0x1800, v51
	s_waitcnt lgkmcnt(1)
	v_fma_f64 v[48:49], v[44:45], v[54:55], v[48:49]
	v_fma_f64 v[54:55], v[46:47], v[54:55], v[40:41]
	;; [unrolled: 1-line block ×4, first 2 shown]
	ds_read_b128 v[40:43], v50 offset:192
	ds_read2_b64 v[44:47], v13 offset1:16
	s_waitcnt lgkmcnt(2)
	v_fma_f64 v[48:49], v[36:37], v[56:57], v[48:49]
	v_fma_f64 v[66:67], v[38:39], v[56:57], v[54:55]
	;; [unrolled: 1-line block ×4, first 2 shown]
	ds_read_b128 v[36:39], v50 offset:4288
	ds_read_b128 v[54:57], v50 offset:208
	;; [unrolled: 1-line block ×3, first 2 shown]
	ds_read2_b64 v[62:65], v13 offset0:32 offset1:48
	s_waitcnt lgkmcnt(4)
	v_fma_f64 v[48:49], v[44:45], v[40:41], v[48:49]
	v_fma_f64 v[40:41], v[46:47], v[40:41], v[66:67]
	s_waitcnt lgkmcnt(3)
	v_fma_f64 v[66:67], v[44:45], v[36:37], v[68:69]
	v_fma_f64 v[36:37], v[46:47], v[36:37], v[70:71]
	ds_read2_b64 v[44:47], v13 offset0:64 offset1:80
	s_waitcnt lgkmcnt(1)
	v_fma_f64 v[48:49], v[62:63], v[42:43], v[48:49]
	v_fma_f64 v[40:41], v[64:65], v[42:43], v[40:41]
	;; [unrolled: 1-line block ×4, first 2 shown]
	ds_read2_b64 v[36:39], v13 offset0:96 offset1:112
	s_waitcnt lgkmcnt(1)
	v_fma_f64 v[48:49], v[44:45], v[54:55], v[48:49]
	v_fma_f64 v[54:55], v[46:47], v[54:55], v[40:41]
	;; [unrolled: 1-line block ×4, first 2 shown]
	ds_read_b128 v[40:43], v50 offset:224
	ds_read2_b64 v[44:47], v13 offset0:128 offset1:144
	s_waitcnt lgkmcnt(2)
	v_fma_f64 v[48:49], v[36:37], v[56:57], v[48:49]
	v_fma_f64 v[66:67], v[38:39], v[56:57], v[54:55]
	;; [unrolled: 1-line block ×4, first 2 shown]
	ds_read_b128 v[36:39], v50 offset:4320
	ds_read_b128 v[54:57], v50 offset:240
	;; [unrolled: 1-line block ×3, first 2 shown]
	ds_read2_b64 v[62:65], v13 offset0:160 offset1:176
	s_waitcnt lgkmcnt(4)
	v_fma_f64 v[48:49], v[44:45], v[40:41], v[48:49]
	v_fma_f64 v[40:41], v[46:47], v[40:41], v[66:67]
	s_waitcnt lgkmcnt(3)
	v_fma_f64 v[66:67], v[44:45], v[36:37], v[68:69]
	v_fma_f64 v[36:37], v[46:47], v[36:37], v[70:71]
	ds_read2_b64 v[44:47], v13 offset0:192 offset1:208
	s_waitcnt lgkmcnt(1)
	v_fma_f64 v[48:49], v[62:63], v[42:43], v[48:49]
	v_fma_f64 v[40:41], v[64:65], v[42:43], v[40:41]
	;; [unrolled: 1-line block ×4, first 2 shown]
	ds_read2_b64 v[62:65], v13 offset0:224 offset1:240
	s_waitcnt lgkmcnt(0)
	s_barrier
	buffer_gl0_inv
	v_fma_f64 v[38:39], v[44:45], v[54:55], v[48:49]
	v_fma_f64 v[40:41], v[46:47], v[54:55], v[40:41]
	;; [unrolled: 1-line block ×8, first 2 shown]
	s_cbranch_scc1 .LBB49_44
.LBB49_7:                               ;   Parent Loop BB49_4 Depth=1
                                        ; =>  This Inner Loop Header: Depth=2
	v_add_co_u32 v44, s5, v4, s26
	v_add_co_ci_u32_e64 v45, null, s27, v5, s5
	v_cmp_eq_u64_e64 s8, s[26:27], v[16:17]
	v_add_co_u32 v46, s9, v24, v18
	v_cmp_lt_i64_e64 s5, v[44:45], v[14:15]
	v_cmp_le_i64_e64 s6, s[30:31], v[44:45]
	v_add_co_ci_u32_e64 v47, null, v25, v19, s9
	s_and_b32 s45, s42, s8
                                        ; implicit-def: $vgpr48_vgpr49
	s_or_b32 s9, s3, s5
	s_or_b32 s8, s6, s9
	s_nor_b32 s8, s8, s45
	s_and_saveexec_b32 s9, s8
	s_xor_b32 s8, exec_lo, s9
	s_cbranch_execz .LBB49_9
; %bb.8:                                ;   in Loop: Header=BB49_7 Depth=2
	global_load_dwordx2 v[48:49], v[46:47], off
.LBB49_9:                               ;   in Loop: Header=BB49_7 Depth=2
	s_andn2_saveexec_b32 s8, s8
	s_cbranch_execz .LBB49_11
; %bb.10:                               ;   in Loop: Header=BB49_7 Depth=2
	v_cndmask_b32_e64 v13, 0, 0x3ff00000, s45
	s_waitcnt vmcnt(0)
	v_mov_b32_e32 v49, v13
	v_mov_b32_e32 v48, v12
.LBB49_11:                              ;   in Loop: Header=BB49_7 Depth=2
	s_or_b32 exec_lo, exec_lo, s8
	v_add_co_u32 v54, s8, v44, 16
	v_add_co_ci_u32_e64 v55, null, 0, v45, s8
	v_cmp_eq_u64_e64 s10, s[26:27], v[32:33]
	s_waitcnt vmcnt(0)
	ds_write_b64 v52, v[48:49]
	v_cmp_lt_i64_e64 s9, v[54:55], v[14:15]
	v_cmp_le_i64_e64 s8, s[30:31], v[54:55]
	s_and_b32 s10, s42, s10
	s_or_b32 s9, s3, s9
	s_or_b32 s9, s8, s9
	s_nor_b32 s9, s9, s10
	s_and_saveexec_b32 s46, s9
	s_xor_b32 s9, exec_lo, s46
	s_cbranch_execz .LBB49_13
; %bb.12:                               ;   in Loop: Header=BB49_7 Depth=2
	global_load_dwordx2 v[46:47], v[46:47], off offset:128
	s_waitcnt vmcnt(0)
	ds_write_b64 v52, v[46:47] offset:128
.LBB49_13:                              ;   in Loop: Header=BB49_7 Depth=2
	s_andn2_saveexec_b32 s9, s9
	s_cbranch_execz .LBB49_19
; %bb.14:                               ;   in Loop: Header=BB49_7 Depth=2
	s_xor_b32 s10, s10, -1
	s_and_saveexec_b32 s46, s10
	s_xor_b32 s10, exec_lo, s46
; %bb.15:                               ;   in Loop: Header=BB49_7 Depth=2
	v_mov_b32_e32 v13, v12
	ds_write_b64 v52, v[12:13] offset:128
; %bb.16:                               ;   in Loop: Header=BB49_7 Depth=2
	s_andn2_saveexec_b32 s10, s10
; %bb.17:                               ;   in Loop: Header=BB49_7 Depth=2
	v_mov_b32_e32 v13, v0
	ds_write_b64 v52, v[12:13] offset:128
; %bb.18:                               ;   in Loop: Header=BB49_7 Depth=2
	s_or_b32 exec_lo, exec_lo, s10
.LBB49_19:                              ;   in Loop: Header=BB49_7 Depth=2
	s_or_b32 exec_lo, exec_lo, s9
	v_cmp_eq_u64_e64 s9, s[26:27], v[30:31]
	v_cmp_lt_i64_e64 s10, v[44:45], v[28:29]
                                        ; implicit-def: $vgpr46_vgpr47
	s_and_b32 s46, s42, s9
	v_add_co_u32 v44, s9, v20, v18
	s_or_b32 s10, s4, s10
	v_add_co_ci_u32_e64 v45, null, v21, v19, s9
	s_or_b32 s9, s10, s46
	s_nor_b32 s6, s6, s9
	s_and_saveexec_b32 s9, s6
	s_xor_b32 s6, exec_lo, s9
	s_cbranch_execz .LBB49_21
; %bb.20:                               ;   in Loop: Header=BB49_7 Depth=2
	global_load_dwordx2 v[46:47], v[44:45], off
.LBB49_21:                              ;   in Loop: Header=BB49_7 Depth=2
	s_andn2_saveexec_b32 s6, s6
	s_cbranch_execz .LBB49_23
; %bb.22:                               ;   in Loop: Header=BB49_7 Depth=2
	v_cndmask_b32_e64 v13, 0, 0x3ff00000, s46
	s_waitcnt vmcnt(0)
	v_mov_b32_e32 v47, v13
	v_mov_b32_e32 v46, v12
.LBB49_23:                              ;   in Loop: Header=BB49_7 Depth=2
	s_or_b32 exec_lo, exec_lo, s6
	s_or_b32 s5, s4, s5
	s_waitcnt vmcnt(0)
	ds_write_b64 v52, v[46:47] offset:4096
	s_or_b32 s5, s8, s5
	s_nor_b32 s5, s5, s45
	s_and_saveexec_b32 s6, s5
	s_xor_b32 s5, exec_lo, s6
	s_cbranch_execz .LBB49_25
; %bb.24:                               ;   in Loop: Header=BB49_7 Depth=2
	global_load_dwordx2 v[44:45], v[44:45], off offset:128
	s_waitcnt vmcnt(0)
	ds_write_b64 v52, v[44:45] offset:4224
.LBB49_25:                              ;   in Loop: Header=BB49_7 Depth=2
	s_andn2_saveexec_b32 s5, s5
	s_cbranch_execz .LBB49_31
; %bb.26:                               ;   in Loop: Header=BB49_7 Depth=2
	s_xor_b32 s6, s45, -1
	s_and_saveexec_b32 s8, s6
	s_xor_b32 s6, exec_lo, s8
; %bb.27:                               ;   in Loop: Header=BB49_7 Depth=2
	v_mov_b32_e32 v13, v12
	ds_write_b64 v52, v[12:13] offset:4224
; %bb.28:                               ;   in Loop: Header=BB49_7 Depth=2
	s_andn2_saveexec_b32 s6, s6
; %bb.29:                               ;   in Loop: Header=BB49_7 Depth=2
	v_mov_b32_e32 v13, v0
	ds_write_b64 v52, v[12:13] offset:4224
; %bb.30:                               ;   in Loop: Header=BB49_7 Depth=2
	s_or_b32 exec_lo, exec_lo, s6
.LBB49_31:                              ;   in Loop: Header=BB49_7 Depth=2
	s_or_b32 exec_lo, exec_lo, s5
	v_add_co_u32 v44, s5, v6, s26
	v_add_co_ci_u32_e64 v45, null, s27, v7, s5
	v_add_co_u32 v46, s6, v22, v34
	v_mov_b32_e32 v48, 0
	v_cmp_le_i64_e64 s5, s[30:31], v[44:45]
	v_mov_b32_e32 v49, 0
	v_add_co_ci_u32_e64 v47, null, v23, v35, s6
	s_nor_b32 s8, s5, s1
	s_and_saveexec_b32 s6, s8
	s_cbranch_execz .LBB49_33
; %bb.32:                               ;   in Loop: Header=BB49_7 Depth=2
	global_load_dwordx2 v[48:49], v[46:47], off offset:-128
.LBB49_33:                              ;   in Loop: Header=BB49_7 Depth=2
	s_or_b32 exec_lo, exec_lo, s6
	s_nor_b32 s5, s5, s2
	s_waitcnt vmcnt(0)
	ds_write_b64 v53, v[48:49]
	s_and_saveexec_b32 s6, s5
	s_xor_b32 s5, exec_lo, s6
	s_cbranch_execz .LBB49_35
; %bb.34:                               ;   in Loop: Header=BB49_7 Depth=2
	global_load_dwordx2 v[46:47], v[46:47], off
	s_waitcnt vmcnt(0)
	ds_write_b64 v53, v[46:47] offset:128
.LBB49_35:                              ;   in Loop: Header=BB49_7 Depth=2
	s_andn2_saveexec_b32 s5, s5
; %bb.36:                               ;   in Loop: Header=BB49_7 Depth=2
	v_mov_b32_e32 v13, v12
	ds_write_b64 v53, v[12:13] offset:128
; %bb.37:                               ;   in Loop: Header=BB49_7 Depth=2
	s_or_b32 exec_lo, exec_lo, s5
	v_cmp_le_i64_e64 s5, s[28:29], v[44:45]
	v_add_co_u32 v44, s6, v26, v34
	v_mov_b32_e32 v46, 0
	v_mov_b32_e32 v47, 0
	v_add_co_ci_u32_e64 v45, null, v27, v35, s6
	s_nor_b32 s8, s5, s1
	s_and_saveexec_b32 s6, s8
	s_cbranch_execz .LBB49_39
; %bb.38:                               ;   in Loop: Header=BB49_7 Depth=2
	global_load_dwordx2 v[46:47], v[44:45], off
.LBB49_39:                              ;   in Loop: Header=BB49_7 Depth=2
	s_or_b32 exec_lo, exec_lo, s6
	s_nor_b32 s5, s5, s2
	s_waitcnt vmcnt(0)
	ds_write_b64 v53, v[46:47] offset:4096
	s_and_saveexec_b32 s6, s5
	s_xor_b32 s5, exec_lo, s6
	s_cbranch_execz .LBB49_41
; %bb.40:                               ;   in Loop: Header=BB49_7 Depth=2
	global_load_dwordx2 v[44:45], v[44:45], off offset:128
	s_waitcnt vmcnt(0)
	ds_write_b64 v53, v[44:45] offset:4224
.LBB49_41:                              ;   in Loop: Header=BB49_7 Depth=2
	s_andn2_saveexec_b32 s5, s5
	s_cbranch_execz .LBB49_6
; %bb.42:                               ;   in Loop: Header=BB49_7 Depth=2
	v_mov_b32_e32 v13, v12
	ds_write_b64 v53, v[12:13] offset:4224
	s_branch .LBB49_6
.LBB49_43:                              ;   in Loop: Header=BB49_4 Depth=1
	v_mov_b32_e32 v42, 0
	v_mov_b32_e32 v40, 0
	;; [unrolled: 1-line block ×8, first 2 shown]
.LBB49_44:                              ;   in Loop: Header=BB49_4 Depth=1
	v_mul_lo_u32 v5, s41, v14
	v_mul_lo_u32 v7, s40, v15
	v_mad_u64_u32 v[15:16], null, s40, v14, 0
	v_cmp_gt_i32_e64 s3, s30, v14
	v_add3_u32 v16, v16, v7, v5
	v_lshlrev_b64 v[15:16], 3, v[15:16]
	v_add_co_u32 v5, s4, s38, v15
	v_add_co_ci_u32_e64 v7, null, s39, v16, s4
	s_and_b32 s4, vcc_lo, s3
	s_and_saveexec_b32 s5, s4
	s_cbranch_execz .LBB49_46
; %bb.45:                               ;   in Loop: Header=BB49_4 Depth=1
	v_add_co_u32 v15, s4, v5, v8
	v_add_co_ci_u32_e64 v16, null, v7, v9, s4
	global_load_dwordx2 v[17:18], v[15:16], off
	s_waitcnt vmcnt(0)
	v_fma_f64 v[17:18], s[34:35], v[42:43], v[17:18]
	global_store_dwordx2 v[15:16], v[17:18], off
.LBB49_46:                              ;   in Loop: Header=BB49_4 Depth=1
	s_or_b32 exec_lo, exec_lo, s5
	s_and_b32 s3, s0, s3
	s_and_saveexec_b32 s4, s3
	s_cbranch_execz .LBB49_48
; %bb.47:                               ;   in Loop: Header=BB49_4 Depth=1
	v_lshlrev_b64 v[15:16], 3, v[2:3]
	v_add_co_u32 v15, s3, v5, v15
	v_add_co_ci_u32_e64 v16, null, v7, v16, s3
	global_load_dwordx2 v[17:18], v[15:16], off
	s_waitcnt vmcnt(0)
	v_fma_f64 v[17:18], s[34:35], v[40:41], v[17:18]
	global_store_dwordx2 v[15:16], v[17:18], off
.LBB49_48:                              ;   in Loop: Header=BB49_4 Depth=1
	s_or_b32 exec_lo, exec_lo, s4
	v_add_nc_u32_e32 v5, 16, v14
	v_ashrrev_i32_e32 v7, 31, v5
	v_mul_lo_u32 v15, s41, v5
	v_mad_u64_u32 v[13:14], null, s40, v5, 0
	v_cmp_gt_i32_e64 s3, s30, v5
	v_mul_lo_u32 v7, s40, v7
	v_add3_u32 v14, v14, v7, v15
	v_lshlrev_b64 v[13:14], 3, v[13:14]
	v_add_co_u32 v5, s4, s38, v13
	v_add_co_ci_u32_e64 v7, null, s39, v14, s4
	s_and_b32 s4, vcc_lo, s3
	s_and_saveexec_b32 s5, s4
	s_cbranch_execz .LBB49_50
; %bb.49:                               ;   in Loop: Header=BB49_4 Depth=1
	v_add_co_u32 v13, s4, v5, v8
	v_add_co_ci_u32_e64 v14, null, v7, v9, s4
	global_load_dwordx2 v[15:16], v[13:14], off
	s_waitcnt vmcnt(0)
	v_fma_f64 v[15:16], s[34:35], v[38:39], v[15:16]
	global_store_dwordx2 v[13:14], v[15:16], off
.LBB49_50:                              ;   in Loop: Header=BB49_4 Depth=1
	s_or_b32 exec_lo, exec_lo, s5
	s_and_b32 s3, s0, s3
	s_and_saveexec_b32 s4, s3
	s_cbranch_execz .LBB49_3
; %bb.51:                               ;   in Loop: Header=BB49_4 Depth=1
	v_lshlrev_b64 v[13:14], 3, v[2:3]
	v_add_co_u32 v13, s3, v5, v13
	v_add_co_ci_u32_e64 v14, null, v7, v14, s3
	global_load_dwordx2 v[15:16], v[13:14], off
	s_waitcnt vmcnt(0)
	v_fma_f64 v[15:16], s[34:35], v[36:37], v[15:16]
	global_store_dwordx2 v[13:14], v[15:16], off
	s_branch .LBB49_3
.LBB49_52:
	s_endpgm
	.section	.rodata,"a",@progbits
	.p2align	6, 0x0
	.amdhsa_kernel _ZL30rocblas_trmm_outofplace_kernelIdLi32ELi2ELb0ELb0ELb0ELb0EdKddEv17rocblas_diagonal_iiT6_lPT7_lllS4_lllPT8_llli
		.amdhsa_group_segment_fixed_size 16384
		.amdhsa_private_segment_fixed_size 0
		.amdhsa_kernarg_size 392
		.amdhsa_user_sgpr_count 6
		.amdhsa_user_sgpr_private_segment_buffer 1
		.amdhsa_user_sgpr_dispatch_ptr 0
		.amdhsa_user_sgpr_queue_ptr 0
		.amdhsa_user_sgpr_kernarg_segment_ptr 1
		.amdhsa_user_sgpr_dispatch_id 0
		.amdhsa_user_sgpr_flat_scratch_init 0
		.amdhsa_user_sgpr_private_segment_size 0
		.amdhsa_wavefront_size32 1
		.amdhsa_uses_dynamic_stack 0
		.amdhsa_system_sgpr_private_segment_wavefront_offset 0
		.amdhsa_system_sgpr_workgroup_id_x 1
		.amdhsa_system_sgpr_workgroup_id_y 1
		.amdhsa_system_sgpr_workgroup_id_z 1
		.amdhsa_system_sgpr_workgroup_info 0
		.amdhsa_system_vgpr_workitem_id 1
		.amdhsa_next_free_vgpr 74
		.amdhsa_next_free_sgpr 47
		.amdhsa_reserve_vcc 1
		.amdhsa_reserve_flat_scratch 0
		.amdhsa_float_round_mode_32 0
		.amdhsa_float_round_mode_16_64 0
		.amdhsa_float_denorm_mode_32 3
		.amdhsa_float_denorm_mode_16_64 3
		.amdhsa_dx10_clamp 1
		.amdhsa_ieee_mode 1
		.amdhsa_fp16_overflow 0
		.amdhsa_workgroup_processor_mode 1
		.amdhsa_memory_ordered 1
		.amdhsa_forward_progress 1
		.amdhsa_shared_vgpr_count 0
		.amdhsa_exception_fp_ieee_invalid_op 0
		.amdhsa_exception_fp_denorm_src 0
		.amdhsa_exception_fp_ieee_div_zero 0
		.amdhsa_exception_fp_ieee_overflow 0
		.amdhsa_exception_fp_ieee_underflow 0
		.amdhsa_exception_fp_ieee_inexact 0
		.amdhsa_exception_int_div_zero 0
	.end_amdhsa_kernel
	.section	.text._ZL30rocblas_trmm_outofplace_kernelIdLi32ELi2ELb0ELb0ELb0ELb0EdKddEv17rocblas_diagonal_iiT6_lPT7_lllS4_lllPT8_llli,"axG",@progbits,_ZL30rocblas_trmm_outofplace_kernelIdLi32ELi2ELb0ELb0ELb0ELb0EdKddEv17rocblas_diagonal_iiT6_lPT7_lllS4_lllPT8_llli,comdat
.Lfunc_end49:
	.size	_ZL30rocblas_trmm_outofplace_kernelIdLi32ELi2ELb0ELb0ELb0ELb0EdKddEv17rocblas_diagonal_iiT6_lPT7_lllS4_lllPT8_llli, .Lfunc_end49-_ZL30rocblas_trmm_outofplace_kernelIdLi32ELi2ELb0ELb0ELb0ELb0EdKddEv17rocblas_diagonal_iiT6_lPT7_lllS4_lllPT8_llli
                                        ; -- End function
	.set _ZL30rocblas_trmm_outofplace_kernelIdLi32ELi2ELb0ELb0ELb0ELb0EdKddEv17rocblas_diagonal_iiT6_lPT7_lllS4_lllPT8_llli.num_vgpr, 74
	.set _ZL30rocblas_trmm_outofplace_kernelIdLi32ELi2ELb0ELb0ELb0ELb0EdKddEv17rocblas_diagonal_iiT6_lPT7_lllS4_lllPT8_llli.num_agpr, 0
	.set _ZL30rocblas_trmm_outofplace_kernelIdLi32ELi2ELb0ELb0ELb0ELb0EdKddEv17rocblas_diagonal_iiT6_lPT7_lllS4_lllPT8_llli.numbered_sgpr, 47
	.set _ZL30rocblas_trmm_outofplace_kernelIdLi32ELi2ELb0ELb0ELb0ELb0EdKddEv17rocblas_diagonal_iiT6_lPT7_lllS4_lllPT8_llli.num_named_barrier, 0
	.set _ZL30rocblas_trmm_outofplace_kernelIdLi32ELi2ELb0ELb0ELb0ELb0EdKddEv17rocblas_diagonal_iiT6_lPT7_lllS4_lllPT8_llli.private_seg_size, 0
	.set _ZL30rocblas_trmm_outofplace_kernelIdLi32ELi2ELb0ELb0ELb0ELb0EdKddEv17rocblas_diagonal_iiT6_lPT7_lllS4_lllPT8_llli.uses_vcc, 1
	.set _ZL30rocblas_trmm_outofplace_kernelIdLi32ELi2ELb0ELb0ELb0ELb0EdKddEv17rocblas_diagonal_iiT6_lPT7_lllS4_lllPT8_llli.uses_flat_scratch, 0
	.set _ZL30rocblas_trmm_outofplace_kernelIdLi32ELi2ELb0ELb0ELb0ELb0EdKddEv17rocblas_diagonal_iiT6_lPT7_lllS4_lllPT8_llli.has_dyn_sized_stack, 0
	.set _ZL30rocblas_trmm_outofplace_kernelIdLi32ELi2ELb0ELb0ELb0ELb0EdKddEv17rocblas_diagonal_iiT6_lPT7_lllS4_lllPT8_llli.has_recursion, 0
	.set _ZL30rocblas_trmm_outofplace_kernelIdLi32ELi2ELb0ELb0ELb0ELb0EdKddEv17rocblas_diagonal_iiT6_lPT7_lllS4_lllPT8_llli.has_indirect_call, 0
	.section	.AMDGPU.csdata,"",@progbits
; Kernel info:
; codeLenInByte = 3768
; TotalNumSgprs: 49
; NumVgprs: 74
; ScratchSize: 0
; MemoryBound: 0
; FloatMode: 240
; IeeeMode: 1
; LDSByteSize: 16384 bytes/workgroup (compile time only)
; SGPRBlocks: 0
; VGPRBlocks: 9
; NumSGPRsForWavesPerEU: 49
; NumVGPRsForWavesPerEU: 74
; Occupancy: 12
; WaveLimiterHint : 0
; COMPUTE_PGM_RSRC2:SCRATCH_EN: 0
; COMPUTE_PGM_RSRC2:USER_SGPR: 6
; COMPUTE_PGM_RSRC2:TRAP_HANDLER: 0
; COMPUTE_PGM_RSRC2:TGID_X_EN: 1
; COMPUTE_PGM_RSRC2:TGID_Y_EN: 1
; COMPUTE_PGM_RSRC2:TGID_Z_EN: 1
; COMPUTE_PGM_RSRC2:TIDIG_COMP_CNT: 1
	.section	.text._ZL30rocblas_trmm_outofplace_kernelIdLi32ELi2ELb0ELb1ELb0ELb0EPKdS0_dEv17rocblas_diagonal_iiT6_lPT7_lllS5_lllPT8_llli,"axG",@progbits,_ZL30rocblas_trmm_outofplace_kernelIdLi32ELi2ELb0ELb1ELb0ELb0EPKdS0_dEv17rocblas_diagonal_iiT6_lPT7_lllS5_lllPT8_llli,comdat
	.globl	_ZL30rocblas_trmm_outofplace_kernelIdLi32ELi2ELb0ELb1ELb0ELb0EPKdS0_dEv17rocblas_diagonal_iiT6_lPT7_lllS5_lllPT8_llli ; -- Begin function _ZL30rocblas_trmm_outofplace_kernelIdLi32ELi2ELb0ELb1ELb0ELb0EPKdS0_dEv17rocblas_diagonal_iiT6_lPT7_lllS5_lllPT8_llli
	.p2align	8
	.type	_ZL30rocblas_trmm_outofplace_kernelIdLi32ELi2ELb0ELb1ELb0ELb0EPKdS0_dEv17rocblas_diagonal_iiT6_lPT7_lllS5_lllPT8_llli,@function
_ZL30rocblas_trmm_outofplace_kernelIdLi32ELi2ELb0ELb1ELb0ELb0EPKdS0_dEv17rocblas_diagonal_iiT6_lPT7_lllS5_lllPT8_llli: ; @_ZL30rocblas_trmm_outofplace_kernelIdLi32ELi2ELb0ELb1ELb0ELb0EPKdS0_dEv17rocblas_diagonal_iiT6_lPT7_lllS5_lllPT8_llli
; %bb.0:
	s_load_dwordx16 s[12:27], s[4:5], 0x10
	s_waitcnt lgkmcnt(0)
	s_mul_i32 s0, s15, s8
	s_mul_hi_u32 s1, s14, s8
	s_add_i32 s1, s1, s0
	s_mul_i32 s0, s14, s8
	s_lshl_b64 s[0:1], s[0:1], 3
	s_add_u32 s0, s12, s0
	s_addc_u32 s1, s13, s1
	s_load_dwordx2 s[34:35], s[0:1], 0x0
	s_waitcnt lgkmcnt(0)
	v_cmp_eq_f64_e64 s0, s[34:35], 0
	s_and_b32 vcc_lo, exec_lo, s0
	s_cbranch_vccnz .LBB50_51
; %bb.1:
	s_load_dwordx4 s[12:15], s[4:5], 0x0
	s_waitcnt lgkmcnt(0)
	s_add_i32 s0, s14, -1
	s_ashr_i32 s1, s0, 31
	s_lshr_b32 s1, s1, 27
	s_add_i32 s0, s0, s1
	s_ashr_i32 s11, s0, 5
	s_cmp_gt_i32 s7, s11
	s_cbranch_scc1 .LBB50_51
; %bb.2:
	s_clause 0x2
	s_load_dwordx8 s[36:43], s[4:5], 0x50
	s_load_dwordx4 s[28:31], s[4:5], 0x70
	s_load_dword s33, s[4:5], 0x8c
	v_lshl_add_u32 v8, s6, 5, v0
	v_lshl_add_u32 v17, v1, 3, 0x80
	v_lshlrev_b32_e32 v45, 3, v0
	v_lshlrev_b32_e32 v44, 8, v1
	v_mov_b32_e32 v2, 0
	v_ashrrev_i32_e32 v9, 31, v8
	v_sub_co_u32 v13, vcc_lo, s13, v8
	v_or_b32_e32 v47, 0x2000, v45
	v_add_nc_u32_e32 v46, v44, v45
	v_lshlrev_b64 v[4:5], 3, v[8:9]
	v_lshl_add_u32 v10, s7, 5, v1
	v_mov_b32_e32 v53, 0x3ff00000
	v_add_nc_u32_e32 v48, v47, v44
	s_waitcnt lgkmcnt(0)
	s_mul_i32 s1, s39, s8
	s_mul_hi_u32 s2, s38, s8
	s_mul_i32 s0, s38, s8
	s_add_i32 s1, s2, s1
	s_mul_i32 s3, s31, s8
	s_lshl_b64 s[0:1], s[0:1], 3
	s_mul_hi_u32 s4, s30, s8
	s_add_u32 s5, s24, s0
	s_addc_u32 s6, s25, s1
	s_lshl_b64 s[0:1], s[26:27], 3
	s_mul_i32 s2, s30, s8
	s_add_u32 s5, s5, s0
	s_addc_u32 s6, s6, s1
	s_add_i32 s3, s4, s3
	v_mad_u64_u32 v[11:12], null, s36, v1, 0
	s_lshl_b64 s[0:1], s[2:3], 3
	s_mul_hi_u32 s4, s22, s8
	s_add_u32 s2, s40, s0
	s_addc_u32 s3, s41, s1
	s_lshl_b64 s[0:1], s[42:43], 3
	s_add_u32 s30, s2, s0
	s_addc_u32 s31, s3, s1
	s_cmpk_eq_i32 s12, 0x84
	v_mov_b32_e32 v3, v12
	s_cselect_b32 s38, -1, 0
	s_ashr_i32 s0, s13, 31
	v_cmp_gt_i32_e64 s1, s13, v8
	v_sub_co_ci_u32_e64 v14, null, s0, v9, vcc_lo
	v_add_co_u32 v6, vcc_lo, s5, v4
	v_mad_u64_u32 v[15:16], null, s37, v1, v[3:4]
	v_add_co_ci_u32_e64 v7, null, s6, v5, vcc_lo
	v_cmp_gt_i64_e32 vcc_lo, 1, v[13:14]
	v_cmp_gt_i64_e64 s0, 17, v[13:14]
	v_add_nc_u32_e32 v13, 16, v8
	v_mad_u64_u32 v[8:9], null, s36, v17, 0
	v_mov_b32_e32 v12, v15
	v_sub_co_u32 v49, s3, 0, v0
	s_ashr_i32 s15, s14, 31
	s_lshl_b64 s[24:25], s[36:37], 8
	v_lshlrev_b64 v[11:12], 3, v[11:12]
	v_mov_b32_e32 v3, v9
	v_ashrrev_i32_e32 v14, 31, v13
	v_sub_co_ci_u32_e64 v50, null, 0, 0, s3
	s_mul_i32 s3, s23, s8
	v_mad_u64_u32 v[15:16], null, s37, v17, v[3:4]
	s_add_u32 s26, s14, -16
	s_addc_u32 s27, s15, -1
	s_add_i32 s5, s4, s3
	s_mul_i32 s4, s22, s8
	v_add_co_u32 v9, s3, 0x80, v11
	s_lshl_b64 s[4:5], s[4:5], 3
	s_lshl_b64 s[8:9], s[18:19], 3
	v_cmp_gt_i32_e64 s2, s13, v13
	s_lshl_b32 s22, s33, 5
	v_add_co_ci_u32_e64 v51, null, 0, v12, s3
	v_lshlrev_b64 v[12:13], 3, v[13:14]
	s_add_u32 s4, s4, s8
	v_mov_b32_e32 v52, v15
	s_addc_u32 s5, s5, s9
	s_add_u32 s12, s16, s4
	s_addc_u32 s13, s17, s5
	s_lshl_b64 s[16:17], s[20:21], 3
	s_branch .LBB50_4
.LBB50_3:                               ;   in Loop: Header=BB50_4 Depth=1
	s_or_b32 exec_lo, exec_lo, s4
	v_add_nc_u32_e32 v10, s22, v10
	s_add_i32 s7, s33, s7
	s_cmp_le_i32 s7, s11
	s_cbranch_scc0 .LBB50_51
.LBB50_4:                               ; =>This Loop Header: Depth=1
                                        ;     Child Loop BB50_7 Depth 2
	s_lshl_b32 s23, s7, 5
	v_mov_b32_e32 v36, 0
	v_add_nc_u32_e32 v14, s23, v1
	v_mov_b32_e32 v34, 0
	v_mov_b32_e32 v32, 0
	;; [unrolled: 1-line block ×7, first 2 shown]
	v_ashrrev_i32_e32 v15, 31, v14
	s_cmp_lt_i32 s7, 0
	s_cbranch_scc1 .LBB50_43
; %bb.5:                                ;   in Loop: Header=BB50_4 Depth=1
	v_ashrrev_i32_e32 v11, 31, v10
	v_mul_lo_u32 v24, s17, v10
	v_add_co_u32 v20, s4, v14, 16
	v_add_co_ci_u32_e64 v21, null, 0, v15, s4
	v_lshlrev_b64 v[16:17], 3, v[10:11]
	v_mul_lo_u32 v25, s16, v11
	v_add_co_u32 v22, s4, v49, v10
	v_add_co_ci_u32_e64 v23, null, v50, v11, s4
	v_add_co_u32 v3, s3, 0x80, v16
	v_add_co_ci_u32_e64 v18, null, 0, v17, s3
	v_mad_u64_u32 v[16:17], null, s16, v10, s[12:13]
	v_mul_lo_u32 v27, s21, v3
	v_mul_lo_u32 v26, s20, v18
	v_mad_u64_u32 v[18:19], null, s20, v3, s[12:13]
	v_cmp_le_i64_e64 s4, s[14:15], v[20:21]
	v_mov_b32_e32 v30, 0
	v_add3_u32 v17, v24, v17, v25
	v_add_co_u32 v24, s5, v22, 16
	v_add_co_ci_u32_e64 v25, null, 0, v23, s5
	v_add3_u32 v19, v27, v19, v26
	v_add_co_u32 v26, s5, v22, -16
	v_mov_b32_e32 v32, 0
	v_mov_b32_e32 v34, 0
	;; [unrolled: 1-line block ×4, first 2 shown]
	v_cmp_le_i32_e64 s3, s14, v14
	v_add_co_ci_u32_e64 v27, null, -1, v23, s5
	v_mov_b32_e32 v31, 0
	v_mov_b32_e32 v33, 0
	;; [unrolled: 1-line block ×5, first 2 shown]
	s_mov_b64 s[18:19], 0
	s_branch .LBB50_7
.LBB50_6:                               ;   in Loop: Header=BB50_7 Depth=2
	s_or_b32 exec_lo, exec_lo, s5
	s_waitcnt lgkmcnt(0)
	s_barrier
	buffer_gl0_inv
	ds_read_b128 v[38:41], v44
	ds_read2_b64 v[54:57], v47 offset1:16
	ds_read_b128 v[58:61], v44 offset:4096
	ds_read_b128 v[62:65], v44 offset:16
	ds_read2_b64 v[66:69], v47 offset0:32 offset1:48
	ds_read_b128 v[70:73], v44 offset:4112
	v_add_nc_u32_e32 v3, 0x800, v47
	v_add_co_u32 v18, s5, 0x100, v18
	v_add_co_ci_u32_e64 v19, null, 0, v19, s5
	v_add_co_u32 v28, s5, v28, s24
	v_add_co_ci_u32_e64 v29, null, s25, v29, s5
	v_add_co_u32 v16, s5, 0x100, v16
	s_add_u32 s18, s18, 32
	v_add_co_ci_u32_e64 v17, null, 0, v17, s5
	s_addc_u32 s19, s19, 0
	s_waitcnt lgkmcnt(4)
	v_fma_f64 v[36:37], v[54:55], v[38:39], v[36:37]
	v_fma_f64 v[34:35], v[56:57], v[38:39], v[34:35]
	s_waitcnt lgkmcnt(3)
	v_fma_f64 v[38:39], v[54:55], v[58:59], v[32:33]
	v_fma_f64 v[42:43], v[56:57], v[58:59], v[30:31]
	ds_read2_b64 v[30:33], v47 offset0:64 offset1:80
	s_sub_i32 s6, s18, 32
	s_cmp_ge_i32 s6, s23
	s_waitcnt lgkmcnt(2)
	v_fma_f64 v[54:55], v[66:67], v[40:41], v[36:37]
	v_fma_f64 v[40:41], v[68:69], v[40:41], v[34:35]
	;; [unrolled: 1-line block ×4, first 2 shown]
	ds_read2_b64 v[34:37], v47 offset0:96 offset1:112
	s_waitcnt lgkmcnt(1)
	v_fma_f64 v[54:55], v[30:31], v[62:63], v[54:55]
	v_fma_f64 v[56:57], v[32:33], v[62:63], v[40:41]
	v_fma_f64 v[58:59], v[30:31], v[70:71], v[38:39]
	v_fma_f64 v[42:43], v[32:33], v[70:71], v[42:43]
	ds_read_b128 v[30:33], v44 offset:32
	ds_read2_b64 v[38:41], v47 offset0:128 offset1:144
	s_waitcnt lgkmcnt(2)
	v_fma_f64 v[66:67], v[34:35], v[64:65], v[54:55]
	v_fma_f64 v[68:69], v[36:37], v[64:65], v[56:57]
	;; [unrolled: 1-line block ×4, first 2 shown]
	ds_read_b128 v[34:37], v44 offset:4128
	ds_read_b128 v[54:57], v44 offset:48
	ds_read2_b64 v[58:61], v47 offset0:160 offset1:176
	ds_read_b128 v[62:65], v44 offset:4144
	s_waitcnt lgkmcnt(4)
	v_fma_f64 v[66:67], v[38:39], v[30:31], v[66:67]
	v_fma_f64 v[30:31], v[40:41], v[30:31], v[68:69]
	s_waitcnt lgkmcnt(3)
	v_fma_f64 v[68:69], v[38:39], v[34:35], v[70:71]
	v_fma_f64 v[34:35], v[40:41], v[34:35], v[42:43]
	ds_read2_b64 v[38:41], v47 offset0:192 offset1:208
	s_waitcnt lgkmcnt(2)
	v_fma_f64 v[42:43], v[58:59], v[32:33], v[66:67]
	v_fma_f64 v[66:67], v[60:61], v[32:33], v[30:31]
	;; [unrolled: 1-line block ×4, first 2 shown]
	ds_read2_b64 v[30:33], v47 offset0:224 offset1:240
	s_waitcnt lgkmcnt(1)
	v_fma_f64 v[42:43], v[38:39], v[54:55], v[42:43]
	v_fma_f64 v[54:55], v[40:41], v[54:55], v[66:67]
	;; [unrolled: 1-line block ×4, first 2 shown]
	ds_read_b128 v[34:37], v44 offset:64
	ds_read2_b64 v[38:41], v3 offset1:16
	s_waitcnt lgkmcnt(2)
	v_fma_f64 v[42:43], v[30:31], v[56:57], v[42:43]
	v_fma_f64 v[66:67], v[32:33], v[56:57], v[54:55]
	;; [unrolled: 1-line block ×4, first 2 shown]
	ds_read_b128 v[30:33], v44 offset:4160
	ds_read_b128 v[54:57], v44 offset:80
	;; [unrolled: 1-line block ×3, first 2 shown]
	ds_read2_b64 v[62:65], v3 offset0:32 offset1:48
	s_waitcnt lgkmcnt(4)
	v_fma_f64 v[42:43], v[38:39], v[34:35], v[42:43]
	v_fma_f64 v[34:35], v[40:41], v[34:35], v[66:67]
	s_waitcnt lgkmcnt(3)
	v_fma_f64 v[66:67], v[38:39], v[30:31], v[68:69]
	v_fma_f64 v[30:31], v[40:41], v[30:31], v[70:71]
	ds_read2_b64 v[38:41], v3 offset0:64 offset1:80
	s_waitcnt lgkmcnt(1)
	v_fma_f64 v[42:43], v[62:63], v[36:37], v[42:43]
	v_fma_f64 v[34:35], v[64:65], v[36:37], v[34:35]
	;; [unrolled: 1-line block ×4, first 2 shown]
	ds_read2_b64 v[30:33], v3 offset0:96 offset1:112
	s_waitcnt lgkmcnt(1)
	v_fma_f64 v[42:43], v[38:39], v[54:55], v[42:43]
	v_fma_f64 v[54:55], v[40:41], v[54:55], v[34:35]
	;; [unrolled: 1-line block ×4, first 2 shown]
	ds_read_b128 v[34:37], v44 offset:96
	ds_read2_b64 v[38:41], v3 offset0:128 offset1:144
	s_waitcnt lgkmcnt(2)
	v_fma_f64 v[42:43], v[30:31], v[56:57], v[42:43]
	v_fma_f64 v[66:67], v[32:33], v[56:57], v[54:55]
	;; [unrolled: 1-line block ×4, first 2 shown]
	ds_read_b128 v[30:33], v44 offset:4192
	ds_read_b128 v[54:57], v44 offset:112
	;; [unrolled: 1-line block ×3, first 2 shown]
	ds_read2_b64 v[62:65], v3 offset0:160 offset1:176
	s_waitcnt lgkmcnt(4)
	v_fma_f64 v[42:43], v[38:39], v[34:35], v[42:43]
	v_fma_f64 v[34:35], v[40:41], v[34:35], v[66:67]
	s_waitcnt lgkmcnt(3)
	v_fma_f64 v[66:67], v[38:39], v[30:31], v[68:69]
	v_fma_f64 v[30:31], v[40:41], v[30:31], v[70:71]
	ds_read2_b64 v[38:41], v3 offset0:192 offset1:208
	s_waitcnt lgkmcnt(1)
	v_fma_f64 v[42:43], v[62:63], v[36:37], v[42:43]
	v_fma_f64 v[34:35], v[64:65], v[36:37], v[34:35]
	;; [unrolled: 1-line block ×4, first 2 shown]
	ds_read2_b64 v[30:33], v3 offset0:224 offset1:240
	v_add_nc_u32_e32 v3, 0x1000, v47
	s_waitcnt lgkmcnt(1)
	v_fma_f64 v[42:43], v[38:39], v[54:55], v[42:43]
	v_fma_f64 v[54:55], v[40:41], v[54:55], v[34:35]
	;; [unrolled: 1-line block ×4, first 2 shown]
	ds_read_b128 v[34:37], v44 offset:128
	ds_read2_b64 v[38:41], v3 offset1:16
	s_waitcnt lgkmcnt(2)
	v_fma_f64 v[42:43], v[30:31], v[56:57], v[42:43]
	v_fma_f64 v[66:67], v[32:33], v[56:57], v[54:55]
	;; [unrolled: 1-line block ×4, first 2 shown]
	ds_read_b128 v[30:33], v44 offset:4224
	ds_read_b128 v[54:57], v44 offset:144
	;; [unrolled: 1-line block ×3, first 2 shown]
	ds_read2_b64 v[62:65], v3 offset0:32 offset1:48
	s_waitcnt lgkmcnt(4)
	v_fma_f64 v[42:43], v[38:39], v[34:35], v[42:43]
	v_fma_f64 v[34:35], v[40:41], v[34:35], v[66:67]
	s_waitcnt lgkmcnt(3)
	v_fma_f64 v[66:67], v[38:39], v[30:31], v[68:69]
	v_fma_f64 v[30:31], v[40:41], v[30:31], v[70:71]
	ds_read2_b64 v[38:41], v3 offset0:64 offset1:80
	s_waitcnt lgkmcnt(1)
	v_fma_f64 v[42:43], v[62:63], v[36:37], v[42:43]
	v_fma_f64 v[34:35], v[64:65], v[36:37], v[34:35]
	;; [unrolled: 1-line block ×4, first 2 shown]
	ds_read2_b64 v[30:33], v3 offset0:96 offset1:112
	s_waitcnt lgkmcnt(1)
	v_fma_f64 v[42:43], v[38:39], v[54:55], v[42:43]
	v_fma_f64 v[54:55], v[40:41], v[54:55], v[34:35]
	;; [unrolled: 1-line block ×4, first 2 shown]
	ds_read_b128 v[34:37], v44 offset:160
	ds_read2_b64 v[38:41], v3 offset0:128 offset1:144
	s_waitcnt lgkmcnt(2)
	v_fma_f64 v[42:43], v[30:31], v[56:57], v[42:43]
	v_fma_f64 v[66:67], v[32:33], v[56:57], v[54:55]
	;; [unrolled: 1-line block ×4, first 2 shown]
	ds_read_b128 v[30:33], v44 offset:4256
	ds_read_b128 v[54:57], v44 offset:176
	;; [unrolled: 1-line block ×3, first 2 shown]
	ds_read2_b64 v[62:65], v3 offset0:160 offset1:176
	s_waitcnt lgkmcnt(4)
	v_fma_f64 v[42:43], v[38:39], v[34:35], v[42:43]
	v_fma_f64 v[34:35], v[40:41], v[34:35], v[66:67]
	s_waitcnt lgkmcnt(3)
	v_fma_f64 v[66:67], v[38:39], v[30:31], v[68:69]
	v_fma_f64 v[30:31], v[40:41], v[30:31], v[70:71]
	ds_read2_b64 v[38:41], v3 offset0:192 offset1:208
	s_waitcnt lgkmcnt(1)
	v_fma_f64 v[42:43], v[62:63], v[36:37], v[42:43]
	v_fma_f64 v[34:35], v[64:65], v[36:37], v[34:35]
	;; [unrolled: 1-line block ×4, first 2 shown]
	ds_read2_b64 v[30:33], v3 offset0:224 offset1:240
	v_add_nc_u32_e32 v3, 0x1800, v47
	s_waitcnt lgkmcnt(1)
	v_fma_f64 v[42:43], v[38:39], v[54:55], v[42:43]
	v_fma_f64 v[54:55], v[40:41], v[54:55], v[34:35]
	;; [unrolled: 1-line block ×4, first 2 shown]
	ds_read_b128 v[34:37], v44 offset:192
	ds_read2_b64 v[38:41], v3 offset1:16
	s_waitcnt lgkmcnt(2)
	v_fma_f64 v[42:43], v[30:31], v[56:57], v[42:43]
	v_fma_f64 v[66:67], v[32:33], v[56:57], v[54:55]
	;; [unrolled: 1-line block ×4, first 2 shown]
	ds_read_b128 v[30:33], v44 offset:4288
	ds_read_b128 v[54:57], v44 offset:208
	;; [unrolled: 1-line block ×3, first 2 shown]
	ds_read2_b64 v[62:65], v3 offset0:32 offset1:48
	s_waitcnt lgkmcnt(4)
	v_fma_f64 v[42:43], v[38:39], v[34:35], v[42:43]
	v_fma_f64 v[34:35], v[40:41], v[34:35], v[66:67]
	s_waitcnt lgkmcnt(3)
	v_fma_f64 v[66:67], v[38:39], v[30:31], v[68:69]
	v_fma_f64 v[30:31], v[40:41], v[30:31], v[70:71]
	ds_read2_b64 v[38:41], v3 offset0:64 offset1:80
	s_waitcnt lgkmcnt(1)
	v_fma_f64 v[42:43], v[62:63], v[36:37], v[42:43]
	v_fma_f64 v[34:35], v[64:65], v[36:37], v[34:35]
	;; [unrolled: 1-line block ×4, first 2 shown]
	ds_read2_b64 v[30:33], v3 offset0:96 offset1:112
	s_waitcnt lgkmcnt(1)
	v_fma_f64 v[42:43], v[38:39], v[54:55], v[42:43]
	v_fma_f64 v[54:55], v[40:41], v[54:55], v[34:35]
	;; [unrolled: 1-line block ×4, first 2 shown]
	ds_read_b128 v[34:37], v44 offset:224
	ds_read2_b64 v[38:41], v3 offset0:128 offset1:144
	s_waitcnt lgkmcnt(2)
	v_fma_f64 v[42:43], v[30:31], v[56:57], v[42:43]
	v_fma_f64 v[66:67], v[32:33], v[56:57], v[54:55]
	;; [unrolled: 1-line block ×4, first 2 shown]
	ds_read_b128 v[30:33], v44 offset:4320
	ds_read_b128 v[54:57], v44 offset:240
	;; [unrolled: 1-line block ×3, first 2 shown]
	ds_read2_b64 v[62:65], v3 offset0:160 offset1:176
	s_waitcnt lgkmcnt(4)
	v_fma_f64 v[42:43], v[38:39], v[34:35], v[42:43]
	v_fma_f64 v[34:35], v[40:41], v[34:35], v[66:67]
	s_waitcnt lgkmcnt(3)
	v_fma_f64 v[66:67], v[38:39], v[30:31], v[68:69]
	v_fma_f64 v[30:31], v[40:41], v[30:31], v[70:71]
	ds_read2_b64 v[38:41], v3 offset0:192 offset1:208
	s_waitcnt lgkmcnt(1)
	v_fma_f64 v[42:43], v[62:63], v[36:37], v[42:43]
	v_fma_f64 v[34:35], v[64:65], v[36:37], v[34:35]
	;; [unrolled: 1-line block ×4, first 2 shown]
	ds_read2_b64 v[62:65], v3 offset0:224 offset1:240
	s_waitcnt lgkmcnt(0)
	s_barrier
	buffer_gl0_inv
	v_fma_f64 v[32:33], v[38:39], v[54:55], v[42:43]
	v_fma_f64 v[34:35], v[40:41], v[54:55], v[34:35]
	;; [unrolled: 1-line block ×8, first 2 shown]
	s_cbranch_scc1 .LBB50_43
.LBB50_7:                               ;   Parent Loop BB50_4 Depth=1
                                        ; =>  This Inner Loop Header: Depth=2
	v_add_co_u32 v38, s5, v0, s18
	v_add_co_ci_u32_e64 v39, null, 0, s19, s5
	v_cmp_eq_u64_e64 s8, s[18:19], v[22:23]
                                        ; implicit-def: $vgpr42_vgpr43
	v_cmp_gt_i64_e64 s5, v[38:39], v[14:15]
	v_cmp_le_i64_e64 s6, s[14:15], v[38:39]
	s_and_b32 s36, s38, s8
	v_add_co_u32 v40, s8, v16, v45
	s_or_b32 s9, s3, s5
	v_add_co_ci_u32_e64 v41, null, 0, v17, s8
	s_or_b32 s8, s9, s36
	s_nor_b32 s8, s6, s8
	s_and_saveexec_b32 s9, s8
	s_xor_b32 s8, exec_lo, s9
	s_cbranch_execz .LBB50_9
; %bb.8:                                ;   in Loop: Header=BB50_7 Depth=2
	global_load_dwordx2 v[42:43], v[40:41], off
.LBB50_9:                               ;   in Loop: Header=BB50_7 Depth=2
	s_andn2_saveexec_b32 s8, s8
	s_cbranch_execz .LBB50_11
; %bb.10:                               ;   in Loop: Header=BB50_7 Depth=2
	v_cndmask_b32_e64 v3, 0, 0x3ff00000, s36
	s_waitcnt vmcnt(0)
	v_mov_b32_e32 v43, v3
	v_mov_b32_e32 v42, v2
.LBB50_11:                              ;   in Loop: Header=BB50_7 Depth=2
	s_or_b32 exec_lo, exec_lo, s8
	v_add_co_u32 v54, s8, v38, 16
	v_add_co_ci_u32_e64 v55, null, 0, v39, s8
	v_cmp_eq_u64_e64 s9, s[18:19], v[26:27]
	s_waitcnt vmcnt(0)
	ds_write_b64 v46, v[42:43]
	v_cmp_gt_i64_e64 s10, v[54:55], v[14:15]
	v_cmp_le_i64_e64 s8, s[14:15], v[54:55]
	s_and_b32 s37, s38, s9
	s_or_b32 s9, s3, s10
	s_or_b32 s9, s9, s37
	s_nor_b32 s9, s8, s9
	s_and_saveexec_b32 s10, s9
	s_xor_b32 s9, exec_lo, s10
	s_cbranch_execz .LBB50_13
; %bb.12:                               ;   in Loop: Header=BB50_7 Depth=2
	global_load_dwordx2 v[40:41], v[40:41], off offset:128
	s_waitcnt vmcnt(0)
	ds_write_b64 v46, v[40:41] offset:128
.LBB50_13:                              ;   in Loop: Header=BB50_7 Depth=2
	s_andn2_saveexec_b32 s9, s9
	s_cbranch_execz .LBB50_19
; %bb.14:                               ;   in Loop: Header=BB50_7 Depth=2
	s_xor_b32 s10, s37, -1
	s_and_saveexec_b32 s37, s10
	s_xor_b32 s10, exec_lo, s37
; %bb.15:                               ;   in Loop: Header=BB50_7 Depth=2
	v_mov_b32_e32 v3, v2
	ds_write_b64 v46, v[2:3] offset:128
; %bb.16:                               ;   in Loop: Header=BB50_7 Depth=2
	s_andn2_saveexec_b32 s10, s10
; %bb.17:                               ;   in Loop: Header=BB50_7 Depth=2
	v_mov_b32_e32 v3, v53
	ds_write_b64 v46, v[2:3] offset:128
; %bb.18:                               ;   in Loop: Header=BB50_7 Depth=2
	s_or_b32 exec_lo, exec_lo, s10
.LBB50_19:                              ;   in Loop: Header=BB50_7 Depth=2
	s_or_b32 exec_lo, exec_lo, s9
	v_cmp_eq_u64_e64 s9, s[18:19], v[24:25]
	v_cmp_gt_i64_e64 s10, v[38:39], v[20:21]
                                        ; implicit-def: $vgpr40_vgpr41
	s_and_b32 s37, s38, s9
	v_add_co_u32 v38, s9, v18, v45
	s_or_b32 s10, s4, s10
	v_add_co_ci_u32_e64 v39, null, 0, v19, s9
	s_or_b32 s9, s10, s37
	s_nor_b32 s6, s6, s9
	s_and_saveexec_b32 s9, s6
	s_xor_b32 s6, exec_lo, s9
	s_cbranch_execz .LBB50_21
; %bb.20:                               ;   in Loop: Header=BB50_7 Depth=2
	global_load_dwordx2 v[40:41], v[38:39], off
.LBB50_21:                              ;   in Loop: Header=BB50_7 Depth=2
	s_andn2_saveexec_b32 s6, s6
	s_cbranch_execz .LBB50_23
; %bb.22:                               ;   in Loop: Header=BB50_7 Depth=2
	v_cndmask_b32_e64 v3, 0, 0x3ff00000, s37
	s_waitcnt vmcnt(0)
	v_mov_b32_e32 v41, v3
	v_mov_b32_e32 v40, v2
.LBB50_23:                              ;   in Loop: Header=BB50_7 Depth=2
	s_or_b32 exec_lo, exec_lo, s6
	s_or_b32 s5, s4, s5
	s_waitcnt vmcnt(0)
	ds_write_b64 v46, v[40:41] offset:4096
	s_or_b32 s5, s5, s36
	s_nor_b32 s5, s8, s5
	s_and_saveexec_b32 s6, s5
	s_xor_b32 s5, exec_lo, s6
	s_cbranch_execz .LBB50_25
; %bb.24:                               ;   in Loop: Header=BB50_7 Depth=2
	global_load_dwordx2 v[38:39], v[38:39], off offset:128
	s_waitcnt vmcnt(0)
	ds_write_b64 v46, v[38:39] offset:4224
.LBB50_25:                              ;   in Loop: Header=BB50_7 Depth=2
	s_andn2_saveexec_b32 s5, s5
	s_cbranch_execz .LBB50_31
; %bb.26:                               ;   in Loop: Header=BB50_7 Depth=2
	s_xor_b32 s6, s36, -1
	s_and_saveexec_b32 s8, s6
	s_xor_b32 s6, exec_lo, s8
; %bb.27:                               ;   in Loop: Header=BB50_7 Depth=2
	v_mov_b32_e32 v3, v2
	ds_write_b64 v46, v[2:3] offset:4224
; %bb.28:                               ;   in Loop: Header=BB50_7 Depth=2
	s_andn2_saveexec_b32 s6, s6
; %bb.29:                               ;   in Loop: Header=BB50_7 Depth=2
	v_mov_b32_e32 v3, v53
	ds_write_b64 v46, v[2:3] offset:4224
; %bb.30:                               ;   in Loop: Header=BB50_7 Depth=2
	s_or_b32 exec_lo, exec_lo, s6
.LBB50_31:                              ;   in Loop: Header=BB50_7 Depth=2
	s_or_b32 exec_lo, exec_lo, s5
	v_add_co_u32 v38, s5, v1, s18
	v_add_co_ci_u32_e64 v39, null, 0, s19, s5
	v_add_co_u32 v40, s6, v28, v9
	v_mov_b32_e32 v42, 0
	v_cmp_le_i64_e64 s5, s[14:15], v[38:39]
	v_mov_b32_e32 v43, 0
	v_add_co_ci_u32_e64 v41, null, v29, v51, s6
	s_nor_b32 s8, s5, vcc_lo
	s_and_saveexec_b32 s6, s8
	s_cbranch_execz .LBB50_33
; %bb.32:                               ;   in Loop: Header=BB50_7 Depth=2
	global_load_dwordx2 v[42:43], v[40:41], off offset:-128
.LBB50_33:                              ;   in Loop: Header=BB50_7 Depth=2
	s_or_b32 exec_lo, exec_lo, s6
	s_nor_b32 s5, s5, s0
	s_waitcnt vmcnt(0)
	ds_write_b64 v48, v[42:43]
	s_and_saveexec_b32 s6, s5
	s_xor_b32 s5, exec_lo, s6
	s_cbranch_execz .LBB50_35
; %bb.34:                               ;   in Loop: Header=BB50_7 Depth=2
	global_load_dwordx2 v[40:41], v[40:41], off
	s_waitcnt vmcnt(0)
	ds_write_b64 v48, v[40:41] offset:128
.LBB50_35:                              ;   in Loop: Header=BB50_7 Depth=2
	s_andn2_saveexec_b32 s5, s5
; %bb.36:                               ;   in Loop: Header=BB50_7 Depth=2
	v_mov_b32_e32 v3, v2
	ds_write_b64 v48, v[2:3] offset:128
; %bb.37:                               ;   in Loop: Header=BB50_7 Depth=2
	s_or_b32 exec_lo, exec_lo, s5
	v_cmp_le_i64_e64 s5, s[26:27], v[38:39]
	v_add_co_u32 v38, s6, v28, v8
	v_mov_b32_e32 v40, 0
	v_mov_b32_e32 v41, 0
	v_add_co_ci_u32_e64 v39, null, v29, v52, s6
	s_nor_b32 s8, s5, vcc_lo
	s_and_saveexec_b32 s6, s8
	s_cbranch_execz .LBB50_39
; %bb.38:                               ;   in Loop: Header=BB50_7 Depth=2
	global_load_dwordx2 v[40:41], v[38:39], off
.LBB50_39:                              ;   in Loop: Header=BB50_7 Depth=2
	s_or_b32 exec_lo, exec_lo, s6
	s_nor_b32 s5, s5, s0
	s_waitcnt vmcnt(0)
	ds_write_b64 v48, v[40:41] offset:4096
	s_and_saveexec_b32 s6, s5
	s_xor_b32 s5, exec_lo, s6
	s_cbranch_execz .LBB50_41
; %bb.40:                               ;   in Loop: Header=BB50_7 Depth=2
	global_load_dwordx2 v[38:39], v[38:39], off offset:128
	s_waitcnt vmcnt(0)
	ds_write_b64 v48, v[38:39] offset:4224
.LBB50_41:                              ;   in Loop: Header=BB50_7 Depth=2
	s_andn2_saveexec_b32 s5, s5
	s_cbranch_execz .LBB50_6
; %bb.42:                               ;   in Loop: Header=BB50_7 Depth=2
	v_mov_b32_e32 v3, v2
	ds_write_b64 v48, v[2:3] offset:4224
	s_branch .LBB50_6
.LBB50_43:                              ;   in Loop: Header=BB50_4 Depth=1
	v_mul_lo_u32 v3, s29, v14
	v_mul_lo_u32 v11, s28, v15
	v_mad_u64_u32 v[15:16], null, s28, v14, 0
	v_cmp_gt_i32_e64 s3, s14, v14
	v_add3_u32 v16, v16, v11, v3
	v_lshlrev_b64 v[15:16], 3, v[15:16]
	v_add_co_u32 v3, s4, s30, v15
	v_add_co_ci_u32_e64 v11, null, s31, v16, s4
	s_and_b32 s4, s1, s3
	s_and_saveexec_b32 s5, s4
	s_cbranch_execz .LBB50_45
; %bb.44:                               ;   in Loop: Header=BB50_4 Depth=1
	v_add_co_u32 v15, s4, v3, v4
	v_add_co_ci_u32_e64 v16, null, v11, v5, s4
	global_load_dwordx2 v[17:18], v[15:16], off
	s_waitcnt vmcnt(0)
	v_fma_f64 v[17:18], s[34:35], v[36:37], v[17:18]
	global_store_dwordx2 v[15:16], v[17:18], off
.LBB50_45:                              ;   in Loop: Header=BB50_4 Depth=1
	s_or_b32 exec_lo, exec_lo, s5
	s_and_b32 s3, s2, s3
	s_and_saveexec_b32 s4, s3
	s_cbranch_execz .LBB50_47
; %bb.46:                               ;   in Loop: Header=BB50_4 Depth=1
	v_add_co_u32 v15, s3, v3, v12
	v_add_co_ci_u32_e64 v16, null, v11, v13, s3
	global_load_dwordx2 v[17:18], v[15:16], off
	s_waitcnt vmcnt(0)
	v_fma_f64 v[17:18], s[34:35], v[34:35], v[17:18]
	global_store_dwordx2 v[15:16], v[17:18], off
.LBB50_47:                              ;   in Loop: Header=BB50_4 Depth=1
	s_or_b32 exec_lo, exec_lo, s4
	v_add_nc_u32_e32 v3, 16, v14
	v_ashrrev_i32_e32 v11, 31, v3
	v_mul_lo_u32 v16, s29, v3
	v_mad_u64_u32 v[14:15], null, s28, v3, 0
	v_cmp_gt_i32_e64 s3, s14, v3
	v_mul_lo_u32 v11, s28, v11
	v_add3_u32 v15, v15, v11, v16
	v_lshlrev_b64 v[14:15], 3, v[14:15]
	v_add_co_u32 v3, s4, s30, v14
	v_add_co_ci_u32_e64 v11, null, s31, v15, s4
	s_and_b32 s4, s1, s3
	s_and_saveexec_b32 s5, s4
	s_cbranch_execz .LBB50_49
; %bb.48:                               ;   in Loop: Header=BB50_4 Depth=1
	v_add_co_u32 v14, s4, v3, v4
	v_add_co_ci_u32_e64 v15, null, v11, v5, s4
	global_load_dwordx2 v[16:17], v[14:15], off
	s_waitcnt vmcnt(0)
	v_fma_f64 v[16:17], s[34:35], v[32:33], v[16:17]
	global_store_dwordx2 v[14:15], v[16:17], off
.LBB50_49:                              ;   in Loop: Header=BB50_4 Depth=1
	s_or_b32 exec_lo, exec_lo, s5
	s_and_b32 s3, s2, s3
	s_and_saveexec_b32 s4, s3
	s_cbranch_execz .LBB50_3
; %bb.50:                               ;   in Loop: Header=BB50_4 Depth=1
	v_add_co_u32 v14, s3, v3, v12
	v_add_co_ci_u32_e64 v15, null, v11, v13, s3
	global_load_dwordx2 v[16:17], v[14:15], off
	s_waitcnt vmcnt(0)
	v_fma_f64 v[16:17], s[34:35], v[30:31], v[16:17]
	global_store_dwordx2 v[14:15], v[16:17], off
	s_branch .LBB50_3
.LBB50_51:
	s_endpgm
	.section	.rodata,"a",@progbits
	.p2align	6, 0x0
	.amdhsa_kernel _ZL30rocblas_trmm_outofplace_kernelIdLi32ELi2ELb0ELb1ELb0ELb0EPKdS0_dEv17rocblas_diagonal_iiT6_lPT7_lllS5_lllPT8_llli
		.amdhsa_group_segment_fixed_size 16384
		.amdhsa_private_segment_fixed_size 0
		.amdhsa_kernarg_size 392
		.amdhsa_user_sgpr_count 6
		.amdhsa_user_sgpr_private_segment_buffer 1
		.amdhsa_user_sgpr_dispatch_ptr 0
		.amdhsa_user_sgpr_queue_ptr 0
		.amdhsa_user_sgpr_kernarg_segment_ptr 1
		.amdhsa_user_sgpr_dispatch_id 0
		.amdhsa_user_sgpr_flat_scratch_init 0
		.amdhsa_user_sgpr_private_segment_size 0
		.amdhsa_wavefront_size32 1
		.amdhsa_uses_dynamic_stack 0
		.amdhsa_system_sgpr_private_segment_wavefront_offset 0
		.amdhsa_system_sgpr_workgroup_id_x 1
		.amdhsa_system_sgpr_workgroup_id_y 1
		.amdhsa_system_sgpr_workgroup_id_z 1
		.amdhsa_system_sgpr_workgroup_info 0
		.amdhsa_system_vgpr_workitem_id 1
		.amdhsa_next_free_vgpr 74
		.amdhsa_next_free_sgpr 44
		.amdhsa_reserve_vcc 1
		.amdhsa_reserve_flat_scratch 0
		.amdhsa_float_round_mode_32 0
		.amdhsa_float_round_mode_16_64 0
		.amdhsa_float_denorm_mode_32 3
		.amdhsa_float_denorm_mode_16_64 3
		.amdhsa_dx10_clamp 1
		.amdhsa_ieee_mode 1
		.amdhsa_fp16_overflow 0
		.amdhsa_workgroup_processor_mode 1
		.amdhsa_memory_ordered 1
		.amdhsa_forward_progress 1
		.amdhsa_shared_vgpr_count 0
		.amdhsa_exception_fp_ieee_invalid_op 0
		.amdhsa_exception_fp_denorm_src 0
		.amdhsa_exception_fp_ieee_div_zero 0
		.amdhsa_exception_fp_ieee_overflow 0
		.amdhsa_exception_fp_ieee_underflow 0
		.amdhsa_exception_fp_ieee_inexact 0
		.amdhsa_exception_int_div_zero 0
	.end_amdhsa_kernel
	.section	.text._ZL30rocblas_trmm_outofplace_kernelIdLi32ELi2ELb0ELb1ELb0ELb0EPKdS0_dEv17rocblas_diagonal_iiT6_lPT7_lllS5_lllPT8_llli,"axG",@progbits,_ZL30rocblas_trmm_outofplace_kernelIdLi32ELi2ELb0ELb1ELb0ELb0EPKdS0_dEv17rocblas_diagonal_iiT6_lPT7_lllS5_lllPT8_llli,comdat
.Lfunc_end50:
	.size	_ZL30rocblas_trmm_outofplace_kernelIdLi32ELi2ELb0ELb1ELb0ELb0EPKdS0_dEv17rocblas_diagonal_iiT6_lPT7_lllS5_lllPT8_llli, .Lfunc_end50-_ZL30rocblas_trmm_outofplace_kernelIdLi32ELi2ELb0ELb1ELb0ELb0EPKdS0_dEv17rocblas_diagonal_iiT6_lPT7_lllS5_lllPT8_llli
                                        ; -- End function
	.set _ZL30rocblas_trmm_outofplace_kernelIdLi32ELi2ELb0ELb1ELb0ELb0EPKdS0_dEv17rocblas_diagonal_iiT6_lPT7_lllS5_lllPT8_llli.num_vgpr, 74
	.set _ZL30rocblas_trmm_outofplace_kernelIdLi32ELi2ELb0ELb1ELb0ELb0EPKdS0_dEv17rocblas_diagonal_iiT6_lPT7_lllS5_lllPT8_llli.num_agpr, 0
	.set _ZL30rocblas_trmm_outofplace_kernelIdLi32ELi2ELb0ELb1ELb0ELb0EPKdS0_dEv17rocblas_diagonal_iiT6_lPT7_lllS5_lllPT8_llli.numbered_sgpr, 44
	.set _ZL30rocblas_trmm_outofplace_kernelIdLi32ELi2ELb0ELb1ELb0ELb0EPKdS0_dEv17rocblas_diagonal_iiT6_lPT7_lllS5_lllPT8_llli.num_named_barrier, 0
	.set _ZL30rocblas_trmm_outofplace_kernelIdLi32ELi2ELb0ELb1ELb0ELb0EPKdS0_dEv17rocblas_diagonal_iiT6_lPT7_lllS5_lllPT8_llli.private_seg_size, 0
	.set _ZL30rocblas_trmm_outofplace_kernelIdLi32ELi2ELb0ELb1ELb0ELb0EPKdS0_dEv17rocblas_diagonal_iiT6_lPT7_lllS5_lllPT8_llli.uses_vcc, 1
	.set _ZL30rocblas_trmm_outofplace_kernelIdLi32ELi2ELb0ELb1ELb0ELb0EPKdS0_dEv17rocblas_diagonal_iiT6_lPT7_lllS5_lllPT8_llli.uses_flat_scratch, 0
	.set _ZL30rocblas_trmm_outofplace_kernelIdLi32ELi2ELb0ELb1ELb0ELb0EPKdS0_dEv17rocblas_diagonal_iiT6_lPT7_lllS5_lllPT8_llli.has_dyn_sized_stack, 0
	.set _ZL30rocblas_trmm_outofplace_kernelIdLi32ELi2ELb0ELb1ELb0ELb0EPKdS0_dEv17rocblas_diagonal_iiT6_lPT7_lllS5_lllPT8_llli.has_recursion, 0
	.set _ZL30rocblas_trmm_outofplace_kernelIdLi32ELi2ELb0ELb1ELb0ELb0EPKdS0_dEv17rocblas_diagonal_iiT6_lPT7_lllS5_lllPT8_llli.has_indirect_call, 0
	.section	.AMDGPU.csdata,"",@progbits
; Kernel info:
; codeLenInByte = 3812
; TotalNumSgprs: 46
; NumVgprs: 74
; ScratchSize: 0
; MemoryBound: 0
; FloatMode: 240
; IeeeMode: 1
; LDSByteSize: 16384 bytes/workgroup (compile time only)
; SGPRBlocks: 0
; VGPRBlocks: 9
; NumSGPRsForWavesPerEU: 46
; NumVGPRsForWavesPerEU: 74
; Occupancy: 12
; WaveLimiterHint : 0
; COMPUTE_PGM_RSRC2:SCRATCH_EN: 0
; COMPUTE_PGM_RSRC2:USER_SGPR: 6
; COMPUTE_PGM_RSRC2:TRAP_HANDLER: 0
; COMPUTE_PGM_RSRC2:TGID_X_EN: 1
; COMPUTE_PGM_RSRC2:TGID_Y_EN: 1
; COMPUTE_PGM_RSRC2:TGID_Z_EN: 1
; COMPUTE_PGM_RSRC2:TIDIG_COMP_CNT: 1
	.section	.text._ZL30rocblas_trmm_outofplace_kernelIdLi32ELi2ELb0ELb1ELb0ELb0EdKddEv17rocblas_diagonal_iiT6_lPT7_lllS4_lllPT8_llli,"axG",@progbits,_ZL30rocblas_trmm_outofplace_kernelIdLi32ELi2ELb0ELb1ELb0ELb0EdKddEv17rocblas_diagonal_iiT6_lPT7_lllS4_lllPT8_llli,comdat
	.globl	_ZL30rocblas_trmm_outofplace_kernelIdLi32ELi2ELb0ELb1ELb0ELb0EdKddEv17rocblas_diagonal_iiT6_lPT7_lllS4_lllPT8_llli ; -- Begin function _ZL30rocblas_trmm_outofplace_kernelIdLi32ELi2ELb0ELb1ELb0ELb0EdKddEv17rocblas_diagonal_iiT6_lPT7_lllS4_lllPT8_llli
	.p2align	8
	.type	_ZL30rocblas_trmm_outofplace_kernelIdLi32ELi2ELb0ELb1ELb0ELb0EdKddEv17rocblas_diagonal_iiT6_lPT7_lllS4_lllPT8_llli,@function
_ZL30rocblas_trmm_outofplace_kernelIdLi32ELi2ELb0ELb1ELb0ELb0EdKddEv17rocblas_diagonal_iiT6_lPT7_lllS4_lllPT8_llli: ; @_ZL30rocblas_trmm_outofplace_kernelIdLi32ELi2ELb0ELb1ELb0ELb0EdKddEv17rocblas_diagonal_iiT6_lPT7_lllS4_lllPT8_llli
; %bb.0:
	s_load_dwordx2 s[34:35], s[4:5], 0x10
	s_waitcnt lgkmcnt(0)
	v_cmp_eq_f64_e64 s0, s[34:35], 0
	s_and_b32 vcc_lo, exec_lo, s0
	s_cbranch_vccnz .LBB51_51
; %bb.1:
	s_load_dwordx4 s[28:31], s[4:5], 0x0
	s_waitcnt lgkmcnt(0)
	s_add_i32 s0, s30, -1
	s_ashr_i32 s1, s0, 31
	s_lshr_b32 s1, s1, 27
	s_add_i32 s0, s0, s1
	s_ashr_i32 s11, s0, 5
	s_cmp_gt_i32 s7, s11
	s_cbranch_scc1 .LBB51_51
; %bb.2:
	s_clause 0x2
	s_load_dwordx16 s[12:27], s[4:5], 0x20
	s_load_dwordx8 s[36:43], s[4:5], 0x60
	s_load_dword s33, s[4:5], 0x8c
	v_lshl_add_u32 v8, s6, 5, v0
	v_lshl_add_u32 v17, v1, 3, 0x80
	v_lshlrev_b32_e32 v45, 3, v0
	v_lshlrev_b32_e32 v44, 8, v1
	v_mov_b32_e32 v2, 0
	v_ashrrev_i32_e32 v9, 31, v8
	v_sub_co_u32 v13, vcc_lo, s29, v8
	v_or_b32_e32 v47, 0x2000, v45
	v_add_nc_u32_e32 v46, v44, v45
	v_lshlrev_b64 v[4:5], 3, v[8:9]
	v_lshl_add_u32 v10, s7, 5, v1
	v_mov_b32_e32 v53, 0x3ff00000
	v_add_nc_u32_e32 v48, v47, v44
	s_waitcnt lgkmcnt(0)
	s_mul_i32 s1, s27, s8
	s_mul_hi_u32 s2, s26, s8
	s_mul_i32 s0, s26, s8
	s_add_i32 s1, s2, s1
	s_mul_i32 s3, s43, s8
	s_lshl_b64 s[0:1], s[0:1], 3
	s_mul_hi_u32 s4, s42, s8
	s_add_u32 s5, s20, s0
	s_addc_u32 s6, s21, s1
	s_lshl_b64 s[0:1], s[22:23], 3
	s_mul_i32 s2, s42, s8
	s_add_u32 s5, s5, s0
	s_addc_u32 s6, s6, s1
	s_add_i32 s3, s4, s3
	v_mad_u64_u32 v[11:12], null, s24, v1, 0
	s_lshl_b64 s[0:1], s[2:3], 3
	s_mul_hi_u32 s4, s18, s8
	s_add_u32 s2, s36, s0
	s_addc_u32 s3, s37, s1
	s_lshl_b64 s[0:1], s[38:39], 3
	s_add_u32 s26, s2, s0
	s_addc_u32 s27, s3, s1
	s_cmpk_eq_i32 s28, 0x84
	v_mov_b32_e32 v3, v12
	s_cselect_b32 s28, -1, 0
	s_ashr_i32 s0, s29, 31
	v_cmp_gt_i32_e64 s1, s29, v8
	v_sub_co_ci_u32_e64 v14, null, s0, v9, vcc_lo
	v_add_co_u32 v6, vcc_lo, s5, v4
	v_mad_u64_u32 v[15:16], null, s25, v1, v[3:4]
	v_add_co_ci_u32_e64 v7, null, s6, v5, vcc_lo
	v_cmp_gt_i64_e32 vcc_lo, 1, v[13:14]
	v_cmp_gt_i64_e64 s0, 17, v[13:14]
	v_add_nc_u32_e32 v13, 16, v8
	v_mad_u64_u32 v[8:9], null, s24, v17, 0
	v_mov_b32_e32 v12, v15
	v_sub_co_u32 v49, s3, 0, v0
	s_ashr_i32 s31, s30, 31
	s_lshl_b64 s[20:21], s[24:25], 8
	v_lshlrev_b64 v[11:12], 3, v[11:12]
	v_mov_b32_e32 v3, v9
	v_ashrrev_i32_e32 v14, 31, v13
	v_sub_co_ci_u32_e64 v50, null, 0, 0, s3
	s_mul_i32 s3, s19, s8
	v_mad_u64_u32 v[15:16], null, s25, v17, v[3:4]
	s_add_u32 s22, s30, -16
	s_addc_u32 s23, s31, -1
	s_add_i32 s5, s4, s3
	s_mul_i32 s4, s18, s8
	v_add_co_u32 v9, s3, 0x80, v11
	s_lshl_b64 s[4:5], s[4:5], 3
	s_lshl_b64 s[8:9], s[14:15], 3
	v_cmp_gt_i32_e64 s2, s29, v13
	s_lshl_b32 s24, s33, 5
	v_add_co_ci_u32_e64 v51, null, 0, v12, s3
	v_lshlrev_b64 v[12:13], 3, v[13:14]
	s_add_u32 s4, s4, s8
	v_mov_b32_e32 v52, v15
	s_addc_u32 s5, s5, s9
	s_add_u32 s12, s12, s4
	s_addc_u32 s13, s13, s5
	s_lshl_b64 s[14:15], s[16:17], 3
	s_branch .LBB51_4
.LBB51_3:                               ;   in Loop: Header=BB51_4 Depth=1
	s_or_b32 exec_lo, exec_lo, s4
	v_add_nc_u32_e32 v10, s24, v10
	s_add_i32 s7, s33, s7
	s_cmp_le_i32 s7, s11
	s_cbranch_scc0 .LBB51_51
.LBB51_4:                               ; =>This Loop Header: Depth=1
                                        ;     Child Loop BB51_7 Depth 2
	s_lshl_b32 s25, s7, 5
	v_mov_b32_e32 v36, 0
	v_add_nc_u32_e32 v14, s25, v1
	v_mov_b32_e32 v34, 0
	v_mov_b32_e32 v32, 0
	;; [unrolled: 1-line block ×7, first 2 shown]
	v_ashrrev_i32_e32 v15, 31, v14
	s_cmp_lt_i32 s7, 0
	s_cbranch_scc1 .LBB51_43
; %bb.5:                                ;   in Loop: Header=BB51_4 Depth=1
	v_ashrrev_i32_e32 v11, 31, v10
	v_mul_lo_u32 v24, s15, v10
	v_add_co_u32 v20, s4, v14, 16
	v_add_co_ci_u32_e64 v21, null, 0, v15, s4
	v_lshlrev_b64 v[16:17], 3, v[10:11]
	v_mul_lo_u32 v25, s14, v11
	v_add_co_u32 v22, s4, v49, v10
	v_add_co_ci_u32_e64 v23, null, v50, v11, s4
	v_add_co_u32 v3, s3, 0x80, v16
	v_add_co_ci_u32_e64 v18, null, 0, v17, s3
	v_mad_u64_u32 v[16:17], null, s14, v10, s[12:13]
	v_mul_lo_u32 v27, s17, v3
	v_mul_lo_u32 v26, s16, v18
	v_mad_u64_u32 v[18:19], null, s16, v3, s[12:13]
	v_cmp_le_i64_e64 s4, s[30:31], v[20:21]
	v_mov_b32_e32 v30, 0
	v_add3_u32 v17, v24, v17, v25
	v_add_co_u32 v24, s5, v22, 16
	v_add_co_ci_u32_e64 v25, null, 0, v23, s5
	v_add3_u32 v19, v27, v19, v26
	v_add_co_u32 v26, s5, v22, -16
	v_mov_b32_e32 v32, 0
	v_mov_b32_e32 v34, 0
	;; [unrolled: 1-line block ×4, first 2 shown]
	v_cmp_le_i32_e64 s3, s30, v14
	v_add_co_ci_u32_e64 v27, null, -1, v23, s5
	v_mov_b32_e32 v31, 0
	v_mov_b32_e32 v33, 0
	;; [unrolled: 1-line block ×5, first 2 shown]
	s_mov_b64 s[18:19], 0
	s_branch .LBB51_7
.LBB51_6:                               ;   in Loop: Header=BB51_7 Depth=2
	s_or_b32 exec_lo, exec_lo, s5
	s_waitcnt lgkmcnt(0)
	s_barrier
	buffer_gl0_inv
	ds_read_b128 v[38:41], v44
	ds_read2_b64 v[54:57], v47 offset1:16
	ds_read_b128 v[58:61], v44 offset:4096
	ds_read_b128 v[62:65], v44 offset:16
	ds_read2_b64 v[66:69], v47 offset0:32 offset1:48
	ds_read_b128 v[70:73], v44 offset:4112
	v_add_nc_u32_e32 v3, 0x800, v47
	v_add_co_u32 v18, s5, 0x100, v18
	v_add_co_ci_u32_e64 v19, null, 0, v19, s5
	v_add_co_u32 v28, s5, v28, s20
	v_add_co_ci_u32_e64 v29, null, s21, v29, s5
	v_add_co_u32 v16, s5, 0x100, v16
	s_add_u32 s18, s18, 32
	v_add_co_ci_u32_e64 v17, null, 0, v17, s5
	s_addc_u32 s19, s19, 0
	s_waitcnt lgkmcnt(4)
	v_fma_f64 v[36:37], v[54:55], v[38:39], v[36:37]
	v_fma_f64 v[34:35], v[56:57], v[38:39], v[34:35]
	s_waitcnt lgkmcnt(3)
	v_fma_f64 v[38:39], v[54:55], v[58:59], v[32:33]
	v_fma_f64 v[42:43], v[56:57], v[58:59], v[30:31]
	ds_read2_b64 v[30:33], v47 offset0:64 offset1:80
	s_sub_i32 s6, s18, 32
	s_cmp_ge_i32 s6, s25
	s_waitcnt lgkmcnt(2)
	v_fma_f64 v[54:55], v[66:67], v[40:41], v[36:37]
	v_fma_f64 v[40:41], v[68:69], v[40:41], v[34:35]
	;; [unrolled: 1-line block ×4, first 2 shown]
	ds_read2_b64 v[34:37], v47 offset0:96 offset1:112
	s_waitcnt lgkmcnt(1)
	v_fma_f64 v[54:55], v[30:31], v[62:63], v[54:55]
	v_fma_f64 v[56:57], v[32:33], v[62:63], v[40:41]
	;; [unrolled: 1-line block ×4, first 2 shown]
	ds_read_b128 v[30:33], v44 offset:32
	ds_read2_b64 v[38:41], v47 offset0:128 offset1:144
	s_waitcnt lgkmcnt(2)
	v_fma_f64 v[66:67], v[34:35], v[64:65], v[54:55]
	v_fma_f64 v[68:69], v[36:37], v[64:65], v[56:57]
	;; [unrolled: 1-line block ×4, first 2 shown]
	ds_read_b128 v[34:37], v44 offset:4128
	ds_read_b128 v[54:57], v44 offset:48
	ds_read2_b64 v[58:61], v47 offset0:160 offset1:176
	ds_read_b128 v[62:65], v44 offset:4144
	s_waitcnt lgkmcnt(4)
	v_fma_f64 v[66:67], v[38:39], v[30:31], v[66:67]
	v_fma_f64 v[30:31], v[40:41], v[30:31], v[68:69]
	s_waitcnt lgkmcnt(3)
	v_fma_f64 v[68:69], v[38:39], v[34:35], v[70:71]
	v_fma_f64 v[34:35], v[40:41], v[34:35], v[42:43]
	ds_read2_b64 v[38:41], v47 offset0:192 offset1:208
	s_waitcnt lgkmcnt(2)
	v_fma_f64 v[42:43], v[58:59], v[32:33], v[66:67]
	v_fma_f64 v[66:67], v[60:61], v[32:33], v[30:31]
	;; [unrolled: 1-line block ×4, first 2 shown]
	ds_read2_b64 v[30:33], v47 offset0:224 offset1:240
	s_waitcnt lgkmcnt(1)
	v_fma_f64 v[42:43], v[38:39], v[54:55], v[42:43]
	v_fma_f64 v[54:55], v[40:41], v[54:55], v[66:67]
	;; [unrolled: 1-line block ×4, first 2 shown]
	ds_read_b128 v[34:37], v44 offset:64
	ds_read2_b64 v[38:41], v3 offset1:16
	s_waitcnt lgkmcnt(2)
	v_fma_f64 v[42:43], v[30:31], v[56:57], v[42:43]
	v_fma_f64 v[66:67], v[32:33], v[56:57], v[54:55]
	;; [unrolled: 1-line block ×4, first 2 shown]
	ds_read_b128 v[30:33], v44 offset:4160
	ds_read_b128 v[54:57], v44 offset:80
	ds_read_b128 v[58:61], v44 offset:4176
	ds_read2_b64 v[62:65], v3 offset0:32 offset1:48
	s_waitcnt lgkmcnt(4)
	v_fma_f64 v[42:43], v[38:39], v[34:35], v[42:43]
	v_fma_f64 v[34:35], v[40:41], v[34:35], v[66:67]
	s_waitcnt lgkmcnt(3)
	v_fma_f64 v[66:67], v[38:39], v[30:31], v[68:69]
	v_fma_f64 v[30:31], v[40:41], v[30:31], v[70:71]
	ds_read2_b64 v[38:41], v3 offset0:64 offset1:80
	s_waitcnt lgkmcnt(1)
	v_fma_f64 v[42:43], v[62:63], v[36:37], v[42:43]
	v_fma_f64 v[34:35], v[64:65], v[36:37], v[34:35]
	v_fma_f64 v[36:37], v[62:63], v[32:33], v[66:67]
	v_fma_f64 v[62:63], v[64:65], v[32:33], v[30:31]
	ds_read2_b64 v[30:33], v3 offset0:96 offset1:112
	s_waitcnt lgkmcnt(1)
	v_fma_f64 v[42:43], v[38:39], v[54:55], v[42:43]
	v_fma_f64 v[54:55], v[40:41], v[54:55], v[34:35]
	v_fma_f64 v[64:65], v[38:39], v[58:59], v[36:37]
	v_fma_f64 v[58:59], v[40:41], v[58:59], v[62:63]
	ds_read_b128 v[34:37], v44 offset:96
	ds_read2_b64 v[38:41], v3 offset0:128 offset1:144
	s_waitcnt lgkmcnt(2)
	v_fma_f64 v[42:43], v[30:31], v[56:57], v[42:43]
	v_fma_f64 v[66:67], v[32:33], v[56:57], v[54:55]
	;; [unrolled: 1-line block ×4, first 2 shown]
	ds_read_b128 v[30:33], v44 offset:4192
	ds_read_b128 v[54:57], v44 offset:112
	;; [unrolled: 1-line block ×3, first 2 shown]
	ds_read2_b64 v[62:65], v3 offset0:160 offset1:176
	s_waitcnt lgkmcnt(4)
	v_fma_f64 v[42:43], v[38:39], v[34:35], v[42:43]
	v_fma_f64 v[34:35], v[40:41], v[34:35], v[66:67]
	s_waitcnt lgkmcnt(3)
	v_fma_f64 v[66:67], v[38:39], v[30:31], v[68:69]
	v_fma_f64 v[30:31], v[40:41], v[30:31], v[70:71]
	ds_read2_b64 v[38:41], v3 offset0:192 offset1:208
	s_waitcnt lgkmcnt(1)
	v_fma_f64 v[42:43], v[62:63], v[36:37], v[42:43]
	v_fma_f64 v[34:35], v[64:65], v[36:37], v[34:35]
	;; [unrolled: 1-line block ×4, first 2 shown]
	ds_read2_b64 v[30:33], v3 offset0:224 offset1:240
	v_add_nc_u32_e32 v3, 0x1000, v47
	s_waitcnt lgkmcnt(1)
	v_fma_f64 v[42:43], v[38:39], v[54:55], v[42:43]
	v_fma_f64 v[54:55], v[40:41], v[54:55], v[34:35]
	;; [unrolled: 1-line block ×4, first 2 shown]
	ds_read_b128 v[34:37], v44 offset:128
	ds_read2_b64 v[38:41], v3 offset1:16
	s_waitcnt lgkmcnt(2)
	v_fma_f64 v[42:43], v[30:31], v[56:57], v[42:43]
	v_fma_f64 v[66:67], v[32:33], v[56:57], v[54:55]
	;; [unrolled: 1-line block ×4, first 2 shown]
	ds_read_b128 v[30:33], v44 offset:4224
	ds_read_b128 v[54:57], v44 offset:144
	;; [unrolled: 1-line block ×3, first 2 shown]
	ds_read2_b64 v[62:65], v3 offset0:32 offset1:48
	s_waitcnt lgkmcnt(4)
	v_fma_f64 v[42:43], v[38:39], v[34:35], v[42:43]
	v_fma_f64 v[34:35], v[40:41], v[34:35], v[66:67]
	s_waitcnt lgkmcnt(3)
	v_fma_f64 v[66:67], v[38:39], v[30:31], v[68:69]
	v_fma_f64 v[30:31], v[40:41], v[30:31], v[70:71]
	ds_read2_b64 v[38:41], v3 offset0:64 offset1:80
	s_waitcnt lgkmcnt(1)
	v_fma_f64 v[42:43], v[62:63], v[36:37], v[42:43]
	v_fma_f64 v[34:35], v[64:65], v[36:37], v[34:35]
	;; [unrolled: 1-line block ×4, first 2 shown]
	ds_read2_b64 v[30:33], v3 offset0:96 offset1:112
	s_waitcnt lgkmcnt(1)
	v_fma_f64 v[42:43], v[38:39], v[54:55], v[42:43]
	v_fma_f64 v[54:55], v[40:41], v[54:55], v[34:35]
	;; [unrolled: 1-line block ×4, first 2 shown]
	ds_read_b128 v[34:37], v44 offset:160
	ds_read2_b64 v[38:41], v3 offset0:128 offset1:144
	s_waitcnt lgkmcnt(2)
	v_fma_f64 v[42:43], v[30:31], v[56:57], v[42:43]
	v_fma_f64 v[66:67], v[32:33], v[56:57], v[54:55]
	;; [unrolled: 1-line block ×4, first 2 shown]
	ds_read_b128 v[30:33], v44 offset:4256
	ds_read_b128 v[54:57], v44 offset:176
	;; [unrolled: 1-line block ×3, first 2 shown]
	ds_read2_b64 v[62:65], v3 offset0:160 offset1:176
	s_waitcnt lgkmcnt(4)
	v_fma_f64 v[42:43], v[38:39], v[34:35], v[42:43]
	v_fma_f64 v[34:35], v[40:41], v[34:35], v[66:67]
	s_waitcnt lgkmcnt(3)
	v_fma_f64 v[66:67], v[38:39], v[30:31], v[68:69]
	v_fma_f64 v[30:31], v[40:41], v[30:31], v[70:71]
	ds_read2_b64 v[38:41], v3 offset0:192 offset1:208
	s_waitcnt lgkmcnt(1)
	v_fma_f64 v[42:43], v[62:63], v[36:37], v[42:43]
	v_fma_f64 v[34:35], v[64:65], v[36:37], v[34:35]
	;; [unrolled: 1-line block ×4, first 2 shown]
	ds_read2_b64 v[30:33], v3 offset0:224 offset1:240
	v_add_nc_u32_e32 v3, 0x1800, v47
	s_waitcnt lgkmcnt(1)
	v_fma_f64 v[42:43], v[38:39], v[54:55], v[42:43]
	v_fma_f64 v[54:55], v[40:41], v[54:55], v[34:35]
	;; [unrolled: 1-line block ×4, first 2 shown]
	ds_read_b128 v[34:37], v44 offset:192
	ds_read2_b64 v[38:41], v3 offset1:16
	s_waitcnt lgkmcnt(2)
	v_fma_f64 v[42:43], v[30:31], v[56:57], v[42:43]
	v_fma_f64 v[66:67], v[32:33], v[56:57], v[54:55]
	;; [unrolled: 1-line block ×4, first 2 shown]
	ds_read_b128 v[30:33], v44 offset:4288
	ds_read_b128 v[54:57], v44 offset:208
	;; [unrolled: 1-line block ×3, first 2 shown]
	ds_read2_b64 v[62:65], v3 offset0:32 offset1:48
	s_waitcnt lgkmcnt(4)
	v_fma_f64 v[42:43], v[38:39], v[34:35], v[42:43]
	v_fma_f64 v[34:35], v[40:41], v[34:35], v[66:67]
	s_waitcnt lgkmcnt(3)
	v_fma_f64 v[66:67], v[38:39], v[30:31], v[68:69]
	v_fma_f64 v[30:31], v[40:41], v[30:31], v[70:71]
	ds_read2_b64 v[38:41], v3 offset0:64 offset1:80
	s_waitcnt lgkmcnt(1)
	v_fma_f64 v[42:43], v[62:63], v[36:37], v[42:43]
	v_fma_f64 v[34:35], v[64:65], v[36:37], v[34:35]
	;; [unrolled: 1-line block ×4, first 2 shown]
	ds_read2_b64 v[30:33], v3 offset0:96 offset1:112
	s_waitcnt lgkmcnt(1)
	v_fma_f64 v[42:43], v[38:39], v[54:55], v[42:43]
	v_fma_f64 v[54:55], v[40:41], v[54:55], v[34:35]
	;; [unrolled: 1-line block ×4, first 2 shown]
	ds_read_b128 v[34:37], v44 offset:224
	ds_read2_b64 v[38:41], v3 offset0:128 offset1:144
	s_waitcnt lgkmcnt(2)
	v_fma_f64 v[42:43], v[30:31], v[56:57], v[42:43]
	v_fma_f64 v[66:67], v[32:33], v[56:57], v[54:55]
	;; [unrolled: 1-line block ×4, first 2 shown]
	ds_read_b128 v[30:33], v44 offset:4320
	ds_read_b128 v[54:57], v44 offset:240
	;; [unrolled: 1-line block ×3, first 2 shown]
	ds_read2_b64 v[62:65], v3 offset0:160 offset1:176
	s_waitcnt lgkmcnt(4)
	v_fma_f64 v[42:43], v[38:39], v[34:35], v[42:43]
	v_fma_f64 v[34:35], v[40:41], v[34:35], v[66:67]
	s_waitcnt lgkmcnt(3)
	v_fma_f64 v[66:67], v[38:39], v[30:31], v[68:69]
	v_fma_f64 v[30:31], v[40:41], v[30:31], v[70:71]
	ds_read2_b64 v[38:41], v3 offset0:192 offset1:208
	s_waitcnt lgkmcnt(1)
	v_fma_f64 v[42:43], v[62:63], v[36:37], v[42:43]
	v_fma_f64 v[34:35], v[64:65], v[36:37], v[34:35]
	;; [unrolled: 1-line block ×4, first 2 shown]
	ds_read2_b64 v[62:65], v3 offset0:224 offset1:240
	s_waitcnt lgkmcnt(0)
	s_barrier
	buffer_gl0_inv
	v_fma_f64 v[32:33], v[38:39], v[54:55], v[42:43]
	v_fma_f64 v[34:35], v[40:41], v[54:55], v[34:35]
	;; [unrolled: 1-line block ×8, first 2 shown]
	s_cbranch_scc1 .LBB51_43
.LBB51_7:                               ;   Parent Loop BB51_4 Depth=1
                                        ; =>  This Inner Loop Header: Depth=2
	v_add_co_u32 v38, s5, v0, s18
	v_add_co_ci_u32_e64 v39, null, 0, s19, s5
	v_cmp_eq_u64_e64 s8, s[18:19], v[22:23]
                                        ; implicit-def: $vgpr42_vgpr43
	v_cmp_gt_i64_e64 s5, v[38:39], v[14:15]
	v_cmp_le_i64_e64 s6, s[30:31], v[38:39]
	s_and_b32 s29, s28, s8
	v_add_co_u32 v40, s8, v16, v45
	s_or_b32 s9, s3, s5
	v_add_co_ci_u32_e64 v41, null, 0, v17, s8
	s_or_b32 s8, s9, s29
	s_nor_b32 s8, s6, s8
	s_and_saveexec_b32 s9, s8
	s_xor_b32 s8, exec_lo, s9
	s_cbranch_execz .LBB51_9
; %bb.8:                                ;   in Loop: Header=BB51_7 Depth=2
	global_load_dwordx2 v[42:43], v[40:41], off
.LBB51_9:                               ;   in Loop: Header=BB51_7 Depth=2
	s_andn2_saveexec_b32 s8, s8
	s_cbranch_execz .LBB51_11
; %bb.10:                               ;   in Loop: Header=BB51_7 Depth=2
	v_cndmask_b32_e64 v3, 0, 0x3ff00000, s29
	s_waitcnt vmcnt(0)
	v_mov_b32_e32 v43, v3
	v_mov_b32_e32 v42, v2
.LBB51_11:                              ;   in Loop: Header=BB51_7 Depth=2
	s_or_b32 exec_lo, exec_lo, s8
	v_add_co_u32 v54, s8, v38, 16
	v_add_co_ci_u32_e64 v55, null, 0, v39, s8
	v_cmp_eq_u64_e64 s9, s[18:19], v[26:27]
	s_waitcnt vmcnt(0)
	ds_write_b64 v46, v[42:43]
	v_cmp_gt_i64_e64 s10, v[54:55], v[14:15]
	v_cmp_le_i64_e64 s8, s[30:31], v[54:55]
	s_and_b32 s36, s28, s9
	s_or_b32 s9, s3, s10
	s_or_b32 s9, s9, s36
	s_nor_b32 s9, s8, s9
	s_and_saveexec_b32 s10, s9
	s_xor_b32 s9, exec_lo, s10
	s_cbranch_execz .LBB51_13
; %bb.12:                               ;   in Loop: Header=BB51_7 Depth=2
	global_load_dwordx2 v[40:41], v[40:41], off offset:128
	s_waitcnt vmcnt(0)
	ds_write_b64 v46, v[40:41] offset:128
.LBB51_13:                              ;   in Loop: Header=BB51_7 Depth=2
	s_andn2_saveexec_b32 s9, s9
	s_cbranch_execz .LBB51_19
; %bb.14:                               ;   in Loop: Header=BB51_7 Depth=2
	s_xor_b32 s10, s36, -1
	s_and_saveexec_b32 s36, s10
	s_xor_b32 s10, exec_lo, s36
; %bb.15:                               ;   in Loop: Header=BB51_7 Depth=2
	v_mov_b32_e32 v3, v2
	ds_write_b64 v46, v[2:3] offset:128
; %bb.16:                               ;   in Loop: Header=BB51_7 Depth=2
	s_andn2_saveexec_b32 s10, s10
; %bb.17:                               ;   in Loop: Header=BB51_7 Depth=2
	v_mov_b32_e32 v3, v53
	ds_write_b64 v46, v[2:3] offset:128
; %bb.18:                               ;   in Loop: Header=BB51_7 Depth=2
	s_or_b32 exec_lo, exec_lo, s10
.LBB51_19:                              ;   in Loop: Header=BB51_7 Depth=2
	s_or_b32 exec_lo, exec_lo, s9
	v_cmp_eq_u64_e64 s9, s[18:19], v[24:25]
	v_cmp_gt_i64_e64 s10, v[38:39], v[20:21]
                                        ; implicit-def: $vgpr40_vgpr41
	s_and_b32 s36, s28, s9
	v_add_co_u32 v38, s9, v18, v45
	s_or_b32 s10, s4, s10
	v_add_co_ci_u32_e64 v39, null, 0, v19, s9
	s_or_b32 s9, s10, s36
	s_nor_b32 s6, s6, s9
	s_and_saveexec_b32 s9, s6
	s_xor_b32 s6, exec_lo, s9
	s_cbranch_execz .LBB51_21
; %bb.20:                               ;   in Loop: Header=BB51_7 Depth=2
	global_load_dwordx2 v[40:41], v[38:39], off
.LBB51_21:                              ;   in Loop: Header=BB51_7 Depth=2
	s_andn2_saveexec_b32 s6, s6
	s_cbranch_execz .LBB51_23
; %bb.22:                               ;   in Loop: Header=BB51_7 Depth=2
	v_cndmask_b32_e64 v3, 0, 0x3ff00000, s36
	s_waitcnt vmcnt(0)
	v_mov_b32_e32 v41, v3
	v_mov_b32_e32 v40, v2
.LBB51_23:                              ;   in Loop: Header=BB51_7 Depth=2
	s_or_b32 exec_lo, exec_lo, s6
	s_or_b32 s5, s4, s5
	s_waitcnt vmcnt(0)
	ds_write_b64 v46, v[40:41] offset:4096
	s_or_b32 s5, s5, s29
	s_nor_b32 s5, s8, s5
	s_and_saveexec_b32 s6, s5
	s_xor_b32 s5, exec_lo, s6
	s_cbranch_execz .LBB51_25
; %bb.24:                               ;   in Loop: Header=BB51_7 Depth=2
	global_load_dwordx2 v[38:39], v[38:39], off offset:128
	s_waitcnt vmcnt(0)
	ds_write_b64 v46, v[38:39] offset:4224
.LBB51_25:                              ;   in Loop: Header=BB51_7 Depth=2
	s_andn2_saveexec_b32 s5, s5
	s_cbranch_execz .LBB51_31
; %bb.26:                               ;   in Loop: Header=BB51_7 Depth=2
	s_xor_b32 s6, s29, -1
	s_and_saveexec_b32 s8, s6
	s_xor_b32 s6, exec_lo, s8
; %bb.27:                               ;   in Loop: Header=BB51_7 Depth=2
	v_mov_b32_e32 v3, v2
	ds_write_b64 v46, v[2:3] offset:4224
; %bb.28:                               ;   in Loop: Header=BB51_7 Depth=2
	s_andn2_saveexec_b32 s6, s6
; %bb.29:                               ;   in Loop: Header=BB51_7 Depth=2
	v_mov_b32_e32 v3, v53
	ds_write_b64 v46, v[2:3] offset:4224
; %bb.30:                               ;   in Loop: Header=BB51_7 Depth=2
	s_or_b32 exec_lo, exec_lo, s6
.LBB51_31:                              ;   in Loop: Header=BB51_7 Depth=2
	s_or_b32 exec_lo, exec_lo, s5
	v_add_co_u32 v38, s5, v1, s18
	v_add_co_ci_u32_e64 v39, null, 0, s19, s5
	v_add_co_u32 v40, s6, v28, v9
	v_mov_b32_e32 v42, 0
	v_cmp_le_i64_e64 s5, s[30:31], v[38:39]
	v_mov_b32_e32 v43, 0
	v_add_co_ci_u32_e64 v41, null, v29, v51, s6
	s_nor_b32 s8, s5, vcc_lo
	s_and_saveexec_b32 s6, s8
	s_cbranch_execz .LBB51_33
; %bb.32:                               ;   in Loop: Header=BB51_7 Depth=2
	global_load_dwordx2 v[42:43], v[40:41], off offset:-128
.LBB51_33:                              ;   in Loop: Header=BB51_7 Depth=2
	s_or_b32 exec_lo, exec_lo, s6
	s_nor_b32 s5, s5, s0
	s_waitcnt vmcnt(0)
	ds_write_b64 v48, v[42:43]
	s_and_saveexec_b32 s6, s5
	s_xor_b32 s5, exec_lo, s6
	s_cbranch_execz .LBB51_35
; %bb.34:                               ;   in Loop: Header=BB51_7 Depth=2
	global_load_dwordx2 v[40:41], v[40:41], off
	s_waitcnt vmcnt(0)
	ds_write_b64 v48, v[40:41] offset:128
.LBB51_35:                              ;   in Loop: Header=BB51_7 Depth=2
	s_andn2_saveexec_b32 s5, s5
; %bb.36:                               ;   in Loop: Header=BB51_7 Depth=2
	v_mov_b32_e32 v3, v2
	ds_write_b64 v48, v[2:3] offset:128
; %bb.37:                               ;   in Loop: Header=BB51_7 Depth=2
	s_or_b32 exec_lo, exec_lo, s5
	v_cmp_le_i64_e64 s5, s[22:23], v[38:39]
	v_add_co_u32 v38, s6, v28, v8
	v_mov_b32_e32 v40, 0
	v_mov_b32_e32 v41, 0
	v_add_co_ci_u32_e64 v39, null, v29, v52, s6
	s_nor_b32 s8, s5, vcc_lo
	s_and_saveexec_b32 s6, s8
	s_cbranch_execz .LBB51_39
; %bb.38:                               ;   in Loop: Header=BB51_7 Depth=2
	global_load_dwordx2 v[40:41], v[38:39], off
.LBB51_39:                              ;   in Loop: Header=BB51_7 Depth=2
	s_or_b32 exec_lo, exec_lo, s6
	s_nor_b32 s5, s5, s0
	s_waitcnt vmcnt(0)
	ds_write_b64 v48, v[40:41] offset:4096
	s_and_saveexec_b32 s6, s5
	s_xor_b32 s5, exec_lo, s6
	s_cbranch_execz .LBB51_41
; %bb.40:                               ;   in Loop: Header=BB51_7 Depth=2
	global_load_dwordx2 v[38:39], v[38:39], off offset:128
	s_waitcnt vmcnt(0)
	ds_write_b64 v48, v[38:39] offset:4224
.LBB51_41:                              ;   in Loop: Header=BB51_7 Depth=2
	s_andn2_saveexec_b32 s5, s5
	s_cbranch_execz .LBB51_6
; %bb.42:                               ;   in Loop: Header=BB51_7 Depth=2
	v_mov_b32_e32 v3, v2
	ds_write_b64 v48, v[2:3] offset:4224
	s_branch .LBB51_6
.LBB51_43:                              ;   in Loop: Header=BB51_4 Depth=1
	v_mul_lo_u32 v3, s41, v14
	v_mul_lo_u32 v11, s40, v15
	v_mad_u64_u32 v[15:16], null, s40, v14, 0
	v_cmp_gt_i32_e64 s3, s30, v14
	v_add3_u32 v16, v16, v11, v3
	v_lshlrev_b64 v[15:16], 3, v[15:16]
	v_add_co_u32 v3, s4, s26, v15
	v_add_co_ci_u32_e64 v11, null, s27, v16, s4
	s_and_b32 s4, s1, s3
	s_and_saveexec_b32 s5, s4
	s_cbranch_execz .LBB51_45
; %bb.44:                               ;   in Loop: Header=BB51_4 Depth=1
	v_add_co_u32 v15, s4, v3, v4
	v_add_co_ci_u32_e64 v16, null, v11, v5, s4
	global_load_dwordx2 v[17:18], v[15:16], off
	s_waitcnt vmcnt(0)
	v_fma_f64 v[17:18], s[34:35], v[36:37], v[17:18]
	global_store_dwordx2 v[15:16], v[17:18], off
.LBB51_45:                              ;   in Loop: Header=BB51_4 Depth=1
	s_or_b32 exec_lo, exec_lo, s5
	s_and_b32 s3, s2, s3
	s_and_saveexec_b32 s4, s3
	s_cbranch_execz .LBB51_47
; %bb.46:                               ;   in Loop: Header=BB51_4 Depth=1
	v_add_co_u32 v15, s3, v3, v12
	v_add_co_ci_u32_e64 v16, null, v11, v13, s3
	global_load_dwordx2 v[17:18], v[15:16], off
	s_waitcnt vmcnt(0)
	v_fma_f64 v[17:18], s[34:35], v[34:35], v[17:18]
	global_store_dwordx2 v[15:16], v[17:18], off
.LBB51_47:                              ;   in Loop: Header=BB51_4 Depth=1
	s_or_b32 exec_lo, exec_lo, s4
	v_add_nc_u32_e32 v3, 16, v14
	v_ashrrev_i32_e32 v11, 31, v3
	v_mul_lo_u32 v16, s41, v3
	v_mad_u64_u32 v[14:15], null, s40, v3, 0
	v_cmp_gt_i32_e64 s3, s30, v3
	v_mul_lo_u32 v11, s40, v11
	v_add3_u32 v15, v15, v11, v16
	v_lshlrev_b64 v[14:15], 3, v[14:15]
	v_add_co_u32 v3, s4, s26, v14
	v_add_co_ci_u32_e64 v11, null, s27, v15, s4
	s_and_b32 s4, s1, s3
	s_and_saveexec_b32 s5, s4
	s_cbranch_execz .LBB51_49
; %bb.48:                               ;   in Loop: Header=BB51_4 Depth=1
	v_add_co_u32 v14, s4, v3, v4
	v_add_co_ci_u32_e64 v15, null, v11, v5, s4
	global_load_dwordx2 v[16:17], v[14:15], off
	s_waitcnt vmcnt(0)
	v_fma_f64 v[16:17], s[34:35], v[32:33], v[16:17]
	global_store_dwordx2 v[14:15], v[16:17], off
.LBB51_49:                              ;   in Loop: Header=BB51_4 Depth=1
	s_or_b32 exec_lo, exec_lo, s5
	s_and_b32 s3, s2, s3
	s_and_saveexec_b32 s4, s3
	s_cbranch_execz .LBB51_3
; %bb.50:                               ;   in Loop: Header=BB51_4 Depth=1
	v_add_co_u32 v14, s3, v3, v12
	v_add_co_ci_u32_e64 v15, null, v11, v13, s3
	global_load_dwordx2 v[16:17], v[14:15], off
	s_waitcnt vmcnt(0)
	v_fma_f64 v[16:17], s[34:35], v[30:31], v[16:17]
	global_store_dwordx2 v[14:15], v[16:17], off
	s_branch .LBB51_3
.LBB51_51:
	s_endpgm
	.section	.rodata,"a",@progbits
	.p2align	6, 0x0
	.amdhsa_kernel _ZL30rocblas_trmm_outofplace_kernelIdLi32ELi2ELb0ELb1ELb0ELb0EdKddEv17rocblas_diagonal_iiT6_lPT7_lllS4_lllPT8_llli
		.amdhsa_group_segment_fixed_size 16384
		.amdhsa_private_segment_fixed_size 0
		.amdhsa_kernarg_size 392
		.amdhsa_user_sgpr_count 6
		.amdhsa_user_sgpr_private_segment_buffer 1
		.amdhsa_user_sgpr_dispatch_ptr 0
		.amdhsa_user_sgpr_queue_ptr 0
		.amdhsa_user_sgpr_kernarg_segment_ptr 1
		.amdhsa_user_sgpr_dispatch_id 0
		.amdhsa_user_sgpr_flat_scratch_init 0
		.amdhsa_user_sgpr_private_segment_size 0
		.amdhsa_wavefront_size32 1
		.amdhsa_uses_dynamic_stack 0
		.amdhsa_system_sgpr_private_segment_wavefront_offset 0
		.amdhsa_system_sgpr_workgroup_id_x 1
		.amdhsa_system_sgpr_workgroup_id_y 1
		.amdhsa_system_sgpr_workgroup_id_z 1
		.amdhsa_system_sgpr_workgroup_info 0
		.amdhsa_system_vgpr_workitem_id 1
		.amdhsa_next_free_vgpr 74
		.amdhsa_next_free_sgpr 44
		.amdhsa_reserve_vcc 1
		.amdhsa_reserve_flat_scratch 0
		.amdhsa_float_round_mode_32 0
		.amdhsa_float_round_mode_16_64 0
		.amdhsa_float_denorm_mode_32 3
		.amdhsa_float_denorm_mode_16_64 3
		.amdhsa_dx10_clamp 1
		.amdhsa_ieee_mode 1
		.amdhsa_fp16_overflow 0
		.amdhsa_workgroup_processor_mode 1
		.amdhsa_memory_ordered 1
		.amdhsa_forward_progress 1
		.amdhsa_shared_vgpr_count 0
		.amdhsa_exception_fp_ieee_invalid_op 0
		.amdhsa_exception_fp_denorm_src 0
		.amdhsa_exception_fp_ieee_div_zero 0
		.amdhsa_exception_fp_ieee_overflow 0
		.amdhsa_exception_fp_ieee_underflow 0
		.amdhsa_exception_fp_ieee_inexact 0
		.amdhsa_exception_int_div_zero 0
	.end_amdhsa_kernel
	.section	.text._ZL30rocblas_trmm_outofplace_kernelIdLi32ELi2ELb0ELb1ELb0ELb0EdKddEv17rocblas_diagonal_iiT6_lPT7_lllS4_lllPT8_llli,"axG",@progbits,_ZL30rocblas_trmm_outofplace_kernelIdLi32ELi2ELb0ELb1ELb0ELb0EdKddEv17rocblas_diagonal_iiT6_lPT7_lllS4_lllPT8_llli,comdat
.Lfunc_end51:
	.size	_ZL30rocblas_trmm_outofplace_kernelIdLi32ELi2ELb0ELb1ELb0ELb0EdKddEv17rocblas_diagonal_iiT6_lPT7_lllS4_lllPT8_llli, .Lfunc_end51-_ZL30rocblas_trmm_outofplace_kernelIdLi32ELi2ELb0ELb1ELb0ELb0EdKddEv17rocblas_diagonal_iiT6_lPT7_lllS4_lllPT8_llli
                                        ; -- End function
	.set _ZL30rocblas_trmm_outofplace_kernelIdLi32ELi2ELb0ELb1ELb0ELb0EdKddEv17rocblas_diagonal_iiT6_lPT7_lllS4_lllPT8_llli.num_vgpr, 74
	.set _ZL30rocblas_trmm_outofplace_kernelIdLi32ELi2ELb0ELb1ELb0ELb0EdKddEv17rocblas_diagonal_iiT6_lPT7_lllS4_lllPT8_llli.num_agpr, 0
	.set _ZL30rocblas_trmm_outofplace_kernelIdLi32ELi2ELb0ELb1ELb0ELb0EdKddEv17rocblas_diagonal_iiT6_lPT7_lllS4_lllPT8_llli.numbered_sgpr, 44
	.set _ZL30rocblas_trmm_outofplace_kernelIdLi32ELi2ELb0ELb1ELb0ELb0EdKddEv17rocblas_diagonal_iiT6_lPT7_lllS4_lllPT8_llli.num_named_barrier, 0
	.set _ZL30rocblas_trmm_outofplace_kernelIdLi32ELi2ELb0ELb1ELb0ELb0EdKddEv17rocblas_diagonal_iiT6_lPT7_lllS4_lllPT8_llli.private_seg_size, 0
	.set _ZL30rocblas_trmm_outofplace_kernelIdLi32ELi2ELb0ELb1ELb0ELb0EdKddEv17rocblas_diagonal_iiT6_lPT7_lllS4_lllPT8_llli.uses_vcc, 1
	.set _ZL30rocblas_trmm_outofplace_kernelIdLi32ELi2ELb0ELb1ELb0ELb0EdKddEv17rocblas_diagonal_iiT6_lPT7_lllS4_lllPT8_llli.uses_flat_scratch, 0
	.set _ZL30rocblas_trmm_outofplace_kernelIdLi32ELi2ELb0ELb1ELb0ELb0EdKddEv17rocblas_diagonal_iiT6_lPT7_lllS4_lllPT8_llli.has_dyn_sized_stack, 0
	.set _ZL30rocblas_trmm_outofplace_kernelIdLi32ELi2ELb0ELb1ELb0ELb0EdKddEv17rocblas_diagonal_iiT6_lPT7_lllS4_lllPT8_llli.has_recursion, 0
	.set _ZL30rocblas_trmm_outofplace_kernelIdLi32ELi2ELb0ELb1ELb0ELb0EdKddEv17rocblas_diagonal_iiT6_lPT7_lllS4_lllPT8_llli.has_indirect_call, 0
	.section	.AMDGPU.csdata,"",@progbits
; Kernel info:
; codeLenInByte = 3772
; TotalNumSgprs: 46
; NumVgprs: 74
; ScratchSize: 0
; MemoryBound: 0
; FloatMode: 240
; IeeeMode: 1
; LDSByteSize: 16384 bytes/workgroup (compile time only)
; SGPRBlocks: 0
; VGPRBlocks: 9
; NumSGPRsForWavesPerEU: 46
; NumVGPRsForWavesPerEU: 74
; Occupancy: 12
; WaveLimiterHint : 0
; COMPUTE_PGM_RSRC2:SCRATCH_EN: 0
; COMPUTE_PGM_RSRC2:USER_SGPR: 6
; COMPUTE_PGM_RSRC2:TRAP_HANDLER: 0
; COMPUTE_PGM_RSRC2:TGID_X_EN: 1
; COMPUTE_PGM_RSRC2:TGID_Y_EN: 1
; COMPUTE_PGM_RSRC2:TGID_Z_EN: 1
; COMPUTE_PGM_RSRC2:TIDIG_COMP_CNT: 1
	.section	.text._ZL30rocblas_trmm_outofplace_kernelIdLi32ELi2ELb0ELb0ELb1ELb0EPKdS0_dEv17rocblas_diagonal_iiT6_lPT7_lllS5_lllPT8_llli,"axG",@progbits,_ZL30rocblas_trmm_outofplace_kernelIdLi32ELi2ELb0ELb0ELb1ELb0EPKdS0_dEv17rocblas_diagonal_iiT6_lPT7_lllS5_lllPT8_llli,comdat
	.globl	_ZL30rocblas_trmm_outofplace_kernelIdLi32ELi2ELb0ELb0ELb1ELb0EPKdS0_dEv17rocblas_diagonal_iiT6_lPT7_lllS5_lllPT8_llli ; -- Begin function _ZL30rocblas_trmm_outofplace_kernelIdLi32ELi2ELb0ELb0ELb1ELb0EPKdS0_dEv17rocblas_diagonal_iiT6_lPT7_lllS5_lllPT8_llli
	.p2align	8
	.type	_ZL30rocblas_trmm_outofplace_kernelIdLi32ELi2ELb0ELb0ELb1ELb0EPKdS0_dEv17rocblas_diagonal_iiT6_lPT7_lllS5_lllPT8_llli,@function
_ZL30rocblas_trmm_outofplace_kernelIdLi32ELi2ELb0ELb0ELb1ELb0EPKdS0_dEv17rocblas_diagonal_iiT6_lPT7_lllS5_lllPT8_llli: ; @_ZL30rocblas_trmm_outofplace_kernelIdLi32ELi2ELb0ELb0ELb1ELb0EPKdS0_dEv17rocblas_diagonal_iiT6_lPT7_lllS5_lllPT8_llli
; %bb.0:
	s_load_dwordx16 s[12:27], s[4:5], 0x10
	s_waitcnt lgkmcnt(0)
	s_mul_i32 s0, s15, s8
	s_mul_hi_u32 s1, s14, s8
	s_add_i32 s1, s1, s0
	s_mul_i32 s0, s14, s8
	s_lshl_b64 s[0:1], s[0:1], 3
	s_add_u32 s0, s12, s0
	s_addc_u32 s1, s13, s1
	s_load_dwordx2 s[34:35], s[0:1], 0x0
	s_waitcnt lgkmcnt(0)
	v_cmp_eq_f64_e64 s0, s[34:35], 0
	s_and_b32 vcc_lo, exec_lo, s0
	s_cbranch_vccnz .LBB52_51
; %bb.1:
	s_load_dwordx4 s[12:15], s[4:5], 0x0
	s_waitcnt lgkmcnt(0)
	s_add_i32 s0, s14, -1
	s_ashr_i32 s1, s0, 31
	s_lshr_b32 s1, s1, 27
	s_add_i32 s0, s0, s1
	s_ashr_i32 s11, s0, 5
	s_cmp_gt_i32 s7, s11
	s_cbranch_scc1 .LBB52_51
; %bb.2:
	s_clause 0x1
	s_load_dwordx8 s[36:43], s[4:5], 0x50
	s_load_dwordx4 s[28:31], s[4:5], 0x70
	s_mul_i32 s1, s23, s8
	s_mul_hi_u32 s2, s22, s8
	s_mul_i32 s0, s22, s8
	s_add_i32 s1, s2, s1
	v_mad_u64_u32 v[2:3], null, s20, v0, 0
	s_lshl_b64 s[0:1], s[0:1], 3
	s_load_dword s33, s[4:5], 0x8c
	s_add_u32 s9, s16, s0
	s_addc_u32 s10, s17, s1
	s_lshl_b64 s[2:3], s[18:19], 3
	v_lshl_add_u32 v14, s6, 5, v0
	s_add_u32 s15, s9, s2
	s_addc_u32 s10, s10, s3
	v_mad_u64_u32 v[3:4], null, s21, v0, v[3:4]
	v_ashrrev_i32_e32 v15, 31, v14
	v_lshlrev_b32_e32 v10, 3, v0
	s_waitcnt lgkmcnt(0)
	s_mul_i32 s5, s39, s8
	s_mul_hi_u32 s9, s38, s8
	s_mul_i32 s4, s38, s8
	s_add_i32 s5, s9, s5
	s_mul_i32 s9, s31, s8
	s_lshl_b64 s[4:5], s[4:5], 3
	s_mul_hi_u32 s18, s30, s8
	s_add_u32 s19, s24, s4
	s_addc_u32 s22, s25, s5
	s_lshl_b64 s[4:5], s[26:27], 3
	s_mul_i32 s8, s30, s8
	s_add_u32 s19, s19, s4
	s_addc_u32 s22, s22, s5
	s_add_i32 s9, s18, s9
	v_mad_u64_u32 v[16:17], null, s36, v1, 0
	v_lshlrev_b64 v[6:7], 3, v[2:3]
	s_lshl_b64 s[4:5], s[8:9], 3
	v_lshlrev_b64 v[4:5], 3, v[14:15]
	s_add_u32 s6, s40, s4
	s_addc_u32 s8, s41, s5
	s_lshl_b64 s[4:5], s[42:43], 3
	v_add_co_u32 v6, vcc_lo, s15, v6
	s_add_u32 s26, s6, s4
	s_addc_u32 s27, s8, s5
	v_mov_b32_e32 v3, v17
	v_add_co_ci_u32_e64 v7, null, s10, v7, vcc_lo
	s_cmpk_eq_i32 s12, 0x84
	v_add_co_u32 v8, vcc_lo, s19, v4
	v_add_co_ci_u32_e64 v9, null, s22, v5, vcc_lo
	s_cselect_b32 s30, -1, 0
	s_ashr_i32 s15, s14, 31
	s_ashr_i32 s4, s13, 31
	s_lshl_b64 s[18:19], s[20:21], 8
	s_lshl_b64 s[22:23], s[36:37], 8
	s_add_u32 s24, s14, -16
	s_addc_u32 s25, s15, -1
	s_lshl_b32 s31, s33, 5
	v_mad_u64_u32 v[21:22], null, s37, v1, v[3:4]
	v_lshlrev_b32_e32 v49, 8, v1
	v_add_nc_u32_e32 v22, 0x80, v10
	s_add_u32 s2, s16, s2
	s_addc_u32 s3, s17, s3
	v_lshl_add_u32 v23, v1, 3, 0x80
	s_add_u32 s0, s2, s0
	s_addc_u32 s1, s3, s1
	v_add_nc_u32_e32 v50, v49, v10
	v_or_b32_e32 v51, 0x2000, v10
	v_mad_u64_u32 v[10:11], null, s20, v22, s[0:1]
	v_mad_u64_u32 v[12:13], null, s36, v23, 0
	v_sub_co_u32 v18, vcc_lo, s13, v14
	v_mov_b32_e32 v17, v21
	v_sub_co_ci_u32_e64 v19, null, s4, v15, vcc_lo
	v_mov_b32_e32 v3, v11
	v_mov_b32_e32 v11, v13
	v_add_nc_u32_e32 v20, 16, v14
	v_cmp_gt_i32_e64 s1, s13, v14
	v_lshlrev_b64 v[14:15], 3, v[16:17]
	v_mad_u64_u32 v[16:17], null, s21, v22, v[3:4]
	v_cmp_gt_i64_e32 vcc_lo, 1, v[18:19]
	v_cmp_gt_i64_e64 s0, 17, v[18:19]
	v_mad_u64_u32 v[17:18], null, s37, v23, v[11:12]
	v_ashrrev_i32_e32 v21, 31, v20
	v_sub_co_u32 v53, s3, 0, v0
	v_sub_co_ci_u32_e64 v54, null, 0, 0, s3
	v_add_co_u32 v55, s3, 0x80, v14
	v_add_co_ci_u32_e64 v56, null, 0, v15, s3
	v_mov_b32_e32 v11, v16
	v_lshlrev_b64 v[15:16], 3, v[20:21]
	v_mov_b32_e32 v2, 0
	v_add_nc_u32_e32 v52, v51, v49
	v_cmp_gt_i32_e64 s2, s13, v20
	v_lshl_add_u32 v13, s7, 5, v1
	v_mov_b32_e32 v57, v17
	v_mov_b32_e32 v58, 0x3ff00000
	s_branch .LBB52_4
.LBB52_3:                               ;   in Loop: Header=BB52_4 Depth=1
	s_or_b32 exec_lo, exec_lo, s4
	v_add_nc_u32_e32 v13, s31, v13
	s_add_i32 s7, s33, s7
	s_cmp_le_i32 s7, s11
	s_cbranch_scc0 .LBB52_51
.LBB52_4:                               ; =>This Loop Header: Depth=1
                                        ;     Child Loop BB52_7 Depth 2
	s_lshl_b32 s16, s7, 5
	v_mov_b32_e32 v41, 0
	v_add_nc_u32_e32 v17, s16, v1
	v_mov_b32_e32 v39, 0
	v_mov_b32_e32 v37, 0
	;; [unrolled: 1-line block ×7, first 2 shown]
	v_ashrrev_i32_e32 v18, 31, v17
	s_cmp_lt_i32 s7, 0
	s_cbranch_scc1 .LBB52_43
; %bb.5:                                ;   in Loop: Header=BB52_4 Depth=1
	v_ashrrev_i32_e32 v14, 31, v13
	v_add_co_u32 v19, s3, v17, 16
	v_add_co_ci_u32_e64 v20, null, 0, v18, s3
	v_add_co_u32 v21, s3, v53, v13
	v_add_co_ci_u32_e64 v22, null, v54, v14, s3
	v_lshlrev_b64 v[23:24], 3, v[13:14]
	v_add_co_u32 v25, s5, v21, 16
	v_add_co_ci_u32_e64 v26, null, 0, v22, s5
	v_add_co_u32 v27, s5, v21, -16
	v_cmp_le_i64_e64 s4, s[14:15], v[19:20]
	v_mov_b32_e32 v35, 0
	v_mov_b32_e32 v30, v7
	v_mov_b32_e32 v32, v11
	v_mov_b32_e32 v37, 0
	v_mov_b32_e32 v39, 0
	v_mov_b32_e32 v41, 0
	v_mov_b32_e32 v34, v9
	v_cmp_le_i32_e64 s3, s14, v17
	v_add_co_ci_u32_e64 v28, null, -1, v22, s5
	v_mov_b32_e32 v36, 0
	v_mov_b32_e32 v29, v6
	;; [unrolled: 1-line block ×7, first 2 shown]
	s_mov_b64 s[12:13], 0
	s_branch .LBB52_7
.LBB52_6:                               ;   in Loop: Header=BB52_7 Depth=2
	s_or_b32 exec_lo, exec_lo, s5
	s_waitcnt lgkmcnt(0)
	s_barrier
	buffer_gl0_inv
	ds_read_b128 v[43:46], v49
	ds_read2_b64 v[59:62], v51 offset1:16
	ds_read_b128 v[63:66], v49 offset:4096
	ds_read_b128 v[67:70], v49 offset:16
	ds_read2_b64 v[71:74], v51 offset0:32 offset1:48
	ds_read_b128 v[75:78], v49 offset:4112
	v_add_nc_u32_e32 v3, 0x800, v51
	v_add_co_u32 v33, s5, v33, s22
	v_add_co_ci_u32_e64 v34, null, s23, v34, s5
	v_add_co_u32 v31, s5, v31, s18
	v_add_co_ci_u32_e64 v32, null, s19, v32, s5
	v_add_co_u32 v29, s5, v29, s18
	s_add_u32 s12, s12, 32
	v_add_co_ci_u32_e64 v30, null, s19, v30, s5
	s_addc_u32 s13, s13, 0
	s_waitcnt lgkmcnt(4)
	v_fma_f64 v[41:42], v[59:60], v[43:44], v[41:42]
	v_fma_f64 v[39:40], v[61:62], v[43:44], v[39:40]
	s_waitcnt lgkmcnt(3)
	v_fma_f64 v[43:44], v[59:60], v[63:64], v[37:38]
	v_fma_f64 v[47:48], v[61:62], v[63:64], v[35:36]
	ds_read2_b64 v[35:38], v51 offset0:64 offset1:80
	s_sub_i32 s6, s12, 32
	s_cmp_ge_i32 s6, s16
	s_waitcnt lgkmcnt(2)
	v_fma_f64 v[59:60], v[71:72], v[45:46], v[41:42]
	v_fma_f64 v[45:46], v[73:74], v[45:46], v[39:40]
	;; [unrolled: 1-line block ×4, first 2 shown]
	ds_read2_b64 v[39:42], v51 offset0:96 offset1:112
	s_waitcnt lgkmcnt(1)
	v_fma_f64 v[59:60], v[35:36], v[67:68], v[59:60]
	v_fma_f64 v[61:62], v[37:38], v[67:68], v[45:46]
	;; [unrolled: 1-line block ×4, first 2 shown]
	ds_read_b128 v[35:38], v49 offset:32
	ds_read2_b64 v[43:46], v51 offset0:128 offset1:144
	s_waitcnt lgkmcnt(2)
	v_fma_f64 v[71:72], v[39:40], v[69:70], v[59:60]
	v_fma_f64 v[73:74], v[41:42], v[69:70], v[61:62]
	;; [unrolled: 1-line block ×4, first 2 shown]
	ds_read_b128 v[39:42], v49 offset:4128
	ds_read_b128 v[59:62], v49 offset:48
	ds_read2_b64 v[63:66], v51 offset0:160 offset1:176
	ds_read_b128 v[67:70], v49 offset:4144
	s_waitcnt lgkmcnt(4)
	v_fma_f64 v[71:72], v[43:44], v[35:36], v[71:72]
	v_fma_f64 v[35:36], v[45:46], v[35:36], v[73:74]
	s_waitcnt lgkmcnt(3)
	v_fma_f64 v[73:74], v[43:44], v[39:40], v[75:76]
	v_fma_f64 v[39:40], v[45:46], v[39:40], v[47:48]
	ds_read2_b64 v[43:46], v51 offset0:192 offset1:208
	s_waitcnt lgkmcnt(2)
	v_fma_f64 v[47:48], v[63:64], v[37:38], v[71:72]
	v_fma_f64 v[71:72], v[65:66], v[37:38], v[35:36]
	;; [unrolled: 1-line block ×4, first 2 shown]
	ds_read2_b64 v[35:38], v51 offset0:224 offset1:240
	s_waitcnt lgkmcnt(1)
	v_fma_f64 v[47:48], v[43:44], v[59:60], v[47:48]
	v_fma_f64 v[59:60], v[45:46], v[59:60], v[71:72]
	;; [unrolled: 1-line block ×4, first 2 shown]
	ds_read_b128 v[39:42], v49 offset:64
	ds_read2_b64 v[43:46], v3 offset1:16
	s_waitcnt lgkmcnt(2)
	v_fma_f64 v[47:48], v[35:36], v[61:62], v[47:48]
	v_fma_f64 v[71:72], v[37:38], v[61:62], v[59:60]
	;; [unrolled: 1-line block ×4, first 2 shown]
	ds_read_b128 v[35:38], v49 offset:4160
	ds_read_b128 v[59:62], v49 offset:80
	;; [unrolled: 1-line block ×3, first 2 shown]
	ds_read2_b64 v[67:70], v3 offset0:32 offset1:48
	s_waitcnt lgkmcnt(4)
	v_fma_f64 v[47:48], v[43:44], v[39:40], v[47:48]
	v_fma_f64 v[39:40], v[45:46], v[39:40], v[71:72]
	s_waitcnt lgkmcnt(3)
	v_fma_f64 v[71:72], v[43:44], v[35:36], v[73:74]
	v_fma_f64 v[35:36], v[45:46], v[35:36], v[75:76]
	ds_read2_b64 v[43:46], v3 offset0:64 offset1:80
	s_waitcnt lgkmcnt(1)
	v_fma_f64 v[47:48], v[67:68], v[41:42], v[47:48]
	v_fma_f64 v[39:40], v[69:70], v[41:42], v[39:40]
	;; [unrolled: 1-line block ×4, first 2 shown]
	ds_read2_b64 v[35:38], v3 offset0:96 offset1:112
	s_waitcnt lgkmcnt(1)
	v_fma_f64 v[47:48], v[43:44], v[59:60], v[47:48]
	v_fma_f64 v[59:60], v[45:46], v[59:60], v[39:40]
	;; [unrolled: 1-line block ×4, first 2 shown]
	ds_read_b128 v[39:42], v49 offset:96
	ds_read2_b64 v[43:46], v3 offset0:128 offset1:144
	s_waitcnt lgkmcnt(2)
	v_fma_f64 v[47:48], v[35:36], v[61:62], v[47:48]
	v_fma_f64 v[71:72], v[37:38], v[61:62], v[59:60]
	v_fma_f64 v[73:74], v[35:36], v[65:66], v[69:70]
	v_fma_f64 v[75:76], v[37:38], v[65:66], v[63:64]
	ds_read_b128 v[35:38], v49 offset:4192
	ds_read_b128 v[59:62], v49 offset:112
	;; [unrolled: 1-line block ×3, first 2 shown]
	ds_read2_b64 v[67:70], v3 offset0:160 offset1:176
	s_waitcnt lgkmcnt(4)
	v_fma_f64 v[47:48], v[43:44], v[39:40], v[47:48]
	v_fma_f64 v[39:40], v[45:46], v[39:40], v[71:72]
	s_waitcnt lgkmcnt(3)
	v_fma_f64 v[71:72], v[43:44], v[35:36], v[73:74]
	v_fma_f64 v[35:36], v[45:46], v[35:36], v[75:76]
	ds_read2_b64 v[43:46], v3 offset0:192 offset1:208
	s_waitcnt lgkmcnt(1)
	v_fma_f64 v[47:48], v[67:68], v[41:42], v[47:48]
	v_fma_f64 v[39:40], v[69:70], v[41:42], v[39:40]
	;; [unrolled: 1-line block ×4, first 2 shown]
	ds_read2_b64 v[35:38], v3 offset0:224 offset1:240
	v_add_nc_u32_e32 v3, 0x1000, v51
	s_waitcnt lgkmcnt(1)
	v_fma_f64 v[47:48], v[43:44], v[59:60], v[47:48]
	v_fma_f64 v[59:60], v[45:46], v[59:60], v[39:40]
	;; [unrolled: 1-line block ×4, first 2 shown]
	ds_read_b128 v[39:42], v49 offset:128
	ds_read2_b64 v[43:46], v3 offset1:16
	s_waitcnt lgkmcnt(2)
	v_fma_f64 v[47:48], v[35:36], v[61:62], v[47:48]
	v_fma_f64 v[71:72], v[37:38], v[61:62], v[59:60]
	;; [unrolled: 1-line block ×4, first 2 shown]
	ds_read_b128 v[35:38], v49 offset:4224
	ds_read_b128 v[59:62], v49 offset:144
	;; [unrolled: 1-line block ×3, first 2 shown]
	ds_read2_b64 v[67:70], v3 offset0:32 offset1:48
	s_waitcnt lgkmcnt(4)
	v_fma_f64 v[47:48], v[43:44], v[39:40], v[47:48]
	v_fma_f64 v[39:40], v[45:46], v[39:40], v[71:72]
	s_waitcnt lgkmcnt(3)
	v_fma_f64 v[71:72], v[43:44], v[35:36], v[73:74]
	v_fma_f64 v[35:36], v[45:46], v[35:36], v[75:76]
	ds_read2_b64 v[43:46], v3 offset0:64 offset1:80
	s_waitcnt lgkmcnt(1)
	v_fma_f64 v[47:48], v[67:68], v[41:42], v[47:48]
	v_fma_f64 v[39:40], v[69:70], v[41:42], v[39:40]
	v_fma_f64 v[41:42], v[67:68], v[37:38], v[71:72]
	v_fma_f64 v[67:68], v[69:70], v[37:38], v[35:36]
	ds_read2_b64 v[35:38], v3 offset0:96 offset1:112
	s_waitcnt lgkmcnt(1)
	v_fma_f64 v[47:48], v[43:44], v[59:60], v[47:48]
	v_fma_f64 v[59:60], v[45:46], v[59:60], v[39:40]
	;; [unrolled: 1-line block ×4, first 2 shown]
	ds_read_b128 v[39:42], v49 offset:160
	ds_read2_b64 v[43:46], v3 offset0:128 offset1:144
	s_waitcnt lgkmcnt(2)
	v_fma_f64 v[47:48], v[35:36], v[61:62], v[47:48]
	v_fma_f64 v[71:72], v[37:38], v[61:62], v[59:60]
	;; [unrolled: 1-line block ×4, first 2 shown]
	ds_read_b128 v[35:38], v49 offset:4256
	ds_read_b128 v[59:62], v49 offset:176
	;; [unrolled: 1-line block ×3, first 2 shown]
	ds_read2_b64 v[67:70], v3 offset0:160 offset1:176
	s_waitcnt lgkmcnt(4)
	v_fma_f64 v[47:48], v[43:44], v[39:40], v[47:48]
	v_fma_f64 v[39:40], v[45:46], v[39:40], v[71:72]
	s_waitcnt lgkmcnt(3)
	v_fma_f64 v[71:72], v[43:44], v[35:36], v[73:74]
	v_fma_f64 v[35:36], v[45:46], v[35:36], v[75:76]
	ds_read2_b64 v[43:46], v3 offset0:192 offset1:208
	s_waitcnt lgkmcnt(1)
	v_fma_f64 v[47:48], v[67:68], v[41:42], v[47:48]
	v_fma_f64 v[39:40], v[69:70], v[41:42], v[39:40]
	;; [unrolled: 1-line block ×4, first 2 shown]
	ds_read2_b64 v[35:38], v3 offset0:224 offset1:240
	v_add_nc_u32_e32 v3, 0x1800, v51
	s_waitcnt lgkmcnt(1)
	v_fma_f64 v[47:48], v[43:44], v[59:60], v[47:48]
	v_fma_f64 v[59:60], v[45:46], v[59:60], v[39:40]
	;; [unrolled: 1-line block ×4, first 2 shown]
	ds_read_b128 v[39:42], v49 offset:192
	ds_read2_b64 v[43:46], v3 offset1:16
	s_waitcnt lgkmcnt(2)
	v_fma_f64 v[47:48], v[35:36], v[61:62], v[47:48]
	v_fma_f64 v[71:72], v[37:38], v[61:62], v[59:60]
	;; [unrolled: 1-line block ×4, first 2 shown]
	ds_read_b128 v[35:38], v49 offset:4288
	ds_read_b128 v[59:62], v49 offset:208
	;; [unrolled: 1-line block ×3, first 2 shown]
	ds_read2_b64 v[67:70], v3 offset0:32 offset1:48
	s_waitcnt lgkmcnt(4)
	v_fma_f64 v[47:48], v[43:44], v[39:40], v[47:48]
	v_fma_f64 v[39:40], v[45:46], v[39:40], v[71:72]
	s_waitcnt lgkmcnt(3)
	v_fma_f64 v[71:72], v[43:44], v[35:36], v[73:74]
	v_fma_f64 v[35:36], v[45:46], v[35:36], v[75:76]
	ds_read2_b64 v[43:46], v3 offset0:64 offset1:80
	s_waitcnt lgkmcnt(1)
	v_fma_f64 v[47:48], v[67:68], v[41:42], v[47:48]
	v_fma_f64 v[39:40], v[69:70], v[41:42], v[39:40]
	;; [unrolled: 1-line block ×4, first 2 shown]
	ds_read2_b64 v[35:38], v3 offset0:96 offset1:112
	s_waitcnt lgkmcnt(1)
	v_fma_f64 v[47:48], v[43:44], v[59:60], v[47:48]
	v_fma_f64 v[59:60], v[45:46], v[59:60], v[39:40]
	;; [unrolled: 1-line block ×4, first 2 shown]
	ds_read_b128 v[39:42], v49 offset:224
	ds_read2_b64 v[43:46], v3 offset0:128 offset1:144
	s_waitcnt lgkmcnt(2)
	v_fma_f64 v[47:48], v[35:36], v[61:62], v[47:48]
	v_fma_f64 v[71:72], v[37:38], v[61:62], v[59:60]
	;; [unrolled: 1-line block ×4, first 2 shown]
	ds_read_b128 v[35:38], v49 offset:4320
	ds_read_b128 v[59:62], v49 offset:240
	;; [unrolled: 1-line block ×3, first 2 shown]
	ds_read2_b64 v[67:70], v3 offset0:160 offset1:176
	s_waitcnt lgkmcnt(4)
	v_fma_f64 v[47:48], v[43:44], v[39:40], v[47:48]
	v_fma_f64 v[39:40], v[45:46], v[39:40], v[71:72]
	s_waitcnt lgkmcnt(3)
	v_fma_f64 v[71:72], v[43:44], v[35:36], v[73:74]
	v_fma_f64 v[35:36], v[45:46], v[35:36], v[75:76]
	ds_read2_b64 v[43:46], v3 offset0:192 offset1:208
	s_waitcnt lgkmcnt(1)
	v_fma_f64 v[47:48], v[67:68], v[41:42], v[47:48]
	v_fma_f64 v[39:40], v[69:70], v[41:42], v[39:40]
	;; [unrolled: 1-line block ×4, first 2 shown]
	ds_read2_b64 v[67:70], v3 offset0:224 offset1:240
	s_waitcnt lgkmcnt(0)
	s_barrier
	buffer_gl0_inv
	v_fma_f64 v[37:38], v[43:44], v[59:60], v[47:48]
	v_fma_f64 v[39:40], v[45:46], v[59:60], v[39:40]
	;; [unrolled: 1-line block ×8, first 2 shown]
	s_cbranch_scc1 .LBB52_43
.LBB52_7:                               ;   Parent Loop BB52_4 Depth=1
                                        ; =>  This Inner Loop Header: Depth=2
	v_add_co_u32 v43, s5, v0, s12
	v_add_co_ci_u32_e64 v44, null, 0, s13, s5
	v_cmp_eq_u64_e64 s8, s[12:13], v[21:22]
                                        ; implicit-def: $vgpr47_vgpr48
	v_cmp_gt_i64_e64 s5, v[43:44], v[17:18]
	v_cmp_le_i64_e64 s6, s[14:15], v[43:44]
	s_and_b32 s17, s30, s8
	v_add_co_u32 v45, s8, v29, v23
	s_or_b32 s9, s3, s5
	v_add_co_ci_u32_e64 v46, null, v30, v24, s8
	s_or_b32 s8, s9, s17
	s_nor_b32 s8, s6, s8
	s_and_saveexec_b32 s9, s8
	s_xor_b32 s8, exec_lo, s9
	s_cbranch_execz .LBB52_9
; %bb.8:                                ;   in Loop: Header=BB52_7 Depth=2
	global_load_dwordx2 v[47:48], v[45:46], off
.LBB52_9:                               ;   in Loop: Header=BB52_7 Depth=2
	s_andn2_saveexec_b32 s8, s8
	s_cbranch_execz .LBB52_11
; %bb.10:                               ;   in Loop: Header=BB52_7 Depth=2
	v_cndmask_b32_e64 v3, 0, 0x3ff00000, s17
	s_waitcnt vmcnt(0)
	v_mov_b32_e32 v48, v3
	v_mov_b32_e32 v47, v2
.LBB52_11:                              ;   in Loop: Header=BB52_7 Depth=2
	s_or_b32 exec_lo, exec_lo, s8
	v_add_co_u32 v59, s8, v43, 16
	v_add_co_ci_u32_e64 v60, null, 0, v44, s8
	v_cmp_eq_u64_e64 s9, s[12:13], v[27:28]
	s_waitcnt vmcnt(0)
	ds_write_b64 v50, v[47:48]
	v_cmp_gt_i64_e64 s10, v[59:60], v[17:18]
	v_cmp_le_i64_e64 s8, s[14:15], v[59:60]
	s_and_b32 s20, s30, s9
	s_or_b32 s9, s3, s10
	s_or_b32 s9, s9, s20
	s_nor_b32 s9, s8, s9
	s_and_saveexec_b32 s10, s9
	s_xor_b32 s10, exec_lo, s10
	s_cbranch_execz .LBB52_13
; %bb.12:                               ;   in Loop: Header=BB52_7 Depth=2
	v_add_co_u32 v47, s9, v31, v23
	v_add_co_ci_u32_e64 v48, null, v32, v24, s9
	global_load_dwordx2 v[47:48], v[47:48], off
	s_waitcnt vmcnt(0)
	ds_write_b64 v50, v[47:48] offset:128
.LBB52_13:                              ;   in Loop: Header=BB52_7 Depth=2
	s_andn2_saveexec_b32 s9, s10
	s_cbranch_execz .LBB52_19
; %bb.14:                               ;   in Loop: Header=BB52_7 Depth=2
	s_xor_b32 s10, s20, -1
	s_and_saveexec_b32 s20, s10
	s_xor_b32 s10, exec_lo, s20
; %bb.15:                               ;   in Loop: Header=BB52_7 Depth=2
	v_mov_b32_e32 v3, v2
	ds_write_b64 v50, v[2:3] offset:128
; %bb.16:                               ;   in Loop: Header=BB52_7 Depth=2
	s_andn2_saveexec_b32 s10, s10
; %bb.17:                               ;   in Loop: Header=BB52_7 Depth=2
	v_mov_b32_e32 v3, v58
	ds_write_b64 v50, v[2:3] offset:128
; %bb.18:                               ;   in Loop: Header=BB52_7 Depth=2
	s_or_b32 exec_lo, exec_lo, s10
.LBB52_19:                              ;   in Loop: Header=BB52_7 Depth=2
	s_or_b32 exec_lo, exec_lo, s9
	v_cmp_eq_u64_e64 s9, s[12:13], v[25:26]
	v_cmp_gt_i64_e64 s10, v[43:44], v[19:20]
                                        ; implicit-def: $vgpr43_vgpr44
	s_and_b32 s9, s30, s9
	s_or_b32 s10, s4, s10
	s_or_b32 s10, s10, s9
	s_nor_b32 s6, s6, s10
	s_and_saveexec_b32 s10, s6
	s_xor_b32 s6, exec_lo, s10
	s_cbranch_execz .LBB52_21
; %bb.20:                               ;   in Loop: Header=BB52_7 Depth=2
	global_load_dwordx2 v[43:44], v[45:46], off offset:128
.LBB52_21:                              ;   in Loop: Header=BB52_7 Depth=2
	s_andn2_saveexec_b32 s6, s6
	s_cbranch_execz .LBB52_23
; %bb.22:                               ;   in Loop: Header=BB52_7 Depth=2
	v_cndmask_b32_e64 v3, 0, 0x3ff00000, s9
	s_waitcnt vmcnt(0)
	v_mov_b32_e32 v44, v3
	v_mov_b32_e32 v43, v2
.LBB52_23:                              ;   in Loop: Header=BB52_7 Depth=2
	s_or_b32 exec_lo, exec_lo, s6
	s_or_b32 s5, s4, s5
	s_waitcnt vmcnt(0)
	ds_write_b64 v50, v[43:44] offset:4096
	s_or_b32 s5, s5, s17
	s_nor_b32 s5, s8, s5
	s_and_saveexec_b32 s6, s5
	s_xor_b32 s6, exec_lo, s6
	s_cbranch_execz .LBB52_25
; %bb.24:                               ;   in Loop: Header=BB52_7 Depth=2
	v_add_co_u32 v43, s5, v31, v23
	v_add_co_ci_u32_e64 v44, null, v32, v24, s5
	global_load_dwordx2 v[43:44], v[43:44], off offset:128
	s_waitcnt vmcnt(0)
	ds_write_b64 v50, v[43:44] offset:4224
.LBB52_25:                              ;   in Loop: Header=BB52_7 Depth=2
	s_andn2_saveexec_b32 s5, s6
	s_cbranch_execz .LBB52_31
; %bb.26:                               ;   in Loop: Header=BB52_7 Depth=2
	s_xor_b32 s6, s17, -1
	s_and_saveexec_b32 s8, s6
	s_xor_b32 s6, exec_lo, s8
; %bb.27:                               ;   in Loop: Header=BB52_7 Depth=2
	v_mov_b32_e32 v3, v2
	ds_write_b64 v50, v[2:3] offset:4224
; %bb.28:                               ;   in Loop: Header=BB52_7 Depth=2
	s_andn2_saveexec_b32 s6, s6
; %bb.29:                               ;   in Loop: Header=BB52_7 Depth=2
	v_mov_b32_e32 v3, v58
	ds_write_b64 v50, v[2:3] offset:4224
; %bb.30:                               ;   in Loop: Header=BB52_7 Depth=2
	s_or_b32 exec_lo, exec_lo, s6
.LBB52_31:                              ;   in Loop: Header=BB52_7 Depth=2
	s_or_b32 exec_lo, exec_lo, s5
	v_add_co_u32 v43, s5, v1, s12
	v_add_co_ci_u32_e64 v44, null, 0, s13, s5
	v_add_co_u32 v45, s6, v33, v55
	v_mov_b32_e32 v47, 0
	v_cmp_le_i64_e64 s5, s[14:15], v[43:44]
	v_mov_b32_e32 v48, 0
	v_add_co_ci_u32_e64 v46, null, v34, v56, s6
	s_nor_b32 s8, s5, vcc_lo
	s_and_saveexec_b32 s6, s8
	s_cbranch_execz .LBB52_33
; %bb.32:                               ;   in Loop: Header=BB52_7 Depth=2
	global_load_dwordx2 v[47:48], v[45:46], off offset:-128
.LBB52_33:                              ;   in Loop: Header=BB52_7 Depth=2
	s_or_b32 exec_lo, exec_lo, s6
	s_nor_b32 s5, s5, s0
	s_waitcnt vmcnt(0)
	ds_write_b64 v52, v[47:48]
	s_and_saveexec_b32 s6, s5
	s_xor_b32 s5, exec_lo, s6
	s_cbranch_execz .LBB52_35
; %bb.34:                               ;   in Loop: Header=BB52_7 Depth=2
	global_load_dwordx2 v[45:46], v[45:46], off
	s_waitcnt vmcnt(0)
	ds_write_b64 v52, v[45:46] offset:128
.LBB52_35:                              ;   in Loop: Header=BB52_7 Depth=2
	s_andn2_saveexec_b32 s5, s5
; %bb.36:                               ;   in Loop: Header=BB52_7 Depth=2
	v_mov_b32_e32 v3, v2
	ds_write_b64 v52, v[2:3] offset:128
; %bb.37:                               ;   in Loop: Header=BB52_7 Depth=2
	s_or_b32 exec_lo, exec_lo, s5
	v_cmp_le_i64_e64 s5, s[24:25], v[43:44]
	v_add_co_u32 v43, s6, v33, v12
	v_mov_b32_e32 v45, 0
	v_mov_b32_e32 v46, 0
	v_add_co_ci_u32_e64 v44, null, v34, v57, s6
	s_nor_b32 s8, s5, vcc_lo
	s_and_saveexec_b32 s6, s8
	s_cbranch_execz .LBB52_39
; %bb.38:                               ;   in Loop: Header=BB52_7 Depth=2
	global_load_dwordx2 v[45:46], v[43:44], off
.LBB52_39:                              ;   in Loop: Header=BB52_7 Depth=2
	s_or_b32 exec_lo, exec_lo, s6
	s_nor_b32 s5, s5, s0
	s_waitcnt vmcnt(0)
	ds_write_b64 v52, v[45:46] offset:4096
	s_and_saveexec_b32 s6, s5
	s_xor_b32 s5, exec_lo, s6
	s_cbranch_execz .LBB52_41
; %bb.40:                               ;   in Loop: Header=BB52_7 Depth=2
	global_load_dwordx2 v[43:44], v[43:44], off offset:128
	s_waitcnt vmcnt(0)
	ds_write_b64 v52, v[43:44] offset:4224
.LBB52_41:                              ;   in Loop: Header=BB52_7 Depth=2
	s_andn2_saveexec_b32 s5, s5
	s_cbranch_execz .LBB52_6
; %bb.42:                               ;   in Loop: Header=BB52_7 Depth=2
	v_mov_b32_e32 v3, v2
	ds_write_b64 v52, v[2:3] offset:4224
	s_branch .LBB52_6
.LBB52_43:                              ;   in Loop: Header=BB52_4 Depth=1
	v_mul_lo_u32 v3, s29, v17
	v_mul_lo_u32 v14, s28, v18
	v_mad_u64_u32 v[18:19], null, s28, v17, 0
	v_cmp_gt_i32_e64 s3, s14, v17
	v_add3_u32 v19, v19, v14, v3
	v_lshlrev_b64 v[18:19], 3, v[18:19]
	v_add_co_u32 v3, s4, s26, v18
	v_add_co_ci_u32_e64 v14, null, s27, v19, s4
	s_and_b32 s4, s1, s3
	s_and_saveexec_b32 s5, s4
	s_cbranch_execz .LBB52_45
; %bb.44:                               ;   in Loop: Header=BB52_4 Depth=1
	v_add_co_u32 v18, s4, v3, v4
	v_add_co_ci_u32_e64 v19, null, v14, v5, s4
	global_load_dwordx2 v[20:21], v[18:19], off
	s_waitcnt vmcnt(0)
	v_fma_f64 v[20:21], s[34:35], v[41:42], v[20:21]
	global_store_dwordx2 v[18:19], v[20:21], off
.LBB52_45:                              ;   in Loop: Header=BB52_4 Depth=1
	s_or_b32 exec_lo, exec_lo, s5
	s_and_b32 s3, s2, s3
	s_and_saveexec_b32 s4, s3
	s_cbranch_execz .LBB52_47
; %bb.46:                               ;   in Loop: Header=BB52_4 Depth=1
	v_add_co_u32 v18, s3, v3, v15
	v_add_co_ci_u32_e64 v19, null, v14, v16, s3
	global_load_dwordx2 v[20:21], v[18:19], off
	s_waitcnt vmcnt(0)
	v_fma_f64 v[20:21], s[34:35], v[39:40], v[20:21]
	global_store_dwordx2 v[18:19], v[20:21], off
.LBB52_47:                              ;   in Loop: Header=BB52_4 Depth=1
	s_or_b32 exec_lo, exec_lo, s4
	v_add_nc_u32_e32 v3, 16, v17
	v_ashrrev_i32_e32 v14, 31, v3
	v_mul_lo_u32 v19, s29, v3
	v_mad_u64_u32 v[17:18], null, s28, v3, 0
	v_cmp_gt_i32_e64 s3, s14, v3
	v_mul_lo_u32 v14, s28, v14
	v_add3_u32 v18, v18, v14, v19
	v_lshlrev_b64 v[17:18], 3, v[17:18]
	v_add_co_u32 v3, s4, s26, v17
	v_add_co_ci_u32_e64 v14, null, s27, v18, s4
	s_and_b32 s4, s1, s3
	s_and_saveexec_b32 s5, s4
	s_cbranch_execz .LBB52_49
; %bb.48:                               ;   in Loop: Header=BB52_4 Depth=1
	v_add_co_u32 v17, s4, v3, v4
	v_add_co_ci_u32_e64 v18, null, v14, v5, s4
	global_load_dwordx2 v[19:20], v[17:18], off
	s_waitcnt vmcnt(0)
	v_fma_f64 v[19:20], s[34:35], v[37:38], v[19:20]
	global_store_dwordx2 v[17:18], v[19:20], off
.LBB52_49:                              ;   in Loop: Header=BB52_4 Depth=1
	s_or_b32 exec_lo, exec_lo, s5
	s_and_b32 s3, s2, s3
	s_and_saveexec_b32 s4, s3
	s_cbranch_execz .LBB52_3
; %bb.50:                               ;   in Loop: Header=BB52_4 Depth=1
	v_add_co_u32 v17, s3, v3, v15
	v_add_co_ci_u32_e64 v18, null, v14, v16, s3
	global_load_dwordx2 v[19:20], v[17:18], off
	s_waitcnt vmcnt(0)
	v_fma_f64 v[19:20], s[34:35], v[35:36], v[19:20]
	global_store_dwordx2 v[17:18], v[19:20], off
	s_branch .LBB52_3
.LBB52_51:
	s_endpgm
	.section	.rodata,"a",@progbits
	.p2align	6, 0x0
	.amdhsa_kernel _ZL30rocblas_trmm_outofplace_kernelIdLi32ELi2ELb0ELb0ELb1ELb0EPKdS0_dEv17rocblas_diagonal_iiT6_lPT7_lllS5_lllPT8_llli
		.amdhsa_group_segment_fixed_size 16384
		.amdhsa_private_segment_fixed_size 0
		.amdhsa_kernarg_size 392
		.amdhsa_user_sgpr_count 6
		.amdhsa_user_sgpr_private_segment_buffer 1
		.amdhsa_user_sgpr_dispatch_ptr 0
		.amdhsa_user_sgpr_queue_ptr 0
		.amdhsa_user_sgpr_kernarg_segment_ptr 1
		.amdhsa_user_sgpr_dispatch_id 0
		.amdhsa_user_sgpr_flat_scratch_init 0
		.amdhsa_user_sgpr_private_segment_size 0
		.amdhsa_wavefront_size32 1
		.amdhsa_uses_dynamic_stack 0
		.amdhsa_system_sgpr_private_segment_wavefront_offset 0
		.amdhsa_system_sgpr_workgroup_id_x 1
		.amdhsa_system_sgpr_workgroup_id_y 1
		.amdhsa_system_sgpr_workgroup_id_z 1
		.amdhsa_system_sgpr_workgroup_info 0
		.amdhsa_system_vgpr_workitem_id 1
		.amdhsa_next_free_vgpr 79
		.amdhsa_next_free_sgpr 44
		.amdhsa_reserve_vcc 1
		.amdhsa_reserve_flat_scratch 0
		.amdhsa_float_round_mode_32 0
		.amdhsa_float_round_mode_16_64 0
		.amdhsa_float_denorm_mode_32 3
		.amdhsa_float_denorm_mode_16_64 3
		.amdhsa_dx10_clamp 1
		.amdhsa_ieee_mode 1
		.amdhsa_fp16_overflow 0
		.amdhsa_workgroup_processor_mode 1
		.amdhsa_memory_ordered 1
		.amdhsa_forward_progress 1
		.amdhsa_shared_vgpr_count 0
		.amdhsa_exception_fp_ieee_invalid_op 0
		.amdhsa_exception_fp_denorm_src 0
		.amdhsa_exception_fp_ieee_div_zero 0
		.amdhsa_exception_fp_ieee_overflow 0
		.amdhsa_exception_fp_ieee_underflow 0
		.amdhsa_exception_fp_ieee_inexact 0
		.amdhsa_exception_int_div_zero 0
	.end_amdhsa_kernel
	.section	.text._ZL30rocblas_trmm_outofplace_kernelIdLi32ELi2ELb0ELb0ELb1ELb0EPKdS0_dEv17rocblas_diagonal_iiT6_lPT7_lllS5_lllPT8_llli,"axG",@progbits,_ZL30rocblas_trmm_outofplace_kernelIdLi32ELi2ELb0ELb0ELb1ELb0EPKdS0_dEv17rocblas_diagonal_iiT6_lPT7_lllS5_lllPT8_llli,comdat
.Lfunc_end52:
	.size	_ZL30rocblas_trmm_outofplace_kernelIdLi32ELi2ELb0ELb0ELb1ELb0EPKdS0_dEv17rocblas_diagonal_iiT6_lPT7_lllS5_lllPT8_llli, .Lfunc_end52-_ZL30rocblas_trmm_outofplace_kernelIdLi32ELi2ELb0ELb0ELb1ELb0EPKdS0_dEv17rocblas_diagonal_iiT6_lPT7_lllS5_lllPT8_llli
                                        ; -- End function
	.set _ZL30rocblas_trmm_outofplace_kernelIdLi32ELi2ELb0ELb0ELb1ELb0EPKdS0_dEv17rocblas_diagonal_iiT6_lPT7_lllS5_lllPT8_llli.num_vgpr, 79
	.set _ZL30rocblas_trmm_outofplace_kernelIdLi32ELi2ELb0ELb0ELb1ELb0EPKdS0_dEv17rocblas_diagonal_iiT6_lPT7_lllS5_lllPT8_llli.num_agpr, 0
	.set _ZL30rocblas_trmm_outofplace_kernelIdLi32ELi2ELb0ELb0ELb1ELb0EPKdS0_dEv17rocblas_diagonal_iiT6_lPT7_lllS5_lllPT8_llli.numbered_sgpr, 44
	.set _ZL30rocblas_trmm_outofplace_kernelIdLi32ELi2ELb0ELb0ELb1ELb0EPKdS0_dEv17rocblas_diagonal_iiT6_lPT7_lllS5_lllPT8_llli.num_named_barrier, 0
	.set _ZL30rocblas_trmm_outofplace_kernelIdLi32ELi2ELb0ELb0ELb1ELb0EPKdS0_dEv17rocblas_diagonal_iiT6_lPT7_lllS5_lllPT8_llli.private_seg_size, 0
	.set _ZL30rocblas_trmm_outofplace_kernelIdLi32ELi2ELb0ELb0ELb1ELb0EPKdS0_dEv17rocblas_diagonal_iiT6_lPT7_lllS5_lllPT8_llli.uses_vcc, 1
	.set _ZL30rocblas_trmm_outofplace_kernelIdLi32ELi2ELb0ELb0ELb1ELb0EPKdS0_dEv17rocblas_diagonal_iiT6_lPT7_lllS5_lllPT8_llli.uses_flat_scratch, 0
	.set _ZL30rocblas_trmm_outofplace_kernelIdLi32ELi2ELb0ELb0ELb1ELb0EPKdS0_dEv17rocblas_diagonal_iiT6_lPT7_lllS5_lllPT8_llli.has_dyn_sized_stack, 0
	.set _ZL30rocblas_trmm_outofplace_kernelIdLi32ELi2ELb0ELb0ELb1ELb0EPKdS0_dEv17rocblas_diagonal_iiT6_lPT7_lllS5_lllPT8_llli.has_recursion, 0
	.set _ZL30rocblas_trmm_outofplace_kernelIdLi32ELi2ELb0ELb0ELb1ELb0EPKdS0_dEv17rocblas_diagonal_iiT6_lPT7_lllS5_lllPT8_llli.has_indirect_call, 0
	.section	.AMDGPU.csdata,"",@progbits
; Kernel info:
; codeLenInByte = 3840
; TotalNumSgprs: 46
; NumVgprs: 79
; ScratchSize: 0
; MemoryBound: 0
; FloatMode: 240
; IeeeMode: 1
; LDSByteSize: 16384 bytes/workgroup (compile time only)
; SGPRBlocks: 0
; VGPRBlocks: 9
; NumSGPRsForWavesPerEU: 46
; NumVGPRsForWavesPerEU: 79
; Occupancy: 12
; WaveLimiterHint : 0
; COMPUTE_PGM_RSRC2:SCRATCH_EN: 0
; COMPUTE_PGM_RSRC2:USER_SGPR: 6
; COMPUTE_PGM_RSRC2:TRAP_HANDLER: 0
; COMPUTE_PGM_RSRC2:TGID_X_EN: 1
; COMPUTE_PGM_RSRC2:TGID_Y_EN: 1
; COMPUTE_PGM_RSRC2:TGID_Z_EN: 1
; COMPUTE_PGM_RSRC2:TIDIG_COMP_CNT: 1
	.section	.text._ZL30rocblas_trmm_outofplace_kernelIdLi32ELi2ELb0ELb0ELb1ELb0EdKddEv17rocblas_diagonal_iiT6_lPT7_lllS4_lllPT8_llli,"axG",@progbits,_ZL30rocblas_trmm_outofplace_kernelIdLi32ELi2ELb0ELb0ELb1ELb0EdKddEv17rocblas_diagonal_iiT6_lPT7_lllS4_lllPT8_llli,comdat
	.globl	_ZL30rocblas_trmm_outofplace_kernelIdLi32ELi2ELb0ELb0ELb1ELb0EdKddEv17rocblas_diagonal_iiT6_lPT7_lllS4_lllPT8_llli ; -- Begin function _ZL30rocblas_trmm_outofplace_kernelIdLi32ELi2ELb0ELb0ELb1ELb0EdKddEv17rocblas_diagonal_iiT6_lPT7_lllS4_lllPT8_llli
	.p2align	8
	.type	_ZL30rocblas_trmm_outofplace_kernelIdLi32ELi2ELb0ELb0ELb1ELb0EdKddEv17rocblas_diagonal_iiT6_lPT7_lllS4_lllPT8_llli,@function
_ZL30rocblas_trmm_outofplace_kernelIdLi32ELi2ELb0ELb0ELb1ELb0EdKddEv17rocblas_diagonal_iiT6_lPT7_lllS4_lllPT8_llli: ; @_ZL30rocblas_trmm_outofplace_kernelIdLi32ELi2ELb0ELb0ELb1ELb0EdKddEv17rocblas_diagonal_iiT6_lPT7_lllS4_lllPT8_llli
; %bb.0:
	s_load_dwordx2 s[34:35], s[4:5], 0x10
	s_waitcnt lgkmcnt(0)
	v_cmp_eq_f64_e64 s0, s[34:35], 0
	s_and_b32 vcc_lo, exec_lo, s0
	s_cbranch_vccnz .LBB53_51
; %bb.1:
	s_load_dwordx4 s[28:31], s[4:5], 0x0
	s_waitcnt lgkmcnt(0)
	s_add_i32 s0, s30, -1
	s_ashr_i32 s1, s0, 31
	s_lshr_b32 s1, s1, 27
	s_add_i32 s0, s0, s1
	s_ashr_i32 s11, s0, 5
	s_cmp_gt_i32 s7, s11
	s_cbranch_scc1 .LBB53_51
; %bb.2:
	s_clause 0x1
	s_load_dwordx16 s[12:27], s[4:5], 0x20
	s_load_dwordx8 s[36:43], s[4:5], 0x60
	v_lshl_add_u32 v14, s6, 5, v0
	v_lshlrev_b32_e32 v10, 3, v0
	v_lshlrev_b32_e32 v49, 8, v1
	v_lshl_add_u32 v23, v1, 3, 0x80
	v_mov_b32_e32 v2, 0
	v_ashrrev_i32_e32 v15, 31, v14
	v_or_b32_e32 v51, 0x2000, v10
	v_add_nc_u32_e32 v50, v49, v10
	v_add_nc_u32_e32 v20, 16, v14
	v_mov_b32_e32 v58, 0x3ff00000
	v_add_nc_u32_e32 v52, v51, v49
	s_waitcnt lgkmcnt(0)
	s_mul_i32 s1, s19, s8
	s_mul_hi_u32 s2, s18, s8
	s_mul_i32 s0, s18, s8
	s_add_i32 s1, s2, s1
	v_mad_u64_u32 v[3:4], null, s16, v0, 0
	s_lshl_b64 s[0:1], s[0:1], 3
	s_mul_i32 s3, s27, s8
	s_add_u32 s10, s12, s0
	s_addc_u32 s18, s13, s1
	s_lshl_b64 s[44:45], s[14:15], 3
	s_mul_hi_u32 s6, s26, s8
	s_add_u32 s10, s10, s44
	s_mul_i32 s2, s26, s8
	s_addc_u32 s14, s18, s45
	s_add_i32 s3, s6, s3
	v_mad_u64_u32 v[4:5], null, s17, v0, v[4:5]
	s_lshl_b64 s[2:3], s[2:3], 3
	s_mul_i32 s9, s43, s8
	s_add_u32 s15, s20, s2
	s_addc_u32 s18, s21, s3
	s_lshl_b64 s[2:3], s[22:23], 3
	s_load_dword s22, s[4:5], 0x8c
	s_mul_hi_u32 s6, s42, s8
	s_add_u32 s15, s15, s2
	s_mul_i32 s8, s42, s8
	s_addc_u32 s18, s18, s3
	s_add_i32 s9, s6, s9
	v_mad_u64_u32 v[16:17], null, s24, v1, 0
	v_lshlrev_b64 v[6:7], 3, v[3:4]
	s_lshl_b64 s[2:3], s[8:9], 3
	v_lshlrev_b64 v[4:5], 3, v[14:15]
	s_add_u32 s4, s36, s2
	s_addc_u32 s5, s37, s3
	s_lshl_b64 s[2:3], s[38:39], 3
	v_add_co_u32 v6, vcc_lo, s10, v6
	s_add_u32 s23, s4, s2
	s_addc_u32 s26, s5, s3
	v_mov_b32_e32 v3, v17
	s_cmpk_eq_i32 s28, 0x84
	v_add_co_ci_u32_e64 v7, null, s14, v7, vcc_lo
	v_add_co_u32 v8, vcc_lo, s15, v4
	v_add_co_ci_u32_e64 v9, null, s18, v5, vcc_lo
	s_cselect_b32 s27, -1, 0
	s_ashr_i32 s31, s30, 31
	s_ashr_i32 s2, s29, 31
	s_lshl_b64 s[14:15], s[16:17], 8
	s_lshl_b64 s[18:19], s[24:25], 8
	v_sub_co_u32 v18, vcc_lo, s29, v14
	s_add_u32 s20, s30, -16
	s_addc_u32 s21, s31, -1
	s_waitcnt lgkmcnt(0)
	s_lshl_b32 s28, s22, 5
	v_mad_u64_u32 v[21:22], null, s25, v1, v[3:4]
	v_sub_co_ci_u32_e64 v19, null, s2, v15, vcc_lo
	v_add_nc_u32_e32 v22, 0x80, v10
	s_add_u32 s2, s12, s44
	s_addc_u32 s3, s13, s45
	s_add_u32 s0, s2, s0
	s_addc_u32 s1, s3, s1
	v_mad_u64_u32 v[12:13], null, s24, v23, 0
	v_mad_u64_u32 v[10:11], null, s16, v22, s[0:1]
	v_mov_b32_e32 v17, v21
	v_cmp_gt_i32_e64 s1, s29, v14
	v_cmp_gt_i64_e32 vcc_lo, 1, v[18:19]
	v_cmp_gt_i64_e64 s0, 17, v[18:19]
	v_ashrrev_i32_e32 v21, 31, v20
	v_lshlrev_b64 v[14:15], 3, v[16:17]
	v_mov_b32_e32 v3, v11
	v_mov_b32_e32 v11, v13
	v_sub_co_u32 v53, s3, 0, v0
	v_sub_co_ci_u32_e64 v54, null, 0, 0, s3
	v_mad_u64_u32 v[16:17], null, s17, v22, v[3:4]
	v_mad_u64_u32 v[17:18], null, s25, v23, v[11:12]
	v_add_co_u32 v55, s3, 0x80, v14
	v_add_co_ci_u32_e64 v56, null, 0, v15, s3
	v_mov_b32_e32 v11, v16
	v_lshlrev_b64 v[15:16], 3, v[20:21]
	v_cmp_gt_i32_e64 s2, s29, v20
	v_lshl_add_u32 v13, s7, 5, v1
	v_mov_b32_e32 v57, v17
	s_branch .LBB53_4
.LBB53_3:                               ;   in Loop: Header=BB53_4 Depth=1
	s_or_b32 exec_lo, exec_lo, s4
	v_add_nc_u32_e32 v13, s28, v13
	s_add_i32 s7, s22, s7
	s_cmp_le_i32 s7, s11
	s_cbranch_scc0 .LBB53_51
.LBB53_4:                               ; =>This Loop Header: Depth=1
                                        ;     Child Loop BB53_7 Depth 2
	s_lshl_b32 s16, s7, 5
	v_mov_b32_e32 v41, 0
	v_add_nc_u32_e32 v17, s16, v1
	v_mov_b32_e32 v39, 0
	v_mov_b32_e32 v37, 0
	;; [unrolled: 1-line block ×7, first 2 shown]
	v_ashrrev_i32_e32 v18, 31, v17
	s_cmp_lt_i32 s7, 0
	s_cbranch_scc1 .LBB53_43
; %bb.5:                                ;   in Loop: Header=BB53_4 Depth=1
	v_ashrrev_i32_e32 v14, 31, v13
	v_add_co_u32 v19, s3, v17, 16
	v_add_co_ci_u32_e64 v20, null, 0, v18, s3
	v_add_co_u32 v21, s3, v53, v13
	v_add_co_ci_u32_e64 v22, null, v54, v14, s3
	v_lshlrev_b64 v[23:24], 3, v[13:14]
	v_add_co_u32 v25, s5, v21, 16
	v_add_co_ci_u32_e64 v26, null, 0, v22, s5
	v_add_co_u32 v27, s5, v21, -16
	v_cmp_le_i64_e64 s4, s[30:31], v[19:20]
	v_mov_b32_e32 v35, 0
	v_mov_b32_e32 v30, v7
	;; [unrolled: 1-line block ×7, first 2 shown]
	v_cmp_le_i32_e64 s3, s30, v17
	v_add_co_ci_u32_e64 v28, null, -1, v22, s5
	v_mov_b32_e32 v36, 0
	v_mov_b32_e32 v29, v6
	v_mov_b32_e32 v31, v10
	v_mov_b32_e32 v38, 0
	v_mov_b32_e32 v40, 0
	v_mov_b32_e32 v42, 0
	v_mov_b32_e32 v33, v8
	s_mov_b64 s[12:13], 0
	s_branch .LBB53_7
.LBB53_6:                               ;   in Loop: Header=BB53_7 Depth=2
	s_or_b32 exec_lo, exec_lo, s5
	s_waitcnt lgkmcnt(0)
	s_barrier
	buffer_gl0_inv
	ds_read_b128 v[43:46], v49
	ds_read2_b64 v[59:62], v51 offset1:16
	ds_read_b128 v[63:66], v49 offset:4096
	ds_read_b128 v[67:70], v49 offset:16
	ds_read2_b64 v[71:74], v51 offset0:32 offset1:48
	ds_read_b128 v[75:78], v49 offset:4112
	v_add_nc_u32_e32 v3, 0x800, v51
	v_add_co_u32 v33, s5, v33, s18
	v_add_co_ci_u32_e64 v34, null, s19, v34, s5
	v_add_co_u32 v31, s5, v31, s14
	v_add_co_ci_u32_e64 v32, null, s15, v32, s5
	v_add_co_u32 v29, s5, v29, s14
	s_add_u32 s12, s12, 32
	v_add_co_ci_u32_e64 v30, null, s15, v30, s5
	s_addc_u32 s13, s13, 0
	s_waitcnt lgkmcnt(4)
	v_fma_f64 v[41:42], v[59:60], v[43:44], v[41:42]
	v_fma_f64 v[39:40], v[61:62], v[43:44], v[39:40]
	s_waitcnt lgkmcnt(3)
	v_fma_f64 v[43:44], v[59:60], v[63:64], v[37:38]
	v_fma_f64 v[47:48], v[61:62], v[63:64], v[35:36]
	ds_read2_b64 v[35:38], v51 offset0:64 offset1:80
	s_sub_i32 s6, s12, 32
	s_cmp_ge_i32 s6, s16
	s_waitcnt lgkmcnt(2)
	v_fma_f64 v[59:60], v[71:72], v[45:46], v[41:42]
	v_fma_f64 v[45:46], v[73:74], v[45:46], v[39:40]
	;; [unrolled: 1-line block ×4, first 2 shown]
	ds_read2_b64 v[39:42], v51 offset0:96 offset1:112
	s_waitcnt lgkmcnt(1)
	v_fma_f64 v[59:60], v[35:36], v[67:68], v[59:60]
	v_fma_f64 v[61:62], v[37:38], v[67:68], v[45:46]
	v_fma_f64 v[63:64], v[35:36], v[75:76], v[43:44]
	v_fma_f64 v[47:48], v[37:38], v[75:76], v[47:48]
	ds_read_b128 v[35:38], v49 offset:32
	ds_read2_b64 v[43:46], v51 offset0:128 offset1:144
	s_waitcnt lgkmcnt(2)
	v_fma_f64 v[71:72], v[39:40], v[69:70], v[59:60]
	v_fma_f64 v[73:74], v[41:42], v[69:70], v[61:62]
	;; [unrolled: 1-line block ×4, first 2 shown]
	ds_read_b128 v[39:42], v49 offset:4128
	ds_read_b128 v[59:62], v49 offset:48
	ds_read2_b64 v[63:66], v51 offset0:160 offset1:176
	ds_read_b128 v[67:70], v49 offset:4144
	s_waitcnt lgkmcnt(4)
	v_fma_f64 v[71:72], v[43:44], v[35:36], v[71:72]
	v_fma_f64 v[35:36], v[45:46], v[35:36], v[73:74]
	s_waitcnt lgkmcnt(3)
	v_fma_f64 v[73:74], v[43:44], v[39:40], v[75:76]
	v_fma_f64 v[39:40], v[45:46], v[39:40], v[47:48]
	ds_read2_b64 v[43:46], v51 offset0:192 offset1:208
	s_waitcnt lgkmcnt(2)
	v_fma_f64 v[47:48], v[63:64], v[37:38], v[71:72]
	v_fma_f64 v[71:72], v[65:66], v[37:38], v[35:36]
	;; [unrolled: 1-line block ×4, first 2 shown]
	ds_read2_b64 v[35:38], v51 offset0:224 offset1:240
	s_waitcnt lgkmcnt(1)
	v_fma_f64 v[47:48], v[43:44], v[59:60], v[47:48]
	v_fma_f64 v[59:60], v[45:46], v[59:60], v[71:72]
	;; [unrolled: 1-line block ×4, first 2 shown]
	ds_read_b128 v[39:42], v49 offset:64
	ds_read2_b64 v[43:46], v3 offset1:16
	s_waitcnt lgkmcnt(2)
	v_fma_f64 v[47:48], v[35:36], v[61:62], v[47:48]
	v_fma_f64 v[71:72], v[37:38], v[61:62], v[59:60]
	;; [unrolled: 1-line block ×4, first 2 shown]
	ds_read_b128 v[35:38], v49 offset:4160
	ds_read_b128 v[59:62], v49 offset:80
	;; [unrolled: 1-line block ×3, first 2 shown]
	ds_read2_b64 v[67:70], v3 offset0:32 offset1:48
	s_waitcnt lgkmcnt(4)
	v_fma_f64 v[47:48], v[43:44], v[39:40], v[47:48]
	v_fma_f64 v[39:40], v[45:46], v[39:40], v[71:72]
	s_waitcnt lgkmcnt(3)
	v_fma_f64 v[71:72], v[43:44], v[35:36], v[73:74]
	v_fma_f64 v[35:36], v[45:46], v[35:36], v[75:76]
	ds_read2_b64 v[43:46], v3 offset0:64 offset1:80
	s_waitcnt lgkmcnt(1)
	v_fma_f64 v[47:48], v[67:68], v[41:42], v[47:48]
	v_fma_f64 v[39:40], v[69:70], v[41:42], v[39:40]
	;; [unrolled: 1-line block ×4, first 2 shown]
	ds_read2_b64 v[35:38], v3 offset0:96 offset1:112
	s_waitcnt lgkmcnt(1)
	v_fma_f64 v[47:48], v[43:44], v[59:60], v[47:48]
	v_fma_f64 v[59:60], v[45:46], v[59:60], v[39:40]
	;; [unrolled: 1-line block ×4, first 2 shown]
	ds_read_b128 v[39:42], v49 offset:96
	ds_read2_b64 v[43:46], v3 offset0:128 offset1:144
	s_waitcnt lgkmcnt(2)
	v_fma_f64 v[47:48], v[35:36], v[61:62], v[47:48]
	v_fma_f64 v[71:72], v[37:38], v[61:62], v[59:60]
	;; [unrolled: 1-line block ×4, first 2 shown]
	ds_read_b128 v[35:38], v49 offset:4192
	ds_read_b128 v[59:62], v49 offset:112
	ds_read_b128 v[63:66], v49 offset:4208
	ds_read2_b64 v[67:70], v3 offset0:160 offset1:176
	s_waitcnt lgkmcnt(4)
	v_fma_f64 v[47:48], v[43:44], v[39:40], v[47:48]
	v_fma_f64 v[39:40], v[45:46], v[39:40], v[71:72]
	s_waitcnt lgkmcnt(3)
	v_fma_f64 v[71:72], v[43:44], v[35:36], v[73:74]
	v_fma_f64 v[35:36], v[45:46], v[35:36], v[75:76]
	ds_read2_b64 v[43:46], v3 offset0:192 offset1:208
	s_waitcnt lgkmcnt(1)
	v_fma_f64 v[47:48], v[67:68], v[41:42], v[47:48]
	v_fma_f64 v[39:40], v[69:70], v[41:42], v[39:40]
	;; [unrolled: 1-line block ×4, first 2 shown]
	ds_read2_b64 v[35:38], v3 offset0:224 offset1:240
	v_add_nc_u32_e32 v3, 0x1000, v51
	s_waitcnt lgkmcnt(1)
	v_fma_f64 v[47:48], v[43:44], v[59:60], v[47:48]
	v_fma_f64 v[59:60], v[45:46], v[59:60], v[39:40]
	v_fma_f64 v[69:70], v[43:44], v[63:64], v[41:42]
	v_fma_f64 v[63:64], v[45:46], v[63:64], v[67:68]
	ds_read_b128 v[39:42], v49 offset:128
	ds_read2_b64 v[43:46], v3 offset1:16
	s_waitcnt lgkmcnt(2)
	v_fma_f64 v[47:48], v[35:36], v[61:62], v[47:48]
	v_fma_f64 v[71:72], v[37:38], v[61:62], v[59:60]
	;; [unrolled: 1-line block ×4, first 2 shown]
	ds_read_b128 v[35:38], v49 offset:4224
	ds_read_b128 v[59:62], v49 offset:144
	;; [unrolled: 1-line block ×3, first 2 shown]
	ds_read2_b64 v[67:70], v3 offset0:32 offset1:48
	s_waitcnt lgkmcnt(4)
	v_fma_f64 v[47:48], v[43:44], v[39:40], v[47:48]
	v_fma_f64 v[39:40], v[45:46], v[39:40], v[71:72]
	s_waitcnt lgkmcnt(3)
	v_fma_f64 v[71:72], v[43:44], v[35:36], v[73:74]
	v_fma_f64 v[35:36], v[45:46], v[35:36], v[75:76]
	ds_read2_b64 v[43:46], v3 offset0:64 offset1:80
	s_waitcnt lgkmcnt(1)
	v_fma_f64 v[47:48], v[67:68], v[41:42], v[47:48]
	v_fma_f64 v[39:40], v[69:70], v[41:42], v[39:40]
	;; [unrolled: 1-line block ×4, first 2 shown]
	ds_read2_b64 v[35:38], v3 offset0:96 offset1:112
	s_waitcnt lgkmcnt(1)
	v_fma_f64 v[47:48], v[43:44], v[59:60], v[47:48]
	v_fma_f64 v[59:60], v[45:46], v[59:60], v[39:40]
	;; [unrolled: 1-line block ×4, first 2 shown]
	ds_read_b128 v[39:42], v49 offset:160
	ds_read2_b64 v[43:46], v3 offset0:128 offset1:144
	s_waitcnt lgkmcnt(2)
	v_fma_f64 v[47:48], v[35:36], v[61:62], v[47:48]
	v_fma_f64 v[71:72], v[37:38], v[61:62], v[59:60]
	;; [unrolled: 1-line block ×4, first 2 shown]
	ds_read_b128 v[35:38], v49 offset:4256
	ds_read_b128 v[59:62], v49 offset:176
	;; [unrolled: 1-line block ×3, first 2 shown]
	ds_read2_b64 v[67:70], v3 offset0:160 offset1:176
	s_waitcnt lgkmcnt(4)
	v_fma_f64 v[47:48], v[43:44], v[39:40], v[47:48]
	v_fma_f64 v[39:40], v[45:46], v[39:40], v[71:72]
	s_waitcnt lgkmcnt(3)
	v_fma_f64 v[71:72], v[43:44], v[35:36], v[73:74]
	v_fma_f64 v[35:36], v[45:46], v[35:36], v[75:76]
	ds_read2_b64 v[43:46], v3 offset0:192 offset1:208
	s_waitcnt lgkmcnt(1)
	v_fma_f64 v[47:48], v[67:68], v[41:42], v[47:48]
	v_fma_f64 v[39:40], v[69:70], v[41:42], v[39:40]
	v_fma_f64 v[41:42], v[67:68], v[37:38], v[71:72]
	v_fma_f64 v[67:68], v[69:70], v[37:38], v[35:36]
	ds_read2_b64 v[35:38], v3 offset0:224 offset1:240
	v_add_nc_u32_e32 v3, 0x1800, v51
	s_waitcnt lgkmcnt(1)
	v_fma_f64 v[47:48], v[43:44], v[59:60], v[47:48]
	v_fma_f64 v[59:60], v[45:46], v[59:60], v[39:40]
	v_fma_f64 v[69:70], v[43:44], v[63:64], v[41:42]
	v_fma_f64 v[63:64], v[45:46], v[63:64], v[67:68]
	ds_read_b128 v[39:42], v49 offset:192
	ds_read2_b64 v[43:46], v3 offset1:16
	s_waitcnt lgkmcnt(2)
	v_fma_f64 v[47:48], v[35:36], v[61:62], v[47:48]
	v_fma_f64 v[71:72], v[37:38], v[61:62], v[59:60]
	;; [unrolled: 1-line block ×4, first 2 shown]
	ds_read_b128 v[35:38], v49 offset:4288
	ds_read_b128 v[59:62], v49 offset:208
	;; [unrolled: 1-line block ×3, first 2 shown]
	ds_read2_b64 v[67:70], v3 offset0:32 offset1:48
	s_waitcnt lgkmcnt(4)
	v_fma_f64 v[47:48], v[43:44], v[39:40], v[47:48]
	v_fma_f64 v[39:40], v[45:46], v[39:40], v[71:72]
	s_waitcnt lgkmcnt(3)
	v_fma_f64 v[71:72], v[43:44], v[35:36], v[73:74]
	v_fma_f64 v[35:36], v[45:46], v[35:36], v[75:76]
	ds_read2_b64 v[43:46], v3 offset0:64 offset1:80
	s_waitcnt lgkmcnt(1)
	v_fma_f64 v[47:48], v[67:68], v[41:42], v[47:48]
	v_fma_f64 v[39:40], v[69:70], v[41:42], v[39:40]
	;; [unrolled: 1-line block ×4, first 2 shown]
	ds_read2_b64 v[35:38], v3 offset0:96 offset1:112
	s_waitcnt lgkmcnt(1)
	v_fma_f64 v[47:48], v[43:44], v[59:60], v[47:48]
	v_fma_f64 v[59:60], v[45:46], v[59:60], v[39:40]
	;; [unrolled: 1-line block ×4, first 2 shown]
	ds_read_b128 v[39:42], v49 offset:224
	ds_read2_b64 v[43:46], v3 offset0:128 offset1:144
	s_waitcnt lgkmcnt(2)
	v_fma_f64 v[47:48], v[35:36], v[61:62], v[47:48]
	v_fma_f64 v[71:72], v[37:38], v[61:62], v[59:60]
	v_fma_f64 v[73:74], v[35:36], v[65:66], v[69:70]
	v_fma_f64 v[75:76], v[37:38], v[65:66], v[63:64]
	ds_read_b128 v[35:38], v49 offset:4320
	ds_read_b128 v[59:62], v49 offset:240
	;; [unrolled: 1-line block ×3, first 2 shown]
	ds_read2_b64 v[67:70], v3 offset0:160 offset1:176
	s_waitcnt lgkmcnt(4)
	v_fma_f64 v[47:48], v[43:44], v[39:40], v[47:48]
	v_fma_f64 v[39:40], v[45:46], v[39:40], v[71:72]
	s_waitcnt lgkmcnt(3)
	v_fma_f64 v[71:72], v[43:44], v[35:36], v[73:74]
	v_fma_f64 v[35:36], v[45:46], v[35:36], v[75:76]
	ds_read2_b64 v[43:46], v3 offset0:192 offset1:208
	s_waitcnt lgkmcnt(1)
	v_fma_f64 v[47:48], v[67:68], v[41:42], v[47:48]
	v_fma_f64 v[39:40], v[69:70], v[41:42], v[39:40]
	;; [unrolled: 1-line block ×4, first 2 shown]
	ds_read2_b64 v[67:70], v3 offset0:224 offset1:240
	s_waitcnt lgkmcnt(0)
	s_barrier
	buffer_gl0_inv
	v_fma_f64 v[37:38], v[43:44], v[59:60], v[47:48]
	v_fma_f64 v[39:40], v[45:46], v[59:60], v[39:40]
	v_fma_f64 v[43:44], v[43:44], v[63:64], v[41:42]
	v_fma_f64 v[35:36], v[45:46], v[63:64], v[35:36]
	v_fma_f64 v[41:42], v[67:68], v[61:62], v[37:38]
	v_fma_f64 v[39:40], v[69:70], v[61:62], v[39:40]
	v_fma_f64 v[37:38], v[67:68], v[65:66], v[43:44]
	v_fma_f64 v[35:36], v[69:70], v[65:66], v[35:36]
	s_cbranch_scc1 .LBB53_43
.LBB53_7:                               ;   Parent Loop BB53_4 Depth=1
                                        ; =>  This Inner Loop Header: Depth=2
	v_add_co_u32 v43, s5, v0, s12
	v_add_co_ci_u32_e64 v44, null, 0, s13, s5
	v_cmp_eq_u64_e64 s8, s[12:13], v[21:22]
                                        ; implicit-def: $vgpr47_vgpr48
	v_cmp_gt_i64_e64 s5, v[43:44], v[17:18]
	v_cmp_le_i64_e64 s6, s[30:31], v[43:44]
	s_and_b32 s17, s27, s8
	v_add_co_u32 v45, s8, v29, v23
	s_or_b32 s9, s3, s5
	v_add_co_ci_u32_e64 v46, null, v30, v24, s8
	s_or_b32 s8, s9, s17
	s_nor_b32 s8, s6, s8
	s_and_saveexec_b32 s9, s8
	s_xor_b32 s8, exec_lo, s9
	s_cbranch_execz .LBB53_9
; %bb.8:                                ;   in Loop: Header=BB53_7 Depth=2
	global_load_dwordx2 v[47:48], v[45:46], off
.LBB53_9:                               ;   in Loop: Header=BB53_7 Depth=2
	s_andn2_saveexec_b32 s8, s8
	s_cbranch_execz .LBB53_11
; %bb.10:                               ;   in Loop: Header=BB53_7 Depth=2
	v_cndmask_b32_e64 v3, 0, 0x3ff00000, s17
	s_waitcnt vmcnt(0)
	v_mov_b32_e32 v48, v3
	v_mov_b32_e32 v47, v2
.LBB53_11:                              ;   in Loop: Header=BB53_7 Depth=2
	s_or_b32 exec_lo, exec_lo, s8
	v_add_co_u32 v59, s8, v43, 16
	v_add_co_ci_u32_e64 v60, null, 0, v44, s8
	v_cmp_eq_u64_e64 s9, s[12:13], v[27:28]
	s_waitcnt vmcnt(0)
	ds_write_b64 v50, v[47:48]
	v_cmp_gt_i64_e64 s10, v[59:60], v[17:18]
	v_cmp_le_i64_e64 s8, s[30:31], v[59:60]
	s_and_b32 s24, s27, s9
	s_or_b32 s9, s3, s10
	s_or_b32 s9, s9, s24
	s_nor_b32 s9, s8, s9
	s_and_saveexec_b32 s10, s9
	s_xor_b32 s10, exec_lo, s10
	s_cbranch_execz .LBB53_13
; %bb.12:                               ;   in Loop: Header=BB53_7 Depth=2
	v_add_co_u32 v47, s9, v31, v23
	v_add_co_ci_u32_e64 v48, null, v32, v24, s9
	global_load_dwordx2 v[47:48], v[47:48], off
	s_waitcnt vmcnt(0)
	ds_write_b64 v50, v[47:48] offset:128
.LBB53_13:                              ;   in Loop: Header=BB53_7 Depth=2
	s_andn2_saveexec_b32 s9, s10
	s_cbranch_execz .LBB53_19
; %bb.14:                               ;   in Loop: Header=BB53_7 Depth=2
	s_xor_b32 s10, s24, -1
	s_and_saveexec_b32 s24, s10
	s_xor_b32 s10, exec_lo, s24
; %bb.15:                               ;   in Loop: Header=BB53_7 Depth=2
	v_mov_b32_e32 v3, v2
	ds_write_b64 v50, v[2:3] offset:128
; %bb.16:                               ;   in Loop: Header=BB53_7 Depth=2
	s_andn2_saveexec_b32 s10, s10
; %bb.17:                               ;   in Loop: Header=BB53_7 Depth=2
	v_mov_b32_e32 v3, v58
	ds_write_b64 v50, v[2:3] offset:128
; %bb.18:                               ;   in Loop: Header=BB53_7 Depth=2
	s_or_b32 exec_lo, exec_lo, s10
.LBB53_19:                              ;   in Loop: Header=BB53_7 Depth=2
	s_or_b32 exec_lo, exec_lo, s9
	v_cmp_eq_u64_e64 s9, s[12:13], v[25:26]
	v_cmp_gt_i64_e64 s10, v[43:44], v[19:20]
                                        ; implicit-def: $vgpr43_vgpr44
	s_and_b32 s9, s27, s9
	s_or_b32 s10, s4, s10
	s_or_b32 s10, s10, s9
	s_nor_b32 s6, s6, s10
	s_and_saveexec_b32 s10, s6
	s_xor_b32 s6, exec_lo, s10
	s_cbranch_execz .LBB53_21
; %bb.20:                               ;   in Loop: Header=BB53_7 Depth=2
	global_load_dwordx2 v[43:44], v[45:46], off offset:128
.LBB53_21:                              ;   in Loop: Header=BB53_7 Depth=2
	s_andn2_saveexec_b32 s6, s6
	s_cbranch_execz .LBB53_23
; %bb.22:                               ;   in Loop: Header=BB53_7 Depth=2
	v_cndmask_b32_e64 v3, 0, 0x3ff00000, s9
	s_waitcnt vmcnt(0)
	v_mov_b32_e32 v44, v3
	v_mov_b32_e32 v43, v2
.LBB53_23:                              ;   in Loop: Header=BB53_7 Depth=2
	s_or_b32 exec_lo, exec_lo, s6
	s_or_b32 s5, s4, s5
	s_waitcnt vmcnt(0)
	ds_write_b64 v50, v[43:44] offset:4096
	s_or_b32 s5, s5, s17
	s_nor_b32 s5, s8, s5
	s_and_saveexec_b32 s6, s5
	s_xor_b32 s6, exec_lo, s6
	s_cbranch_execz .LBB53_25
; %bb.24:                               ;   in Loop: Header=BB53_7 Depth=2
	v_add_co_u32 v43, s5, v31, v23
	v_add_co_ci_u32_e64 v44, null, v32, v24, s5
	global_load_dwordx2 v[43:44], v[43:44], off offset:128
	s_waitcnt vmcnt(0)
	ds_write_b64 v50, v[43:44] offset:4224
.LBB53_25:                              ;   in Loop: Header=BB53_7 Depth=2
	s_andn2_saveexec_b32 s5, s6
	s_cbranch_execz .LBB53_31
; %bb.26:                               ;   in Loop: Header=BB53_7 Depth=2
	s_xor_b32 s6, s17, -1
	s_and_saveexec_b32 s8, s6
	s_xor_b32 s6, exec_lo, s8
; %bb.27:                               ;   in Loop: Header=BB53_7 Depth=2
	v_mov_b32_e32 v3, v2
	ds_write_b64 v50, v[2:3] offset:4224
; %bb.28:                               ;   in Loop: Header=BB53_7 Depth=2
	s_andn2_saveexec_b32 s6, s6
; %bb.29:                               ;   in Loop: Header=BB53_7 Depth=2
	v_mov_b32_e32 v3, v58
	ds_write_b64 v50, v[2:3] offset:4224
; %bb.30:                               ;   in Loop: Header=BB53_7 Depth=2
	s_or_b32 exec_lo, exec_lo, s6
.LBB53_31:                              ;   in Loop: Header=BB53_7 Depth=2
	s_or_b32 exec_lo, exec_lo, s5
	v_add_co_u32 v43, s5, v1, s12
	v_add_co_ci_u32_e64 v44, null, 0, s13, s5
	v_add_co_u32 v45, s6, v33, v55
	v_mov_b32_e32 v47, 0
	v_cmp_le_i64_e64 s5, s[30:31], v[43:44]
	v_mov_b32_e32 v48, 0
	v_add_co_ci_u32_e64 v46, null, v34, v56, s6
	s_nor_b32 s8, s5, vcc_lo
	s_and_saveexec_b32 s6, s8
	s_cbranch_execz .LBB53_33
; %bb.32:                               ;   in Loop: Header=BB53_7 Depth=2
	global_load_dwordx2 v[47:48], v[45:46], off offset:-128
.LBB53_33:                              ;   in Loop: Header=BB53_7 Depth=2
	s_or_b32 exec_lo, exec_lo, s6
	s_nor_b32 s5, s5, s0
	s_waitcnt vmcnt(0)
	ds_write_b64 v52, v[47:48]
	s_and_saveexec_b32 s6, s5
	s_xor_b32 s5, exec_lo, s6
	s_cbranch_execz .LBB53_35
; %bb.34:                               ;   in Loop: Header=BB53_7 Depth=2
	global_load_dwordx2 v[45:46], v[45:46], off
	s_waitcnt vmcnt(0)
	ds_write_b64 v52, v[45:46] offset:128
.LBB53_35:                              ;   in Loop: Header=BB53_7 Depth=2
	s_andn2_saveexec_b32 s5, s5
; %bb.36:                               ;   in Loop: Header=BB53_7 Depth=2
	v_mov_b32_e32 v3, v2
	ds_write_b64 v52, v[2:3] offset:128
; %bb.37:                               ;   in Loop: Header=BB53_7 Depth=2
	s_or_b32 exec_lo, exec_lo, s5
	v_cmp_le_i64_e64 s5, s[20:21], v[43:44]
	v_add_co_u32 v43, s6, v33, v12
	v_mov_b32_e32 v45, 0
	v_mov_b32_e32 v46, 0
	v_add_co_ci_u32_e64 v44, null, v34, v57, s6
	s_nor_b32 s8, s5, vcc_lo
	s_and_saveexec_b32 s6, s8
	s_cbranch_execz .LBB53_39
; %bb.38:                               ;   in Loop: Header=BB53_7 Depth=2
	global_load_dwordx2 v[45:46], v[43:44], off
.LBB53_39:                              ;   in Loop: Header=BB53_7 Depth=2
	s_or_b32 exec_lo, exec_lo, s6
	s_nor_b32 s5, s5, s0
	s_waitcnt vmcnt(0)
	ds_write_b64 v52, v[45:46] offset:4096
	s_and_saveexec_b32 s6, s5
	s_xor_b32 s5, exec_lo, s6
	s_cbranch_execz .LBB53_41
; %bb.40:                               ;   in Loop: Header=BB53_7 Depth=2
	global_load_dwordx2 v[43:44], v[43:44], off offset:128
	s_waitcnt vmcnt(0)
	ds_write_b64 v52, v[43:44] offset:4224
.LBB53_41:                              ;   in Loop: Header=BB53_7 Depth=2
	s_andn2_saveexec_b32 s5, s5
	s_cbranch_execz .LBB53_6
; %bb.42:                               ;   in Loop: Header=BB53_7 Depth=2
	v_mov_b32_e32 v3, v2
	ds_write_b64 v52, v[2:3] offset:4224
	s_branch .LBB53_6
.LBB53_43:                              ;   in Loop: Header=BB53_4 Depth=1
	v_mul_lo_u32 v3, s41, v17
	v_mul_lo_u32 v14, s40, v18
	v_mad_u64_u32 v[18:19], null, s40, v17, 0
	v_cmp_gt_i32_e64 s3, s30, v17
	v_add3_u32 v19, v19, v14, v3
	v_lshlrev_b64 v[18:19], 3, v[18:19]
	v_add_co_u32 v3, s4, s23, v18
	v_add_co_ci_u32_e64 v14, null, s26, v19, s4
	s_and_b32 s4, s1, s3
	s_and_saveexec_b32 s5, s4
	s_cbranch_execz .LBB53_45
; %bb.44:                               ;   in Loop: Header=BB53_4 Depth=1
	v_add_co_u32 v18, s4, v3, v4
	v_add_co_ci_u32_e64 v19, null, v14, v5, s4
	global_load_dwordx2 v[20:21], v[18:19], off
	s_waitcnt vmcnt(0)
	v_fma_f64 v[20:21], s[34:35], v[41:42], v[20:21]
	global_store_dwordx2 v[18:19], v[20:21], off
.LBB53_45:                              ;   in Loop: Header=BB53_4 Depth=1
	s_or_b32 exec_lo, exec_lo, s5
	s_and_b32 s3, s2, s3
	s_and_saveexec_b32 s4, s3
	s_cbranch_execz .LBB53_47
; %bb.46:                               ;   in Loop: Header=BB53_4 Depth=1
	v_add_co_u32 v18, s3, v3, v15
	v_add_co_ci_u32_e64 v19, null, v14, v16, s3
	global_load_dwordx2 v[20:21], v[18:19], off
	s_waitcnt vmcnt(0)
	v_fma_f64 v[20:21], s[34:35], v[39:40], v[20:21]
	global_store_dwordx2 v[18:19], v[20:21], off
.LBB53_47:                              ;   in Loop: Header=BB53_4 Depth=1
	s_or_b32 exec_lo, exec_lo, s4
	v_add_nc_u32_e32 v3, 16, v17
	v_ashrrev_i32_e32 v14, 31, v3
	v_mul_lo_u32 v19, s41, v3
	v_mad_u64_u32 v[17:18], null, s40, v3, 0
	v_cmp_gt_i32_e64 s3, s30, v3
	v_mul_lo_u32 v14, s40, v14
	v_add3_u32 v18, v18, v14, v19
	v_lshlrev_b64 v[17:18], 3, v[17:18]
	v_add_co_u32 v3, s4, s23, v17
	v_add_co_ci_u32_e64 v14, null, s26, v18, s4
	s_and_b32 s4, s1, s3
	s_and_saveexec_b32 s5, s4
	s_cbranch_execz .LBB53_49
; %bb.48:                               ;   in Loop: Header=BB53_4 Depth=1
	v_add_co_u32 v17, s4, v3, v4
	v_add_co_ci_u32_e64 v18, null, v14, v5, s4
	global_load_dwordx2 v[19:20], v[17:18], off
	s_waitcnt vmcnt(0)
	v_fma_f64 v[19:20], s[34:35], v[37:38], v[19:20]
	global_store_dwordx2 v[17:18], v[19:20], off
.LBB53_49:                              ;   in Loop: Header=BB53_4 Depth=1
	s_or_b32 exec_lo, exec_lo, s5
	s_and_b32 s3, s2, s3
	s_and_saveexec_b32 s4, s3
	s_cbranch_execz .LBB53_3
; %bb.50:                               ;   in Loop: Header=BB53_4 Depth=1
	v_add_co_u32 v17, s3, v3, v15
	v_add_co_ci_u32_e64 v18, null, v14, v16, s3
	global_load_dwordx2 v[19:20], v[17:18], off
	s_waitcnt vmcnt(0)
	v_fma_f64 v[19:20], s[34:35], v[35:36], v[19:20]
	global_store_dwordx2 v[17:18], v[19:20], off
	s_branch .LBB53_3
.LBB53_51:
	s_endpgm
	.section	.rodata,"a",@progbits
	.p2align	6, 0x0
	.amdhsa_kernel _ZL30rocblas_trmm_outofplace_kernelIdLi32ELi2ELb0ELb0ELb1ELb0EdKddEv17rocblas_diagonal_iiT6_lPT7_lllS4_lllPT8_llli
		.amdhsa_group_segment_fixed_size 16384
		.amdhsa_private_segment_fixed_size 0
		.amdhsa_kernarg_size 392
		.amdhsa_user_sgpr_count 6
		.amdhsa_user_sgpr_private_segment_buffer 1
		.amdhsa_user_sgpr_dispatch_ptr 0
		.amdhsa_user_sgpr_queue_ptr 0
		.amdhsa_user_sgpr_kernarg_segment_ptr 1
		.amdhsa_user_sgpr_dispatch_id 0
		.amdhsa_user_sgpr_flat_scratch_init 0
		.amdhsa_user_sgpr_private_segment_size 0
		.amdhsa_wavefront_size32 1
		.amdhsa_uses_dynamic_stack 0
		.amdhsa_system_sgpr_private_segment_wavefront_offset 0
		.amdhsa_system_sgpr_workgroup_id_x 1
		.amdhsa_system_sgpr_workgroup_id_y 1
		.amdhsa_system_sgpr_workgroup_id_z 1
		.amdhsa_system_sgpr_workgroup_info 0
		.amdhsa_system_vgpr_workitem_id 1
		.amdhsa_next_free_vgpr 79
		.amdhsa_next_free_sgpr 46
		.amdhsa_reserve_vcc 1
		.amdhsa_reserve_flat_scratch 0
		.amdhsa_float_round_mode_32 0
		.amdhsa_float_round_mode_16_64 0
		.amdhsa_float_denorm_mode_32 3
		.amdhsa_float_denorm_mode_16_64 3
		.amdhsa_dx10_clamp 1
		.amdhsa_ieee_mode 1
		.amdhsa_fp16_overflow 0
		.amdhsa_workgroup_processor_mode 1
		.amdhsa_memory_ordered 1
		.amdhsa_forward_progress 1
		.amdhsa_shared_vgpr_count 0
		.amdhsa_exception_fp_ieee_invalid_op 0
		.amdhsa_exception_fp_denorm_src 0
		.amdhsa_exception_fp_ieee_div_zero 0
		.amdhsa_exception_fp_ieee_overflow 0
		.amdhsa_exception_fp_ieee_underflow 0
		.amdhsa_exception_fp_ieee_inexact 0
		.amdhsa_exception_int_div_zero 0
	.end_amdhsa_kernel
	.section	.text._ZL30rocblas_trmm_outofplace_kernelIdLi32ELi2ELb0ELb0ELb1ELb0EdKddEv17rocblas_diagonal_iiT6_lPT7_lllS4_lllPT8_llli,"axG",@progbits,_ZL30rocblas_trmm_outofplace_kernelIdLi32ELi2ELb0ELb0ELb1ELb0EdKddEv17rocblas_diagonal_iiT6_lPT7_lllS4_lllPT8_llli,comdat
.Lfunc_end53:
	.size	_ZL30rocblas_trmm_outofplace_kernelIdLi32ELi2ELb0ELb0ELb1ELb0EdKddEv17rocblas_diagonal_iiT6_lPT7_lllS4_lllPT8_llli, .Lfunc_end53-_ZL30rocblas_trmm_outofplace_kernelIdLi32ELi2ELb0ELb0ELb1ELb0EdKddEv17rocblas_diagonal_iiT6_lPT7_lllS4_lllPT8_llli
                                        ; -- End function
	.set _ZL30rocblas_trmm_outofplace_kernelIdLi32ELi2ELb0ELb0ELb1ELb0EdKddEv17rocblas_diagonal_iiT6_lPT7_lllS4_lllPT8_llli.num_vgpr, 79
	.set _ZL30rocblas_trmm_outofplace_kernelIdLi32ELi2ELb0ELb0ELb1ELb0EdKddEv17rocblas_diagonal_iiT6_lPT7_lllS4_lllPT8_llli.num_agpr, 0
	.set _ZL30rocblas_trmm_outofplace_kernelIdLi32ELi2ELb0ELb0ELb1ELb0EdKddEv17rocblas_diagonal_iiT6_lPT7_lllS4_lllPT8_llli.numbered_sgpr, 46
	.set _ZL30rocblas_trmm_outofplace_kernelIdLi32ELi2ELb0ELb0ELb1ELb0EdKddEv17rocblas_diagonal_iiT6_lPT7_lllS4_lllPT8_llli.num_named_barrier, 0
	.set _ZL30rocblas_trmm_outofplace_kernelIdLi32ELi2ELb0ELb0ELb1ELb0EdKddEv17rocblas_diagonal_iiT6_lPT7_lllS4_lllPT8_llli.private_seg_size, 0
	.set _ZL30rocblas_trmm_outofplace_kernelIdLi32ELi2ELb0ELb0ELb1ELb0EdKddEv17rocblas_diagonal_iiT6_lPT7_lllS4_lllPT8_llli.uses_vcc, 1
	.set _ZL30rocblas_trmm_outofplace_kernelIdLi32ELi2ELb0ELb0ELb1ELb0EdKddEv17rocblas_diagonal_iiT6_lPT7_lllS4_lllPT8_llli.uses_flat_scratch, 0
	.set _ZL30rocblas_trmm_outofplace_kernelIdLi32ELi2ELb0ELb0ELb1ELb0EdKddEv17rocblas_diagonal_iiT6_lPT7_lllS4_lllPT8_llli.has_dyn_sized_stack, 0
	.set _ZL30rocblas_trmm_outofplace_kernelIdLi32ELi2ELb0ELb0ELb1ELb0EdKddEv17rocblas_diagonal_iiT6_lPT7_lllS4_lllPT8_llli.has_recursion, 0
	.set _ZL30rocblas_trmm_outofplace_kernelIdLi32ELi2ELb0ELb0ELb1ELb0EdKddEv17rocblas_diagonal_iiT6_lPT7_lllS4_lllPT8_llli.has_indirect_call, 0
	.section	.AMDGPU.csdata,"",@progbits
; Kernel info:
; codeLenInByte = 3804
; TotalNumSgprs: 48
; NumVgprs: 79
; ScratchSize: 0
; MemoryBound: 0
; FloatMode: 240
; IeeeMode: 1
; LDSByteSize: 16384 bytes/workgroup (compile time only)
; SGPRBlocks: 0
; VGPRBlocks: 9
; NumSGPRsForWavesPerEU: 48
; NumVGPRsForWavesPerEU: 79
; Occupancy: 12
; WaveLimiterHint : 0
; COMPUTE_PGM_RSRC2:SCRATCH_EN: 0
; COMPUTE_PGM_RSRC2:USER_SGPR: 6
; COMPUTE_PGM_RSRC2:TRAP_HANDLER: 0
; COMPUTE_PGM_RSRC2:TGID_X_EN: 1
; COMPUTE_PGM_RSRC2:TGID_Y_EN: 1
; COMPUTE_PGM_RSRC2:TGID_Z_EN: 1
; COMPUTE_PGM_RSRC2:TIDIG_COMP_CNT: 1
	.section	.text._ZL30rocblas_trmm_outofplace_kernelIdLi32ELi2ELb0ELb1ELb1ELb0EPKdS0_dEv17rocblas_diagonal_iiT6_lPT7_lllS5_lllPT8_llli,"axG",@progbits,_ZL30rocblas_trmm_outofplace_kernelIdLi32ELi2ELb0ELb1ELb1ELb0EPKdS0_dEv17rocblas_diagonal_iiT6_lPT7_lllS5_lllPT8_llli,comdat
	.globl	_ZL30rocblas_trmm_outofplace_kernelIdLi32ELi2ELb0ELb1ELb1ELb0EPKdS0_dEv17rocblas_diagonal_iiT6_lPT7_lllS5_lllPT8_llli ; -- Begin function _ZL30rocblas_trmm_outofplace_kernelIdLi32ELi2ELb0ELb1ELb1ELb0EPKdS0_dEv17rocblas_diagonal_iiT6_lPT7_lllS5_lllPT8_llli
	.p2align	8
	.type	_ZL30rocblas_trmm_outofplace_kernelIdLi32ELi2ELb0ELb1ELb1ELb0EPKdS0_dEv17rocblas_diagonal_iiT6_lPT7_lllS5_lllPT8_llli,@function
_ZL30rocblas_trmm_outofplace_kernelIdLi32ELi2ELb0ELb1ELb1ELb0EPKdS0_dEv17rocblas_diagonal_iiT6_lPT7_lllS5_lllPT8_llli: ; @_ZL30rocblas_trmm_outofplace_kernelIdLi32ELi2ELb0ELb1ELb1ELb0EPKdS0_dEv17rocblas_diagonal_iiT6_lPT7_lllS5_lllPT8_llli
; %bb.0:
	s_load_dwordx16 s[12:27], s[4:5], 0x10
	s_waitcnt lgkmcnt(0)
	s_mul_i32 s0, s15, s8
	s_mul_hi_u32 s1, s14, s8
	s_add_i32 s1, s1, s0
	s_mul_i32 s0, s14, s8
	s_lshl_b64 s[0:1], s[0:1], 3
	s_add_u32 s0, s12, s0
	s_addc_u32 s1, s13, s1
	s_load_dwordx2 s[34:35], s[0:1], 0x0
	s_waitcnt lgkmcnt(0)
	v_cmp_eq_f64_e64 s0, s[34:35], 0
	s_and_b32 vcc_lo, exec_lo, s0
	s_cbranch_vccnz .LBB54_52
; %bb.1:
	s_load_dwordx4 s[12:15], s[4:5], 0x0
	s_waitcnt lgkmcnt(0)
	s_add_i32 s0, s14, -1
	s_ashr_i32 s1, s0, 31
	s_lshr_b32 s1, s1, 27
	s_add_i32 s0, s0, s1
	s_ashr_i32 s11, s0, 5
	s_cmp_gt_i32 s7, s11
	s_cbranch_scc1 .LBB54_52
; %bb.2:
	s_clause 0x2
	s_load_dwordx4 s[28:31], s[4:5], 0x70
	s_load_dwordx8 s[36:43], s[4:5], 0x50
	s_load_dword s33, s[4:5], 0x8c
	v_lshl_add_u32 v5, s6, 5, v0
	v_lshlrev_b32_e32 v50, 8, v1
	v_lshlrev_b32_e32 v2, 3, v0
	v_mov_b32_e32 v12, 0
	v_ashrrev_i32_e32 v6, 31, v5
	v_cmp_gt_i32_e32 vcc_lo, s13, v5
	v_add_nc_u32_e32 v51, v50, v2
	v_or_b32_e32 v52, 0x2000, v2
	v_add_nc_u32_e32 v2, 16, v5
	v_add_nc_u32_e32 v53, v52, v50
	v_ashrrev_i32_e32 v3, 31, v2
	s_waitcnt lgkmcnt(0)
	s_mul_i32 s1, s31, s8
	s_mul_hi_u32 s2, s30, s8
	s_mul_i32 s0, s30, s8
	s_add_i32 s1, s2, s1
	s_mul_hi_u32 s5, s38, s8
	s_lshl_b64 s[0:1], s[0:1], 3
	s_add_u32 s4, s40, s0
	s_addc_u32 s1, s41, s1
	s_lshl_b64 s[2:3], s[42:43], 3
	v_cmp_gt_i32_e64 s0, s13, v2
	s_add_u32 s44, s4, s2
	s_addc_u32 s45, s1, s3
	s_cmpk_eq_i32 s12, 0x84
	v_sub_co_u32 v7, s1, s13, v5
	s_cselect_b32 s46, -1, 0
	s_ashr_i32 s15, s14, 31
	s_ashr_i32 s2, s13, 31
	s_lshl_b64 s[30:31], s[20:21], 8
	s_lshl_b64 s[40:41], s[36:37], 8
	s_add_u32 s12, s14, -16
	v_sub_co_ci_u32_e64 v8, null, s2, v6, s1
	s_addc_u32 s13, s15, -1
	s_lshl_b32 s3, s7, 5
	s_lshl_b32 s47, s33, 5
	s_mul_i32 s4, s39, s8
	s_add_u32 s42, s24, 0x80
	s_addc_u32 s43, s25, 0
	s_add_i32 s5, s5, s4
	s_mul_i32 s4, s38, s8
	s_lshl_b64 s[38:39], s[26:27], 3
	s_lshl_b64 s[4:5], s[4:5], 3
	v_cmp_gt_i64_e64 s1, 1, v[7:8]
	v_cmp_gt_i64_e64 s2, 17, v[7:8]
	s_lshl_b64 s[26:27], s[36:37], 3
	v_lshlrev_b64 v[6:7], 3, v[5:6]
	s_add_u32 s6, s4, s38
	s_addc_u32 s10, s5, s39
	s_mul_i32 s4, s23, s8
	s_mul_hi_u32 s5, s22, s8
	v_add_nc_u32_e32 v4, s3, v0
	s_add_i32 s5, s5, s4
	s_mul_i32 s4, s22, s8
	v_add_nc_u32_e32 v8, s3, v1
	s_lshl_b64 s[4:5], s[4:5], 3
	s_lshl_b64 s[8:9], s[18:19], 3
	v_add_co_u32 v10, s3, s6, v6
	v_add_co_ci_u32_e64 v11, null, s10, v7, s3
	s_add_u32 s3, s4, s8
	v_mov_b32_e32 v0, 0x3ff00000
	s_addc_u32 s4, s5, s9
	s_add_u32 s16, s16, s3
	s_addc_u32 s17, s17, s4
	s_lshl_b64 s[18:19], s[20:21], 3
	s_branch .LBB54_4
.LBB54_3:                               ;   in Loop: Header=BB54_4 Depth=1
	s_or_b32 exec_lo, exec_lo, s4
	v_add_nc_u32_e32 v4, s47, v4
	v_add_nc_u32_e32 v8, s47, v8
	s_add_i32 s7, s33, s7
	s_cmp_le_i32 s7, s11
	s_cbranch_scc0 .LBB54_52
.LBB54_4:                               ; =>This Loop Header: Depth=1
                                        ;     Child Loop BB54_7 Depth 2
	s_lshl_b32 s3, s7, 5
	v_ashrrev_i32_e32 v5, 31, v4
	v_add_nc_u32_e32 v14, s3, v1
	v_ashrrev_i32_e32 v9, 31, v8
	s_sub_i32 s38, s14, s3
	s_cmp_lt_i32 s38, 1
	v_ashrrev_i32_e32 v15, 31, v14
	s_cbranch_scc1 .LBB54_43
; %bb.5:                                ;   in Loop: Header=BB54_4 Depth=1
	v_lshlrev_b64 v[18:19], 3, v[4:5]
	v_sub_co_u32 v16, s3, v8, v4
	v_sub_co_ci_u32_e64 v17, null, v9, v5, s3
	v_lshlrev_b64 v[20:21], 3, v[8:9]
	v_add_co_u32 v13, s3, 0x80, v18
	v_add_co_ci_u32_e64 v22, null, 0, v19, s3
	v_mad_u64_u32 v[18:19], null, s26, v8, s[42:43]
	v_mul_lo_u32 v28, s26, v9
	v_mul_lo_u32 v29, s27, v8
	;; [unrolled: 1-line block ×4, first 2 shown]
	v_mad_u64_u32 v[22:23], null, s20, v13, s[16:17]
	v_add_co_u32 v13, s3, 0x80, v20
	v_add_co_ci_u32_e64 v26, null, 0, v21, s3
	v_mad_u64_u32 v[24:25], null, s18, v4, s[16:17]
	v_mul_lo_u32 v32, s18, v5
	v_mul_lo_u32 v33, s19, v4
	;; [unrolled: 1-line block ×4, first 2 shown]
	v_mad_u64_u32 v[26:27], null, s36, v13, s[24:25]
	v_add3_u32 v19, v29, v19, v28
	v_add_co_u32 v28, s3, v14, 16
	v_add_co_ci_u32_e64 v29, null, 0, v15, s3
	v_add3_u32 v23, v31, v23, v30
	v_add_co_u32 v30, s5, v16, 16
	v_add3_u32 v25, v33, v25, v32
	v_add_co_ci_u32_e64 v31, null, 0, v17, s5
	v_add_co_u32 v32, s5, v16, -16
	v_add3_u32 v27, v35, v27, v34
	v_cmp_le_i64_e64 s4, s[14:15], v[28:29]
	v_mov_b32_e32 v36, 0
	v_mov_b32_e32 v38, 0
	;; [unrolled: 1-line block ×5, first 2 shown]
	v_cmp_le_i32_e64 s3, s14, v14
	v_add_co_ci_u32_e64 v33, null, -1, v17, s5
	v_mov_b32_e32 v37, 0
	v_mov_b32_e32 v39, 0
	;; [unrolled: 1-line block ×5, first 2 shown]
	s_mov_b64 s[22:23], 0
	s_branch .LBB54_7
.LBB54_6:                               ;   in Loop: Header=BB54_7 Depth=2
	s_or_b32 exec_lo, exec_lo, s5
	s_waitcnt lgkmcnt(0)
	s_barrier
	buffer_gl0_inv
	ds_read_b128 v[44:47], v50
	ds_read2_b64 v[54:57], v52 offset1:16
	ds_read_b128 v[58:61], v50 offset:4096
	ds_read_b128 v[62:65], v50 offset:16
	ds_read2_b64 v[66:69], v52 offset0:32 offset1:48
	ds_read_b128 v[70:73], v50 offset:4112
	v_add_nc_u32_e32 v13, 0x800, v52
	v_add_co_u32 v34, s5, v34, s40
	v_add_co_ci_u32_e64 v35, null, s41, v35, s5
	v_add_co_u32 v22, s5, v22, s30
	v_add_co_ci_u32_e64 v23, null, s31, v23, s5
	;; [unrolled: 2-line block ×3, first 2 shown]
	s_add_u32 s22, s22, 32
	s_addc_u32 s23, s23, 0
	s_waitcnt lgkmcnt(4)
	v_fma_f64 v[42:43], v[54:55], v[44:45], v[42:43]
	v_fma_f64 v[40:41], v[56:57], v[44:45], v[40:41]
	s_waitcnt lgkmcnt(3)
	v_fma_f64 v[44:45], v[54:55], v[58:59], v[38:39]
	v_fma_f64 v[48:49], v[56:57], v[58:59], v[36:37]
	ds_read2_b64 v[36:39], v52 offset0:64 offset1:80
	s_cmp_ge_i32 s22, s38
	s_waitcnt lgkmcnt(2)
	v_fma_f64 v[54:55], v[66:67], v[46:47], v[42:43]
	v_fma_f64 v[46:47], v[68:69], v[46:47], v[40:41]
	;; [unrolled: 1-line block ×4, first 2 shown]
	ds_read2_b64 v[40:43], v52 offset0:96 offset1:112
	s_waitcnt lgkmcnt(1)
	v_fma_f64 v[54:55], v[36:37], v[62:63], v[54:55]
	v_fma_f64 v[56:57], v[38:39], v[62:63], v[46:47]
	;; [unrolled: 1-line block ×4, first 2 shown]
	ds_read_b128 v[36:39], v50 offset:32
	ds_read2_b64 v[44:47], v52 offset0:128 offset1:144
	s_waitcnt lgkmcnt(2)
	v_fma_f64 v[66:67], v[40:41], v[64:65], v[54:55]
	v_fma_f64 v[68:69], v[42:43], v[64:65], v[56:57]
	;; [unrolled: 1-line block ×4, first 2 shown]
	ds_read_b128 v[40:43], v50 offset:4128
	ds_read_b128 v[54:57], v50 offset:48
	ds_read2_b64 v[58:61], v52 offset0:160 offset1:176
	ds_read_b128 v[62:65], v50 offset:4144
	s_waitcnt lgkmcnt(4)
	v_fma_f64 v[66:67], v[44:45], v[36:37], v[66:67]
	v_fma_f64 v[36:37], v[46:47], v[36:37], v[68:69]
	s_waitcnt lgkmcnt(3)
	v_fma_f64 v[68:69], v[44:45], v[40:41], v[70:71]
	v_fma_f64 v[40:41], v[46:47], v[40:41], v[48:49]
	ds_read2_b64 v[44:47], v52 offset0:192 offset1:208
	s_waitcnt lgkmcnt(2)
	v_fma_f64 v[48:49], v[58:59], v[38:39], v[66:67]
	v_fma_f64 v[66:67], v[60:61], v[38:39], v[36:37]
	;; [unrolled: 1-line block ×4, first 2 shown]
	ds_read2_b64 v[36:39], v52 offset0:224 offset1:240
	s_waitcnt lgkmcnt(1)
	v_fma_f64 v[48:49], v[44:45], v[54:55], v[48:49]
	v_fma_f64 v[54:55], v[46:47], v[54:55], v[66:67]
	;; [unrolled: 1-line block ×4, first 2 shown]
	ds_read_b128 v[40:43], v50 offset:64
	ds_read2_b64 v[44:47], v13 offset1:16
	s_waitcnt lgkmcnt(2)
	v_fma_f64 v[48:49], v[36:37], v[56:57], v[48:49]
	v_fma_f64 v[66:67], v[38:39], v[56:57], v[54:55]
	;; [unrolled: 1-line block ×4, first 2 shown]
	ds_read_b128 v[36:39], v50 offset:4160
	ds_read_b128 v[54:57], v50 offset:80
	;; [unrolled: 1-line block ×3, first 2 shown]
	ds_read2_b64 v[62:65], v13 offset0:32 offset1:48
	s_waitcnt lgkmcnt(4)
	v_fma_f64 v[48:49], v[44:45], v[40:41], v[48:49]
	v_fma_f64 v[40:41], v[46:47], v[40:41], v[66:67]
	s_waitcnt lgkmcnt(3)
	v_fma_f64 v[66:67], v[44:45], v[36:37], v[68:69]
	v_fma_f64 v[36:37], v[46:47], v[36:37], v[70:71]
	ds_read2_b64 v[44:47], v13 offset0:64 offset1:80
	s_waitcnt lgkmcnt(1)
	v_fma_f64 v[48:49], v[62:63], v[42:43], v[48:49]
	v_fma_f64 v[40:41], v[64:65], v[42:43], v[40:41]
	;; [unrolled: 1-line block ×4, first 2 shown]
	ds_read2_b64 v[36:39], v13 offset0:96 offset1:112
	s_waitcnt lgkmcnt(1)
	v_fma_f64 v[48:49], v[44:45], v[54:55], v[48:49]
	v_fma_f64 v[54:55], v[46:47], v[54:55], v[40:41]
	;; [unrolled: 1-line block ×4, first 2 shown]
	ds_read_b128 v[40:43], v50 offset:96
	ds_read2_b64 v[44:47], v13 offset0:128 offset1:144
	s_waitcnt lgkmcnt(2)
	v_fma_f64 v[48:49], v[36:37], v[56:57], v[48:49]
	v_fma_f64 v[66:67], v[38:39], v[56:57], v[54:55]
	;; [unrolled: 1-line block ×4, first 2 shown]
	ds_read_b128 v[36:39], v50 offset:4192
	ds_read_b128 v[54:57], v50 offset:112
	;; [unrolled: 1-line block ×3, first 2 shown]
	ds_read2_b64 v[62:65], v13 offset0:160 offset1:176
	s_waitcnt lgkmcnt(4)
	v_fma_f64 v[48:49], v[44:45], v[40:41], v[48:49]
	v_fma_f64 v[40:41], v[46:47], v[40:41], v[66:67]
	s_waitcnt lgkmcnt(3)
	v_fma_f64 v[66:67], v[44:45], v[36:37], v[68:69]
	v_fma_f64 v[36:37], v[46:47], v[36:37], v[70:71]
	ds_read2_b64 v[44:47], v13 offset0:192 offset1:208
	s_waitcnt lgkmcnt(1)
	v_fma_f64 v[48:49], v[62:63], v[42:43], v[48:49]
	v_fma_f64 v[40:41], v[64:65], v[42:43], v[40:41]
	;; [unrolled: 1-line block ×4, first 2 shown]
	ds_read2_b64 v[36:39], v13 offset0:224 offset1:240
	v_add_nc_u32_e32 v13, 0x1000, v52
	s_waitcnt lgkmcnt(1)
	v_fma_f64 v[48:49], v[44:45], v[54:55], v[48:49]
	v_fma_f64 v[54:55], v[46:47], v[54:55], v[40:41]
	;; [unrolled: 1-line block ×4, first 2 shown]
	ds_read_b128 v[40:43], v50 offset:128
	ds_read2_b64 v[44:47], v13 offset1:16
	s_waitcnt lgkmcnt(2)
	v_fma_f64 v[48:49], v[36:37], v[56:57], v[48:49]
	v_fma_f64 v[66:67], v[38:39], v[56:57], v[54:55]
	;; [unrolled: 1-line block ×4, first 2 shown]
	ds_read_b128 v[36:39], v50 offset:4224
	ds_read_b128 v[54:57], v50 offset:144
	;; [unrolled: 1-line block ×3, first 2 shown]
	ds_read2_b64 v[62:65], v13 offset0:32 offset1:48
	s_waitcnt lgkmcnt(4)
	v_fma_f64 v[48:49], v[44:45], v[40:41], v[48:49]
	v_fma_f64 v[40:41], v[46:47], v[40:41], v[66:67]
	s_waitcnt lgkmcnt(3)
	v_fma_f64 v[66:67], v[44:45], v[36:37], v[68:69]
	v_fma_f64 v[36:37], v[46:47], v[36:37], v[70:71]
	ds_read2_b64 v[44:47], v13 offset0:64 offset1:80
	s_waitcnt lgkmcnt(1)
	v_fma_f64 v[48:49], v[62:63], v[42:43], v[48:49]
	v_fma_f64 v[40:41], v[64:65], v[42:43], v[40:41]
	;; [unrolled: 1-line block ×4, first 2 shown]
	ds_read2_b64 v[36:39], v13 offset0:96 offset1:112
	s_waitcnt lgkmcnt(1)
	v_fma_f64 v[48:49], v[44:45], v[54:55], v[48:49]
	v_fma_f64 v[54:55], v[46:47], v[54:55], v[40:41]
	;; [unrolled: 1-line block ×4, first 2 shown]
	ds_read_b128 v[40:43], v50 offset:160
	ds_read2_b64 v[44:47], v13 offset0:128 offset1:144
	s_waitcnt lgkmcnt(2)
	v_fma_f64 v[48:49], v[36:37], v[56:57], v[48:49]
	v_fma_f64 v[66:67], v[38:39], v[56:57], v[54:55]
	;; [unrolled: 1-line block ×4, first 2 shown]
	ds_read_b128 v[36:39], v50 offset:4256
	ds_read_b128 v[54:57], v50 offset:176
	;; [unrolled: 1-line block ×3, first 2 shown]
	ds_read2_b64 v[62:65], v13 offset0:160 offset1:176
	s_waitcnt lgkmcnt(4)
	v_fma_f64 v[48:49], v[44:45], v[40:41], v[48:49]
	v_fma_f64 v[40:41], v[46:47], v[40:41], v[66:67]
	s_waitcnt lgkmcnt(3)
	v_fma_f64 v[66:67], v[44:45], v[36:37], v[68:69]
	v_fma_f64 v[36:37], v[46:47], v[36:37], v[70:71]
	ds_read2_b64 v[44:47], v13 offset0:192 offset1:208
	s_waitcnt lgkmcnt(1)
	v_fma_f64 v[48:49], v[62:63], v[42:43], v[48:49]
	v_fma_f64 v[40:41], v[64:65], v[42:43], v[40:41]
	;; [unrolled: 1-line block ×4, first 2 shown]
	ds_read2_b64 v[36:39], v13 offset0:224 offset1:240
	v_add_nc_u32_e32 v13, 0x1800, v52
	s_waitcnt lgkmcnt(1)
	v_fma_f64 v[48:49], v[44:45], v[54:55], v[48:49]
	v_fma_f64 v[54:55], v[46:47], v[54:55], v[40:41]
	;; [unrolled: 1-line block ×4, first 2 shown]
	ds_read_b128 v[40:43], v50 offset:192
	ds_read2_b64 v[44:47], v13 offset1:16
	s_waitcnt lgkmcnt(2)
	v_fma_f64 v[48:49], v[36:37], v[56:57], v[48:49]
	v_fma_f64 v[66:67], v[38:39], v[56:57], v[54:55]
	;; [unrolled: 1-line block ×4, first 2 shown]
	ds_read_b128 v[36:39], v50 offset:4288
	ds_read_b128 v[54:57], v50 offset:208
	;; [unrolled: 1-line block ×3, first 2 shown]
	ds_read2_b64 v[62:65], v13 offset0:32 offset1:48
	s_waitcnt lgkmcnt(4)
	v_fma_f64 v[48:49], v[44:45], v[40:41], v[48:49]
	v_fma_f64 v[40:41], v[46:47], v[40:41], v[66:67]
	s_waitcnt lgkmcnt(3)
	v_fma_f64 v[66:67], v[44:45], v[36:37], v[68:69]
	v_fma_f64 v[36:37], v[46:47], v[36:37], v[70:71]
	ds_read2_b64 v[44:47], v13 offset0:64 offset1:80
	s_waitcnt lgkmcnt(1)
	v_fma_f64 v[48:49], v[62:63], v[42:43], v[48:49]
	v_fma_f64 v[40:41], v[64:65], v[42:43], v[40:41]
	;; [unrolled: 1-line block ×4, first 2 shown]
	ds_read2_b64 v[36:39], v13 offset0:96 offset1:112
	s_waitcnt lgkmcnt(1)
	v_fma_f64 v[48:49], v[44:45], v[54:55], v[48:49]
	v_fma_f64 v[54:55], v[46:47], v[54:55], v[40:41]
	v_fma_f64 v[64:65], v[44:45], v[58:59], v[42:43]
	v_fma_f64 v[58:59], v[46:47], v[58:59], v[62:63]
	ds_read_b128 v[40:43], v50 offset:224
	ds_read2_b64 v[44:47], v13 offset0:128 offset1:144
	s_waitcnt lgkmcnt(2)
	v_fma_f64 v[48:49], v[36:37], v[56:57], v[48:49]
	v_fma_f64 v[66:67], v[38:39], v[56:57], v[54:55]
	v_fma_f64 v[68:69], v[36:37], v[60:61], v[64:65]
	v_fma_f64 v[70:71], v[38:39], v[60:61], v[58:59]
	ds_read_b128 v[36:39], v50 offset:4320
	ds_read_b128 v[54:57], v50 offset:240
	;; [unrolled: 1-line block ×3, first 2 shown]
	ds_read2_b64 v[62:65], v13 offset0:160 offset1:176
	s_waitcnt lgkmcnt(4)
	v_fma_f64 v[48:49], v[44:45], v[40:41], v[48:49]
	v_fma_f64 v[40:41], v[46:47], v[40:41], v[66:67]
	s_waitcnt lgkmcnt(3)
	v_fma_f64 v[66:67], v[44:45], v[36:37], v[68:69]
	v_fma_f64 v[36:37], v[46:47], v[36:37], v[70:71]
	ds_read2_b64 v[44:47], v13 offset0:192 offset1:208
	s_waitcnt lgkmcnt(1)
	v_fma_f64 v[48:49], v[62:63], v[42:43], v[48:49]
	v_fma_f64 v[40:41], v[64:65], v[42:43], v[40:41]
	;; [unrolled: 1-line block ×4, first 2 shown]
	ds_read2_b64 v[62:65], v13 offset0:224 offset1:240
	s_waitcnt lgkmcnt(0)
	s_barrier
	buffer_gl0_inv
	v_fma_f64 v[38:39], v[44:45], v[54:55], v[48:49]
	v_fma_f64 v[40:41], v[46:47], v[54:55], v[40:41]
	;; [unrolled: 1-line block ×8, first 2 shown]
	s_cbranch_scc1 .LBB54_44
.LBB54_7:                               ;   Parent Loop BB54_4 Depth=1
                                        ; =>  This Inner Loop Header: Depth=2
	v_add_co_u32 v44, s5, v4, s22
	v_add_co_ci_u32_e64 v45, null, s23, v5, s5
	v_cmp_eq_u64_e64 s8, s[22:23], v[16:17]
	v_add_co_u32 v46, s9, v24, v20
	v_cmp_lt_i64_e64 s5, v[44:45], v[14:15]
	v_cmp_le_i64_e64 s6, s[14:15], v[44:45]
	v_add_co_ci_u32_e64 v47, null, v25, v21, s9
	s_and_b32 s39, s46, s8
                                        ; implicit-def: $vgpr48_vgpr49
	s_or_b32 s9, s3, s5
	s_or_b32 s8, s6, s9
	s_nor_b32 s8, s8, s39
	s_and_saveexec_b32 s9, s8
	s_xor_b32 s8, exec_lo, s9
	s_cbranch_execz .LBB54_9
; %bb.8:                                ;   in Loop: Header=BB54_7 Depth=2
	global_load_dwordx2 v[48:49], v[46:47], off
.LBB54_9:                               ;   in Loop: Header=BB54_7 Depth=2
	s_andn2_saveexec_b32 s8, s8
	s_cbranch_execz .LBB54_11
; %bb.10:                               ;   in Loop: Header=BB54_7 Depth=2
	v_cndmask_b32_e64 v13, 0, 0x3ff00000, s39
	s_waitcnt vmcnt(0)
	v_mov_b32_e32 v49, v13
	v_mov_b32_e32 v48, v12
.LBB54_11:                              ;   in Loop: Header=BB54_7 Depth=2
	s_or_b32 exec_lo, exec_lo, s8
	v_add_co_u32 v54, s8, v44, 16
	v_add_co_ci_u32_e64 v55, null, 0, v45, s8
	v_cmp_eq_u64_e64 s10, s[22:23], v[32:33]
	s_waitcnt vmcnt(0)
	ds_write_b64 v51, v[48:49]
	v_cmp_lt_i64_e64 s9, v[54:55], v[14:15]
	v_cmp_le_i64_e64 s8, s[14:15], v[54:55]
	s_and_b32 s10, s46, s10
	s_or_b32 s9, s3, s9
	s_or_b32 s9, s8, s9
	s_nor_b32 s9, s9, s10
	s_and_saveexec_b32 s48, s9
	s_xor_b32 s48, exec_lo, s48
	s_cbranch_execz .LBB54_13
; %bb.12:                               ;   in Loop: Header=BB54_7 Depth=2
	v_add_co_u32 v48, s9, v22, v20
	v_add_co_ci_u32_e64 v49, null, v23, v21, s9
	global_load_dwordx2 v[48:49], v[48:49], off
	s_waitcnt vmcnt(0)
	ds_write_b64 v51, v[48:49] offset:128
.LBB54_13:                              ;   in Loop: Header=BB54_7 Depth=2
	s_andn2_saveexec_b32 s9, s48
	s_cbranch_execz .LBB54_19
; %bb.14:                               ;   in Loop: Header=BB54_7 Depth=2
	s_xor_b32 s10, s10, -1
	s_and_saveexec_b32 s48, s10
	s_xor_b32 s10, exec_lo, s48
; %bb.15:                               ;   in Loop: Header=BB54_7 Depth=2
	v_mov_b32_e32 v13, v12
	ds_write_b64 v51, v[12:13] offset:128
; %bb.16:                               ;   in Loop: Header=BB54_7 Depth=2
	s_andn2_saveexec_b32 s10, s10
; %bb.17:                               ;   in Loop: Header=BB54_7 Depth=2
	v_mov_b32_e32 v13, v0
	ds_write_b64 v51, v[12:13] offset:128
; %bb.18:                               ;   in Loop: Header=BB54_7 Depth=2
	s_or_b32 exec_lo, exec_lo, s10
.LBB54_19:                              ;   in Loop: Header=BB54_7 Depth=2
	s_or_b32 exec_lo, exec_lo, s9
	v_cmp_eq_u64_e64 s9, s[22:23], v[30:31]
	v_cmp_lt_i64_e64 s10, v[44:45], v[28:29]
                                        ; implicit-def: $vgpr44_vgpr45
	s_and_b32 s9, s46, s9
	s_or_b32 s10, s4, s10
	s_or_b32 s10, s10, s9
	s_nor_b32 s6, s6, s10
	s_and_saveexec_b32 s10, s6
	s_xor_b32 s6, exec_lo, s10
	s_cbranch_execz .LBB54_21
; %bb.20:                               ;   in Loop: Header=BB54_7 Depth=2
	global_load_dwordx2 v[44:45], v[46:47], off offset:128
.LBB54_21:                              ;   in Loop: Header=BB54_7 Depth=2
	s_andn2_saveexec_b32 s6, s6
	s_cbranch_execz .LBB54_23
; %bb.22:                               ;   in Loop: Header=BB54_7 Depth=2
	v_cndmask_b32_e64 v13, 0, 0x3ff00000, s9
	s_waitcnt vmcnt(0)
	v_mov_b32_e32 v45, v13
	v_mov_b32_e32 v44, v12
.LBB54_23:                              ;   in Loop: Header=BB54_7 Depth=2
	s_or_b32 exec_lo, exec_lo, s6
	s_or_b32 s5, s4, s5
	s_waitcnt vmcnt(0)
	ds_write_b64 v51, v[44:45] offset:4096
	s_or_b32 s5, s8, s5
	s_nor_b32 s5, s5, s39
	s_and_saveexec_b32 s6, s5
	s_xor_b32 s6, exec_lo, s6
	s_cbranch_execz .LBB54_25
; %bb.24:                               ;   in Loop: Header=BB54_7 Depth=2
	v_add_co_u32 v44, s5, v22, v20
	v_add_co_ci_u32_e64 v45, null, v23, v21, s5
	global_load_dwordx2 v[44:45], v[44:45], off offset:128
	s_waitcnt vmcnt(0)
	ds_write_b64 v51, v[44:45] offset:4224
.LBB54_25:                              ;   in Loop: Header=BB54_7 Depth=2
	s_andn2_saveexec_b32 s5, s6
	s_cbranch_execz .LBB54_31
; %bb.26:                               ;   in Loop: Header=BB54_7 Depth=2
	s_xor_b32 s6, s39, -1
	s_and_saveexec_b32 s8, s6
	s_xor_b32 s6, exec_lo, s8
; %bb.27:                               ;   in Loop: Header=BB54_7 Depth=2
	v_mov_b32_e32 v13, v12
	ds_write_b64 v51, v[12:13] offset:4224
; %bb.28:                               ;   in Loop: Header=BB54_7 Depth=2
	s_andn2_saveexec_b32 s6, s6
; %bb.29:                               ;   in Loop: Header=BB54_7 Depth=2
	v_mov_b32_e32 v13, v0
	ds_write_b64 v51, v[12:13] offset:4224
; %bb.30:                               ;   in Loop: Header=BB54_7 Depth=2
	s_or_b32 exec_lo, exec_lo, s6
.LBB54_31:                              ;   in Loop: Header=BB54_7 Depth=2
	s_or_b32 exec_lo, exec_lo, s5
	v_add_co_u32 v44, s5, v8, s22
	v_add_co_ci_u32_e64 v45, null, s23, v9, s5
	v_add_co_u32 v46, s6, v18, v34
	v_mov_b32_e32 v48, 0
	v_cmp_le_i64_e64 s5, s[14:15], v[44:45]
	v_mov_b32_e32 v49, 0
	v_add_co_ci_u32_e64 v47, null, v19, v35, s6
	s_nor_b32 s8, s5, s1
	s_and_saveexec_b32 s6, s8
	s_cbranch_execz .LBB54_33
; %bb.32:                               ;   in Loop: Header=BB54_7 Depth=2
	global_load_dwordx2 v[48:49], v[46:47], off offset:-128
.LBB54_33:                              ;   in Loop: Header=BB54_7 Depth=2
	s_or_b32 exec_lo, exec_lo, s6
	s_nor_b32 s5, s5, s2
	s_waitcnt vmcnt(0)
	ds_write_b64 v53, v[48:49]
	s_and_saveexec_b32 s6, s5
	s_xor_b32 s5, exec_lo, s6
	s_cbranch_execz .LBB54_35
; %bb.34:                               ;   in Loop: Header=BB54_7 Depth=2
	global_load_dwordx2 v[46:47], v[46:47], off
	s_waitcnt vmcnt(0)
	ds_write_b64 v53, v[46:47] offset:128
.LBB54_35:                              ;   in Loop: Header=BB54_7 Depth=2
	s_andn2_saveexec_b32 s5, s5
; %bb.36:                               ;   in Loop: Header=BB54_7 Depth=2
	v_mov_b32_e32 v13, v12
	ds_write_b64 v53, v[12:13] offset:128
; %bb.37:                               ;   in Loop: Header=BB54_7 Depth=2
	s_or_b32 exec_lo, exec_lo, s5
	v_cmp_le_i64_e64 s5, s[12:13], v[44:45]
	v_add_co_u32 v44, s6, v26, v34
	v_mov_b32_e32 v46, 0
	v_mov_b32_e32 v47, 0
	v_add_co_ci_u32_e64 v45, null, v27, v35, s6
	s_nor_b32 s8, s5, s1
	s_and_saveexec_b32 s6, s8
	s_cbranch_execz .LBB54_39
; %bb.38:                               ;   in Loop: Header=BB54_7 Depth=2
	global_load_dwordx2 v[46:47], v[44:45], off
.LBB54_39:                              ;   in Loop: Header=BB54_7 Depth=2
	s_or_b32 exec_lo, exec_lo, s6
	s_nor_b32 s5, s5, s2
	s_waitcnt vmcnt(0)
	ds_write_b64 v53, v[46:47] offset:4096
	s_and_saveexec_b32 s6, s5
	s_xor_b32 s5, exec_lo, s6
	s_cbranch_execz .LBB54_41
; %bb.40:                               ;   in Loop: Header=BB54_7 Depth=2
	global_load_dwordx2 v[44:45], v[44:45], off offset:128
	s_waitcnt vmcnt(0)
	ds_write_b64 v53, v[44:45] offset:4224
.LBB54_41:                              ;   in Loop: Header=BB54_7 Depth=2
	s_andn2_saveexec_b32 s5, s5
	s_cbranch_execz .LBB54_6
; %bb.42:                               ;   in Loop: Header=BB54_7 Depth=2
	v_mov_b32_e32 v13, v12
	ds_write_b64 v53, v[12:13] offset:4224
	s_branch .LBB54_6
.LBB54_43:                              ;   in Loop: Header=BB54_4 Depth=1
	v_mov_b32_e32 v42, 0
	v_mov_b32_e32 v40, 0
	;; [unrolled: 1-line block ×8, first 2 shown]
.LBB54_44:                              ;   in Loop: Header=BB54_4 Depth=1
	v_mul_lo_u32 v5, s29, v14
	v_mul_lo_u32 v9, s28, v15
	v_mad_u64_u32 v[15:16], null, s28, v14, 0
	v_cmp_gt_i32_e64 s3, s14, v14
	v_add3_u32 v16, v16, v9, v5
	v_lshlrev_b64 v[15:16], 3, v[15:16]
	v_add_co_u32 v5, s4, s44, v15
	v_add_co_ci_u32_e64 v9, null, s45, v16, s4
	s_and_b32 s4, vcc_lo, s3
	s_and_saveexec_b32 s5, s4
	s_cbranch_execz .LBB54_46
; %bb.45:                               ;   in Loop: Header=BB54_4 Depth=1
	v_add_co_u32 v15, s4, v5, v6
	v_add_co_ci_u32_e64 v16, null, v9, v7, s4
	global_load_dwordx2 v[17:18], v[15:16], off
	s_waitcnt vmcnt(0)
	v_fma_f64 v[17:18], s[34:35], v[42:43], v[17:18]
	global_store_dwordx2 v[15:16], v[17:18], off
.LBB54_46:                              ;   in Loop: Header=BB54_4 Depth=1
	s_or_b32 exec_lo, exec_lo, s5
	s_and_b32 s3, s0, s3
	s_and_saveexec_b32 s4, s3
	s_cbranch_execz .LBB54_48
; %bb.47:                               ;   in Loop: Header=BB54_4 Depth=1
	v_lshlrev_b64 v[15:16], 3, v[2:3]
	v_add_co_u32 v15, s3, v5, v15
	v_add_co_ci_u32_e64 v16, null, v9, v16, s3
	global_load_dwordx2 v[17:18], v[15:16], off
	s_waitcnt vmcnt(0)
	v_fma_f64 v[17:18], s[34:35], v[40:41], v[17:18]
	global_store_dwordx2 v[15:16], v[17:18], off
.LBB54_48:                              ;   in Loop: Header=BB54_4 Depth=1
	s_or_b32 exec_lo, exec_lo, s4
	v_add_nc_u32_e32 v5, 16, v14
	v_ashrrev_i32_e32 v9, 31, v5
	v_mul_lo_u32 v15, s29, v5
	v_mad_u64_u32 v[13:14], null, s28, v5, 0
	v_cmp_gt_i32_e64 s3, s14, v5
	v_mul_lo_u32 v9, s28, v9
	v_add3_u32 v14, v14, v9, v15
	v_lshlrev_b64 v[13:14], 3, v[13:14]
	v_add_co_u32 v5, s4, s44, v13
	v_add_co_ci_u32_e64 v9, null, s45, v14, s4
	s_and_b32 s4, vcc_lo, s3
	s_and_saveexec_b32 s5, s4
	s_cbranch_execz .LBB54_50
; %bb.49:                               ;   in Loop: Header=BB54_4 Depth=1
	v_add_co_u32 v13, s4, v5, v6
	v_add_co_ci_u32_e64 v14, null, v9, v7, s4
	global_load_dwordx2 v[15:16], v[13:14], off
	s_waitcnt vmcnt(0)
	v_fma_f64 v[15:16], s[34:35], v[38:39], v[15:16]
	global_store_dwordx2 v[13:14], v[15:16], off
.LBB54_50:                              ;   in Loop: Header=BB54_4 Depth=1
	s_or_b32 exec_lo, exec_lo, s5
	s_and_b32 s3, s0, s3
	s_and_saveexec_b32 s4, s3
	s_cbranch_execz .LBB54_3
; %bb.51:                               ;   in Loop: Header=BB54_4 Depth=1
	v_lshlrev_b64 v[13:14], 3, v[2:3]
	v_add_co_u32 v13, s3, v5, v13
	v_add_co_ci_u32_e64 v14, null, v9, v14, s3
	global_load_dwordx2 v[15:16], v[13:14], off
	s_waitcnt vmcnt(0)
	v_fma_f64 v[15:16], s[34:35], v[36:37], v[15:16]
	global_store_dwordx2 v[13:14], v[15:16], off
	s_branch .LBB54_3
.LBB54_52:
	s_endpgm
	.section	.rodata,"a",@progbits
	.p2align	6, 0x0
	.amdhsa_kernel _ZL30rocblas_trmm_outofplace_kernelIdLi32ELi2ELb0ELb1ELb1ELb0EPKdS0_dEv17rocblas_diagonal_iiT6_lPT7_lllS5_lllPT8_llli
		.amdhsa_group_segment_fixed_size 16384
		.amdhsa_private_segment_fixed_size 0
		.amdhsa_kernarg_size 392
		.amdhsa_user_sgpr_count 6
		.amdhsa_user_sgpr_private_segment_buffer 1
		.amdhsa_user_sgpr_dispatch_ptr 0
		.amdhsa_user_sgpr_queue_ptr 0
		.amdhsa_user_sgpr_kernarg_segment_ptr 1
		.amdhsa_user_sgpr_dispatch_id 0
		.amdhsa_user_sgpr_flat_scratch_init 0
		.amdhsa_user_sgpr_private_segment_size 0
		.amdhsa_wavefront_size32 1
		.amdhsa_uses_dynamic_stack 0
		.amdhsa_system_sgpr_private_segment_wavefront_offset 0
		.amdhsa_system_sgpr_workgroup_id_x 1
		.amdhsa_system_sgpr_workgroup_id_y 1
		.amdhsa_system_sgpr_workgroup_id_z 1
		.amdhsa_system_sgpr_workgroup_info 0
		.amdhsa_system_vgpr_workitem_id 1
		.amdhsa_next_free_vgpr 74
		.amdhsa_next_free_sgpr 49
		.amdhsa_reserve_vcc 1
		.amdhsa_reserve_flat_scratch 0
		.amdhsa_float_round_mode_32 0
		.amdhsa_float_round_mode_16_64 0
		.amdhsa_float_denorm_mode_32 3
		.amdhsa_float_denorm_mode_16_64 3
		.amdhsa_dx10_clamp 1
		.amdhsa_ieee_mode 1
		.amdhsa_fp16_overflow 0
		.amdhsa_workgroup_processor_mode 1
		.amdhsa_memory_ordered 1
		.amdhsa_forward_progress 1
		.amdhsa_shared_vgpr_count 0
		.amdhsa_exception_fp_ieee_invalid_op 0
		.amdhsa_exception_fp_denorm_src 0
		.amdhsa_exception_fp_ieee_div_zero 0
		.amdhsa_exception_fp_ieee_overflow 0
		.amdhsa_exception_fp_ieee_underflow 0
		.amdhsa_exception_fp_ieee_inexact 0
		.amdhsa_exception_int_div_zero 0
	.end_amdhsa_kernel
	.section	.text._ZL30rocblas_trmm_outofplace_kernelIdLi32ELi2ELb0ELb1ELb1ELb0EPKdS0_dEv17rocblas_diagonal_iiT6_lPT7_lllS5_lllPT8_llli,"axG",@progbits,_ZL30rocblas_trmm_outofplace_kernelIdLi32ELi2ELb0ELb1ELb1ELb0EPKdS0_dEv17rocblas_diagonal_iiT6_lPT7_lllS5_lllPT8_llli,comdat
.Lfunc_end54:
	.size	_ZL30rocblas_trmm_outofplace_kernelIdLi32ELi2ELb0ELb1ELb1ELb0EPKdS0_dEv17rocblas_diagonal_iiT6_lPT7_lllS5_lllPT8_llli, .Lfunc_end54-_ZL30rocblas_trmm_outofplace_kernelIdLi32ELi2ELb0ELb1ELb1ELb0EPKdS0_dEv17rocblas_diagonal_iiT6_lPT7_lllS5_lllPT8_llli
                                        ; -- End function
	.set _ZL30rocblas_trmm_outofplace_kernelIdLi32ELi2ELb0ELb1ELb1ELb0EPKdS0_dEv17rocblas_diagonal_iiT6_lPT7_lllS5_lllPT8_llli.num_vgpr, 74
	.set _ZL30rocblas_trmm_outofplace_kernelIdLi32ELi2ELb0ELb1ELb1ELb0EPKdS0_dEv17rocblas_diagonal_iiT6_lPT7_lllS5_lllPT8_llli.num_agpr, 0
	.set _ZL30rocblas_trmm_outofplace_kernelIdLi32ELi2ELb0ELb1ELb1ELb0EPKdS0_dEv17rocblas_diagonal_iiT6_lPT7_lllS5_lllPT8_llli.numbered_sgpr, 49
	.set _ZL30rocblas_trmm_outofplace_kernelIdLi32ELi2ELb0ELb1ELb1ELb0EPKdS0_dEv17rocblas_diagonal_iiT6_lPT7_lllS5_lllPT8_llli.num_named_barrier, 0
	.set _ZL30rocblas_trmm_outofplace_kernelIdLi32ELi2ELb0ELb1ELb1ELb0EPKdS0_dEv17rocblas_diagonal_iiT6_lPT7_lllS5_lllPT8_llli.private_seg_size, 0
	.set _ZL30rocblas_trmm_outofplace_kernelIdLi32ELi2ELb0ELb1ELb1ELb0EPKdS0_dEv17rocblas_diagonal_iiT6_lPT7_lllS5_lllPT8_llli.uses_vcc, 1
	.set _ZL30rocblas_trmm_outofplace_kernelIdLi32ELi2ELb0ELb1ELb1ELb0EPKdS0_dEv17rocblas_diagonal_iiT6_lPT7_lllS5_lllPT8_llli.uses_flat_scratch, 0
	.set _ZL30rocblas_trmm_outofplace_kernelIdLi32ELi2ELb0ELb1ELb1ELb0EPKdS0_dEv17rocblas_diagonal_iiT6_lPT7_lllS5_lllPT8_llli.has_dyn_sized_stack, 0
	.set _ZL30rocblas_trmm_outofplace_kernelIdLi32ELi2ELb0ELb1ELb1ELb0EPKdS0_dEv17rocblas_diagonal_iiT6_lPT7_lllS5_lllPT8_llli.has_recursion, 0
	.set _ZL30rocblas_trmm_outofplace_kernelIdLi32ELi2ELb0ELb1ELb1ELb0EPKdS0_dEv17rocblas_diagonal_iiT6_lPT7_lllS5_lllPT8_llli.has_indirect_call, 0
	.section	.AMDGPU.csdata,"",@progbits
; Kernel info:
; codeLenInByte = 3840
; TotalNumSgprs: 51
; NumVgprs: 74
; ScratchSize: 0
; MemoryBound: 0
; FloatMode: 240
; IeeeMode: 1
; LDSByteSize: 16384 bytes/workgroup (compile time only)
; SGPRBlocks: 0
; VGPRBlocks: 9
; NumSGPRsForWavesPerEU: 51
; NumVGPRsForWavesPerEU: 74
; Occupancy: 12
; WaveLimiterHint : 0
; COMPUTE_PGM_RSRC2:SCRATCH_EN: 0
; COMPUTE_PGM_RSRC2:USER_SGPR: 6
; COMPUTE_PGM_RSRC2:TRAP_HANDLER: 0
; COMPUTE_PGM_RSRC2:TGID_X_EN: 1
; COMPUTE_PGM_RSRC2:TGID_Y_EN: 1
; COMPUTE_PGM_RSRC2:TGID_Z_EN: 1
; COMPUTE_PGM_RSRC2:TIDIG_COMP_CNT: 1
	.section	.text._ZL30rocblas_trmm_outofplace_kernelIdLi32ELi2ELb0ELb1ELb1ELb0EdKddEv17rocblas_diagonal_iiT6_lPT7_lllS4_lllPT8_llli,"axG",@progbits,_ZL30rocblas_trmm_outofplace_kernelIdLi32ELi2ELb0ELb1ELb1ELb0EdKddEv17rocblas_diagonal_iiT6_lPT7_lllS4_lllPT8_llli,comdat
	.globl	_ZL30rocblas_trmm_outofplace_kernelIdLi32ELi2ELb0ELb1ELb1ELb0EdKddEv17rocblas_diagonal_iiT6_lPT7_lllS4_lllPT8_llli ; -- Begin function _ZL30rocblas_trmm_outofplace_kernelIdLi32ELi2ELb0ELb1ELb1ELb0EdKddEv17rocblas_diagonal_iiT6_lPT7_lllS4_lllPT8_llli
	.p2align	8
	.type	_ZL30rocblas_trmm_outofplace_kernelIdLi32ELi2ELb0ELb1ELb1ELb0EdKddEv17rocblas_diagonal_iiT6_lPT7_lllS4_lllPT8_llli,@function
_ZL30rocblas_trmm_outofplace_kernelIdLi32ELi2ELb0ELb1ELb1ELb0EdKddEv17rocblas_diagonal_iiT6_lPT7_lllS4_lllPT8_llli: ; @_ZL30rocblas_trmm_outofplace_kernelIdLi32ELi2ELb0ELb1ELb1ELb0EdKddEv17rocblas_diagonal_iiT6_lPT7_lllS4_lllPT8_llli
; %bb.0:
	s_load_dwordx2 s[34:35], s[4:5], 0x10
	s_waitcnt lgkmcnt(0)
	v_cmp_eq_f64_e64 s0, s[34:35], 0
	s_and_b32 vcc_lo, exec_lo, s0
	s_cbranch_vccnz .LBB55_52
; %bb.1:
	s_load_dwordx4 s[28:31], s[4:5], 0x0
	s_waitcnt lgkmcnt(0)
	s_add_i32 s0, s30, -1
	s_ashr_i32 s1, s0, 31
	s_lshr_b32 s1, s1, 27
	s_add_i32 s0, s0, s1
	s_ashr_i32 s11, s0, 5
	s_cmp_gt_i32 s7, s11
	s_cbranch_scc1 .LBB55_52
; %bb.2:
	s_clause 0x2
	s_load_dwordx8 s[36:43], s[4:5], 0x60
	s_load_dwordx16 s[12:27], s[4:5], 0x20
	s_load_dword s33, s[4:5], 0x8c
	v_lshl_add_u32 v5, s6, 5, v0
	v_lshlrev_b32_e32 v50, 8, v1
	v_lshlrev_b32_e32 v2, 3, v0
	v_mov_b32_e32 v12, 0
	v_ashrrev_i32_e32 v6, 31, v5
	v_cmp_gt_i32_e32 vcc_lo, s29, v5
	v_add_nc_u32_e32 v51, v50, v2
	v_or_b32_e32 v52, 0x2000, v2
	v_add_nc_u32_e32 v2, 16, v5
	v_add_nc_u32_e32 v53, v52, v50
	v_ashrrev_i32_e32 v3, 31, v2
	s_waitcnt lgkmcnt(0)
	s_mul_hi_u32 s5, s26, s8
	s_mul_i32 s1, s43, s8
	s_mul_hi_u32 s2, s42, s8
	s_mul_i32 s0, s42, s8
	s_add_i32 s1, s2, s1
	s_lshl_b64 s[0:1], s[0:1], 3
	s_add_u32 s4, s36, s0
	s_addc_u32 s1, s37, s1
	s_lshl_b64 s[2:3], s[38:39], 3
	v_cmp_gt_i32_e64 s0, s29, v2
	s_add_u32 s44, s4, s2
	s_addc_u32 s45, s1, s3
	s_cmpk_eq_i32 s28, 0x84
	v_sub_co_u32 v7, s1, s29, v5
	s_cselect_b32 s46, -1, 0
	s_ashr_i32 s31, s30, 31
	s_ashr_i32 s2, s29, 31
	s_lshl_b64 s[36:37], s[16:17], 8
	s_lshl_b64 s[38:39], s[24:25], 8
	s_add_u32 s28, s30, -16
	v_sub_co_ci_u32_e64 v8, null, s2, v6, s1
	s_addc_u32 s29, s31, -1
	s_lshl_b32 s3, s7, 5
	s_lshl_b32 s47, s33, 5
	s_mul_i32 s4, s27, s8
	s_add_u32 s42, s20, 0x80
	s_addc_u32 s43, s21, 0
	s_add_i32 s5, s5, s4
	s_mul_i32 s4, s26, s8
	s_lshl_b64 s[26:27], s[22:23], 3
	s_lshl_b64 s[4:5], s[4:5], 3
	v_cmp_gt_i64_e64 s1, 1, v[7:8]
	v_cmp_gt_i64_e64 s2, 17, v[7:8]
	s_lshl_b64 s[22:23], s[24:25], 3
	v_lshlrev_b64 v[6:7], 3, v[5:6]
	s_add_u32 s6, s4, s26
	s_addc_u32 s10, s5, s27
	s_mul_i32 s4, s19, s8
	s_mul_hi_u32 s5, s18, s8
	v_add_nc_u32_e32 v4, s3, v0
	s_add_i32 s5, s5, s4
	s_mul_i32 s4, s18, s8
	v_add_nc_u32_e32 v8, s3, v1
	s_lshl_b64 s[4:5], s[4:5], 3
	s_lshl_b64 s[8:9], s[14:15], 3
	v_add_co_u32 v10, s3, s6, v6
	v_add_co_ci_u32_e64 v11, null, s10, v7, s3
	s_add_u32 s3, s4, s8
	v_mov_b32_e32 v0, 0x3ff00000
	s_addc_u32 s4, s5, s9
	s_add_u32 s12, s12, s3
	s_addc_u32 s13, s13, s4
	s_lshl_b64 s[14:15], s[16:17], 3
	s_branch .LBB55_4
.LBB55_3:                               ;   in Loop: Header=BB55_4 Depth=1
	s_or_b32 exec_lo, exec_lo, s4
	v_add_nc_u32_e32 v4, s47, v4
	v_add_nc_u32_e32 v8, s47, v8
	s_add_i32 s7, s33, s7
	s_cmp_le_i32 s7, s11
	s_cbranch_scc0 .LBB55_52
.LBB55_4:                               ; =>This Loop Header: Depth=1
                                        ;     Child Loop BB55_7 Depth 2
	s_lshl_b32 s3, s7, 5
	v_ashrrev_i32_e32 v5, 31, v4
	v_add_nc_u32_e32 v14, s3, v1
	v_ashrrev_i32_e32 v9, 31, v8
	s_sub_i32 s26, s30, s3
	s_cmp_lt_i32 s26, 1
	v_ashrrev_i32_e32 v15, 31, v14
	s_cbranch_scc1 .LBB55_43
; %bb.5:                                ;   in Loop: Header=BB55_4 Depth=1
	v_lshlrev_b64 v[18:19], 3, v[4:5]
	v_sub_co_u32 v16, s3, v8, v4
	v_sub_co_ci_u32_e64 v17, null, v9, v5, s3
	v_lshlrev_b64 v[20:21], 3, v[8:9]
	v_add_co_u32 v13, s3, 0x80, v18
	v_add_co_ci_u32_e64 v22, null, 0, v19, s3
	v_mad_u64_u32 v[18:19], null, s22, v8, s[42:43]
	v_mul_lo_u32 v28, s22, v9
	v_mul_lo_u32 v29, s23, v8
	;; [unrolled: 1-line block ×4, first 2 shown]
	v_mad_u64_u32 v[22:23], null, s16, v13, s[12:13]
	v_add_co_u32 v13, s3, 0x80, v20
	v_add_co_ci_u32_e64 v26, null, 0, v21, s3
	v_mad_u64_u32 v[24:25], null, s14, v4, s[12:13]
	v_mul_lo_u32 v32, s14, v5
	v_mul_lo_u32 v33, s15, v4
	;; [unrolled: 1-line block ×4, first 2 shown]
	v_mad_u64_u32 v[26:27], null, s24, v13, s[20:21]
	v_add3_u32 v19, v29, v19, v28
	v_add_co_u32 v28, s3, v14, 16
	v_add_co_ci_u32_e64 v29, null, 0, v15, s3
	v_add3_u32 v23, v31, v23, v30
	v_add_co_u32 v30, s5, v16, 16
	v_add3_u32 v25, v33, v25, v32
	v_add_co_ci_u32_e64 v31, null, 0, v17, s5
	v_add_co_u32 v32, s5, v16, -16
	v_add3_u32 v27, v35, v27, v34
	v_cmp_le_i64_e64 s4, s[30:31], v[28:29]
	v_mov_b32_e32 v36, 0
	v_mov_b32_e32 v38, 0
	;; [unrolled: 1-line block ×5, first 2 shown]
	v_cmp_le_i32_e64 s3, s30, v14
	v_add_co_ci_u32_e64 v33, null, -1, v17, s5
	v_mov_b32_e32 v37, 0
	v_mov_b32_e32 v39, 0
	;; [unrolled: 1-line block ×5, first 2 shown]
	s_mov_b64 s[18:19], 0
	s_branch .LBB55_7
.LBB55_6:                               ;   in Loop: Header=BB55_7 Depth=2
	s_or_b32 exec_lo, exec_lo, s5
	s_waitcnt lgkmcnt(0)
	s_barrier
	buffer_gl0_inv
	ds_read_b128 v[44:47], v50
	ds_read2_b64 v[54:57], v52 offset1:16
	ds_read_b128 v[58:61], v50 offset:4096
	ds_read_b128 v[62:65], v50 offset:16
	ds_read2_b64 v[66:69], v52 offset0:32 offset1:48
	ds_read_b128 v[70:73], v50 offset:4112
	v_add_nc_u32_e32 v13, 0x800, v52
	v_add_co_u32 v34, s5, v34, s38
	v_add_co_ci_u32_e64 v35, null, s39, v35, s5
	v_add_co_u32 v22, s5, v22, s36
	v_add_co_ci_u32_e64 v23, null, s37, v23, s5
	;; [unrolled: 2-line block ×3, first 2 shown]
	s_add_u32 s18, s18, 32
	s_addc_u32 s19, s19, 0
	s_waitcnt lgkmcnt(4)
	v_fma_f64 v[42:43], v[54:55], v[44:45], v[42:43]
	v_fma_f64 v[40:41], v[56:57], v[44:45], v[40:41]
	s_waitcnt lgkmcnt(3)
	v_fma_f64 v[44:45], v[54:55], v[58:59], v[38:39]
	v_fma_f64 v[48:49], v[56:57], v[58:59], v[36:37]
	ds_read2_b64 v[36:39], v52 offset0:64 offset1:80
	s_cmp_ge_i32 s18, s26
	s_waitcnt lgkmcnt(2)
	v_fma_f64 v[54:55], v[66:67], v[46:47], v[42:43]
	v_fma_f64 v[46:47], v[68:69], v[46:47], v[40:41]
	;; [unrolled: 1-line block ×4, first 2 shown]
	ds_read2_b64 v[40:43], v52 offset0:96 offset1:112
	s_waitcnt lgkmcnt(1)
	v_fma_f64 v[54:55], v[36:37], v[62:63], v[54:55]
	v_fma_f64 v[56:57], v[38:39], v[62:63], v[46:47]
	;; [unrolled: 1-line block ×4, first 2 shown]
	ds_read_b128 v[36:39], v50 offset:32
	ds_read2_b64 v[44:47], v52 offset0:128 offset1:144
	s_waitcnt lgkmcnt(2)
	v_fma_f64 v[66:67], v[40:41], v[64:65], v[54:55]
	v_fma_f64 v[68:69], v[42:43], v[64:65], v[56:57]
	;; [unrolled: 1-line block ×4, first 2 shown]
	ds_read_b128 v[40:43], v50 offset:4128
	ds_read_b128 v[54:57], v50 offset:48
	ds_read2_b64 v[58:61], v52 offset0:160 offset1:176
	ds_read_b128 v[62:65], v50 offset:4144
	s_waitcnt lgkmcnt(4)
	v_fma_f64 v[66:67], v[44:45], v[36:37], v[66:67]
	v_fma_f64 v[36:37], v[46:47], v[36:37], v[68:69]
	s_waitcnt lgkmcnt(3)
	v_fma_f64 v[68:69], v[44:45], v[40:41], v[70:71]
	v_fma_f64 v[40:41], v[46:47], v[40:41], v[48:49]
	ds_read2_b64 v[44:47], v52 offset0:192 offset1:208
	s_waitcnt lgkmcnt(2)
	v_fma_f64 v[48:49], v[58:59], v[38:39], v[66:67]
	v_fma_f64 v[66:67], v[60:61], v[38:39], v[36:37]
	;; [unrolled: 1-line block ×4, first 2 shown]
	ds_read2_b64 v[36:39], v52 offset0:224 offset1:240
	s_waitcnt lgkmcnt(1)
	v_fma_f64 v[48:49], v[44:45], v[54:55], v[48:49]
	v_fma_f64 v[54:55], v[46:47], v[54:55], v[66:67]
	;; [unrolled: 1-line block ×4, first 2 shown]
	ds_read_b128 v[40:43], v50 offset:64
	ds_read2_b64 v[44:47], v13 offset1:16
	s_waitcnt lgkmcnt(2)
	v_fma_f64 v[48:49], v[36:37], v[56:57], v[48:49]
	v_fma_f64 v[66:67], v[38:39], v[56:57], v[54:55]
	;; [unrolled: 1-line block ×4, first 2 shown]
	ds_read_b128 v[36:39], v50 offset:4160
	ds_read_b128 v[54:57], v50 offset:80
	;; [unrolled: 1-line block ×3, first 2 shown]
	ds_read2_b64 v[62:65], v13 offset0:32 offset1:48
	s_waitcnt lgkmcnt(4)
	v_fma_f64 v[48:49], v[44:45], v[40:41], v[48:49]
	v_fma_f64 v[40:41], v[46:47], v[40:41], v[66:67]
	s_waitcnt lgkmcnt(3)
	v_fma_f64 v[66:67], v[44:45], v[36:37], v[68:69]
	v_fma_f64 v[36:37], v[46:47], v[36:37], v[70:71]
	ds_read2_b64 v[44:47], v13 offset0:64 offset1:80
	s_waitcnt lgkmcnt(1)
	v_fma_f64 v[48:49], v[62:63], v[42:43], v[48:49]
	v_fma_f64 v[40:41], v[64:65], v[42:43], v[40:41]
	;; [unrolled: 1-line block ×4, first 2 shown]
	ds_read2_b64 v[36:39], v13 offset0:96 offset1:112
	s_waitcnt lgkmcnt(1)
	v_fma_f64 v[48:49], v[44:45], v[54:55], v[48:49]
	v_fma_f64 v[54:55], v[46:47], v[54:55], v[40:41]
	;; [unrolled: 1-line block ×4, first 2 shown]
	ds_read_b128 v[40:43], v50 offset:96
	ds_read2_b64 v[44:47], v13 offset0:128 offset1:144
	s_waitcnt lgkmcnt(2)
	v_fma_f64 v[48:49], v[36:37], v[56:57], v[48:49]
	v_fma_f64 v[66:67], v[38:39], v[56:57], v[54:55]
	;; [unrolled: 1-line block ×4, first 2 shown]
	ds_read_b128 v[36:39], v50 offset:4192
	ds_read_b128 v[54:57], v50 offset:112
	;; [unrolled: 1-line block ×3, first 2 shown]
	ds_read2_b64 v[62:65], v13 offset0:160 offset1:176
	s_waitcnt lgkmcnt(4)
	v_fma_f64 v[48:49], v[44:45], v[40:41], v[48:49]
	v_fma_f64 v[40:41], v[46:47], v[40:41], v[66:67]
	s_waitcnt lgkmcnt(3)
	v_fma_f64 v[66:67], v[44:45], v[36:37], v[68:69]
	v_fma_f64 v[36:37], v[46:47], v[36:37], v[70:71]
	ds_read2_b64 v[44:47], v13 offset0:192 offset1:208
	s_waitcnt lgkmcnt(1)
	v_fma_f64 v[48:49], v[62:63], v[42:43], v[48:49]
	v_fma_f64 v[40:41], v[64:65], v[42:43], v[40:41]
	;; [unrolled: 1-line block ×4, first 2 shown]
	ds_read2_b64 v[36:39], v13 offset0:224 offset1:240
	v_add_nc_u32_e32 v13, 0x1000, v52
	s_waitcnt lgkmcnt(1)
	v_fma_f64 v[48:49], v[44:45], v[54:55], v[48:49]
	v_fma_f64 v[54:55], v[46:47], v[54:55], v[40:41]
	;; [unrolled: 1-line block ×4, first 2 shown]
	ds_read_b128 v[40:43], v50 offset:128
	ds_read2_b64 v[44:47], v13 offset1:16
	s_waitcnt lgkmcnt(2)
	v_fma_f64 v[48:49], v[36:37], v[56:57], v[48:49]
	v_fma_f64 v[66:67], v[38:39], v[56:57], v[54:55]
	;; [unrolled: 1-line block ×4, first 2 shown]
	ds_read_b128 v[36:39], v50 offset:4224
	ds_read_b128 v[54:57], v50 offset:144
	ds_read_b128 v[58:61], v50 offset:4240
	ds_read2_b64 v[62:65], v13 offset0:32 offset1:48
	s_waitcnt lgkmcnt(4)
	v_fma_f64 v[48:49], v[44:45], v[40:41], v[48:49]
	v_fma_f64 v[40:41], v[46:47], v[40:41], v[66:67]
	s_waitcnt lgkmcnt(3)
	v_fma_f64 v[66:67], v[44:45], v[36:37], v[68:69]
	v_fma_f64 v[36:37], v[46:47], v[36:37], v[70:71]
	ds_read2_b64 v[44:47], v13 offset0:64 offset1:80
	s_waitcnt lgkmcnt(1)
	v_fma_f64 v[48:49], v[62:63], v[42:43], v[48:49]
	v_fma_f64 v[40:41], v[64:65], v[42:43], v[40:41]
	;; [unrolled: 1-line block ×4, first 2 shown]
	ds_read2_b64 v[36:39], v13 offset0:96 offset1:112
	s_waitcnt lgkmcnt(1)
	v_fma_f64 v[48:49], v[44:45], v[54:55], v[48:49]
	v_fma_f64 v[54:55], v[46:47], v[54:55], v[40:41]
	;; [unrolled: 1-line block ×4, first 2 shown]
	ds_read_b128 v[40:43], v50 offset:160
	ds_read2_b64 v[44:47], v13 offset0:128 offset1:144
	s_waitcnt lgkmcnt(2)
	v_fma_f64 v[48:49], v[36:37], v[56:57], v[48:49]
	v_fma_f64 v[66:67], v[38:39], v[56:57], v[54:55]
	;; [unrolled: 1-line block ×4, first 2 shown]
	ds_read_b128 v[36:39], v50 offset:4256
	ds_read_b128 v[54:57], v50 offset:176
	;; [unrolled: 1-line block ×3, first 2 shown]
	ds_read2_b64 v[62:65], v13 offset0:160 offset1:176
	s_waitcnt lgkmcnt(4)
	v_fma_f64 v[48:49], v[44:45], v[40:41], v[48:49]
	v_fma_f64 v[40:41], v[46:47], v[40:41], v[66:67]
	s_waitcnt lgkmcnt(3)
	v_fma_f64 v[66:67], v[44:45], v[36:37], v[68:69]
	v_fma_f64 v[36:37], v[46:47], v[36:37], v[70:71]
	ds_read2_b64 v[44:47], v13 offset0:192 offset1:208
	s_waitcnt lgkmcnt(1)
	v_fma_f64 v[48:49], v[62:63], v[42:43], v[48:49]
	v_fma_f64 v[40:41], v[64:65], v[42:43], v[40:41]
	;; [unrolled: 1-line block ×4, first 2 shown]
	ds_read2_b64 v[36:39], v13 offset0:224 offset1:240
	v_add_nc_u32_e32 v13, 0x1800, v52
	s_waitcnt lgkmcnt(1)
	v_fma_f64 v[48:49], v[44:45], v[54:55], v[48:49]
	v_fma_f64 v[54:55], v[46:47], v[54:55], v[40:41]
	v_fma_f64 v[64:65], v[44:45], v[58:59], v[42:43]
	v_fma_f64 v[58:59], v[46:47], v[58:59], v[62:63]
	ds_read_b128 v[40:43], v50 offset:192
	ds_read2_b64 v[44:47], v13 offset1:16
	s_waitcnt lgkmcnt(2)
	v_fma_f64 v[48:49], v[36:37], v[56:57], v[48:49]
	v_fma_f64 v[66:67], v[38:39], v[56:57], v[54:55]
	;; [unrolled: 1-line block ×4, first 2 shown]
	ds_read_b128 v[36:39], v50 offset:4288
	ds_read_b128 v[54:57], v50 offset:208
	;; [unrolled: 1-line block ×3, first 2 shown]
	ds_read2_b64 v[62:65], v13 offset0:32 offset1:48
	s_waitcnt lgkmcnt(4)
	v_fma_f64 v[48:49], v[44:45], v[40:41], v[48:49]
	v_fma_f64 v[40:41], v[46:47], v[40:41], v[66:67]
	s_waitcnt lgkmcnt(3)
	v_fma_f64 v[66:67], v[44:45], v[36:37], v[68:69]
	v_fma_f64 v[36:37], v[46:47], v[36:37], v[70:71]
	ds_read2_b64 v[44:47], v13 offset0:64 offset1:80
	s_waitcnt lgkmcnt(1)
	v_fma_f64 v[48:49], v[62:63], v[42:43], v[48:49]
	v_fma_f64 v[40:41], v[64:65], v[42:43], v[40:41]
	;; [unrolled: 1-line block ×4, first 2 shown]
	ds_read2_b64 v[36:39], v13 offset0:96 offset1:112
	s_waitcnt lgkmcnt(1)
	v_fma_f64 v[48:49], v[44:45], v[54:55], v[48:49]
	v_fma_f64 v[54:55], v[46:47], v[54:55], v[40:41]
	;; [unrolled: 1-line block ×4, first 2 shown]
	ds_read_b128 v[40:43], v50 offset:224
	ds_read2_b64 v[44:47], v13 offset0:128 offset1:144
	s_waitcnt lgkmcnt(2)
	v_fma_f64 v[48:49], v[36:37], v[56:57], v[48:49]
	v_fma_f64 v[66:67], v[38:39], v[56:57], v[54:55]
	;; [unrolled: 1-line block ×4, first 2 shown]
	ds_read_b128 v[36:39], v50 offset:4320
	ds_read_b128 v[54:57], v50 offset:240
	;; [unrolled: 1-line block ×3, first 2 shown]
	ds_read2_b64 v[62:65], v13 offset0:160 offset1:176
	s_waitcnt lgkmcnt(4)
	v_fma_f64 v[48:49], v[44:45], v[40:41], v[48:49]
	v_fma_f64 v[40:41], v[46:47], v[40:41], v[66:67]
	s_waitcnt lgkmcnt(3)
	v_fma_f64 v[66:67], v[44:45], v[36:37], v[68:69]
	v_fma_f64 v[36:37], v[46:47], v[36:37], v[70:71]
	ds_read2_b64 v[44:47], v13 offset0:192 offset1:208
	s_waitcnt lgkmcnt(1)
	v_fma_f64 v[48:49], v[62:63], v[42:43], v[48:49]
	v_fma_f64 v[40:41], v[64:65], v[42:43], v[40:41]
	;; [unrolled: 1-line block ×4, first 2 shown]
	ds_read2_b64 v[62:65], v13 offset0:224 offset1:240
	s_waitcnt lgkmcnt(0)
	s_barrier
	buffer_gl0_inv
	v_fma_f64 v[38:39], v[44:45], v[54:55], v[48:49]
	v_fma_f64 v[40:41], v[46:47], v[54:55], v[40:41]
	;; [unrolled: 1-line block ×8, first 2 shown]
	s_cbranch_scc1 .LBB55_44
.LBB55_7:                               ;   Parent Loop BB55_4 Depth=1
                                        ; =>  This Inner Loop Header: Depth=2
	v_add_co_u32 v44, s5, v4, s18
	v_add_co_ci_u32_e64 v45, null, s19, v5, s5
	v_cmp_eq_u64_e64 s8, s[18:19], v[16:17]
	v_add_co_u32 v46, s9, v24, v20
	v_cmp_lt_i64_e64 s5, v[44:45], v[14:15]
	v_cmp_le_i64_e64 s6, s[30:31], v[44:45]
	v_add_co_ci_u32_e64 v47, null, v25, v21, s9
	s_and_b32 s27, s46, s8
                                        ; implicit-def: $vgpr48_vgpr49
	s_or_b32 s9, s3, s5
	s_or_b32 s8, s6, s9
	s_nor_b32 s8, s8, s27
	s_and_saveexec_b32 s9, s8
	s_xor_b32 s8, exec_lo, s9
	s_cbranch_execz .LBB55_9
; %bb.8:                                ;   in Loop: Header=BB55_7 Depth=2
	global_load_dwordx2 v[48:49], v[46:47], off
.LBB55_9:                               ;   in Loop: Header=BB55_7 Depth=2
	s_andn2_saveexec_b32 s8, s8
	s_cbranch_execz .LBB55_11
; %bb.10:                               ;   in Loop: Header=BB55_7 Depth=2
	v_cndmask_b32_e64 v13, 0, 0x3ff00000, s27
	s_waitcnt vmcnt(0)
	v_mov_b32_e32 v49, v13
	v_mov_b32_e32 v48, v12
.LBB55_11:                              ;   in Loop: Header=BB55_7 Depth=2
	s_or_b32 exec_lo, exec_lo, s8
	v_add_co_u32 v54, s8, v44, 16
	v_add_co_ci_u32_e64 v55, null, 0, v45, s8
	v_cmp_eq_u64_e64 s10, s[18:19], v[32:33]
	s_waitcnt vmcnt(0)
	ds_write_b64 v51, v[48:49]
	v_cmp_lt_i64_e64 s9, v[54:55], v[14:15]
	v_cmp_le_i64_e64 s8, s[30:31], v[54:55]
	s_and_b32 s10, s46, s10
	s_or_b32 s9, s3, s9
	s_or_b32 s9, s8, s9
	s_nor_b32 s9, s9, s10
	s_and_saveexec_b32 s48, s9
	s_xor_b32 s48, exec_lo, s48
	s_cbranch_execz .LBB55_13
; %bb.12:                               ;   in Loop: Header=BB55_7 Depth=2
	v_add_co_u32 v48, s9, v22, v20
	v_add_co_ci_u32_e64 v49, null, v23, v21, s9
	global_load_dwordx2 v[48:49], v[48:49], off
	s_waitcnt vmcnt(0)
	ds_write_b64 v51, v[48:49] offset:128
.LBB55_13:                              ;   in Loop: Header=BB55_7 Depth=2
	s_andn2_saveexec_b32 s9, s48
	s_cbranch_execz .LBB55_19
; %bb.14:                               ;   in Loop: Header=BB55_7 Depth=2
	s_xor_b32 s10, s10, -1
	s_and_saveexec_b32 s48, s10
	s_xor_b32 s10, exec_lo, s48
; %bb.15:                               ;   in Loop: Header=BB55_7 Depth=2
	v_mov_b32_e32 v13, v12
	ds_write_b64 v51, v[12:13] offset:128
; %bb.16:                               ;   in Loop: Header=BB55_7 Depth=2
	s_andn2_saveexec_b32 s10, s10
; %bb.17:                               ;   in Loop: Header=BB55_7 Depth=2
	v_mov_b32_e32 v13, v0
	ds_write_b64 v51, v[12:13] offset:128
; %bb.18:                               ;   in Loop: Header=BB55_7 Depth=2
	s_or_b32 exec_lo, exec_lo, s10
.LBB55_19:                              ;   in Loop: Header=BB55_7 Depth=2
	s_or_b32 exec_lo, exec_lo, s9
	v_cmp_eq_u64_e64 s9, s[18:19], v[30:31]
	v_cmp_lt_i64_e64 s10, v[44:45], v[28:29]
                                        ; implicit-def: $vgpr44_vgpr45
	s_and_b32 s9, s46, s9
	s_or_b32 s10, s4, s10
	s_or_b32 s10, s10, s9
	s_nor_b32 s6, s6, s10
	s_and_saveexec_b32 s10, s6
	s_xor_b32 s6, exec_lo, s10
	s_cbranch_execz .LBB55_21
; %bb.20:                               ;   in Loop: Header=BB55_7 Depth=2
	global_load_dwordx2 v[44:45], v[46:47], off offset:128
.LBB55_21:                              ;   in Loop: Header=BB55_7 Depth=2
	s_andn2_saveexec_b32 s6, s6
	s_cbranch_execz .LBB55_23
; %bb.22:                               ;   in Loop: Header=BB55_7 Depth=2
	v_cndmask_b32_e64 v13, 0, 0x3ff00000, s9
	s_waitcnt vmcnt(0)
	v_mov_b32_e32 v45, v13
	v_mov_b32_e32 v44, v12
.LBB55_23:                              ;   in Loop: Header=BB55_7 Depth=2
	s_or_b32 exec_lo, exec_lo, s6
	s_or_b32 s5, s4, s5
	s_waitcnt vmcnt(0)
	ds_write_b64 v51, v[44:45] offset:4096
	s_or_b32 s5, s8, s5
	s_nor_b32 s5, s5, s27
	s_and_saveexec_b32 s6, s5
	s_xor_b32 s6, exec_lo, s6
	s_cbranch_execz .LBB55_25
; %bb.24:                               ;   in Loop: Header=BB55_7 Depth=2
	v_add_co_u32 v44, s5, v22, v20
	v_add_co_ci_u32_e64 v45, null, v23, v21, s5
	global_load_dwordx2 v[44:45], v[44:45], off offset:128
	s_waitcnt vmcnt(0)
	ds_write_b64 v51, v[44:45] offset:4224
.LBB55_25:                              ;   in Loop: Header=BB55_7 Depth=2
	s_andn2_saveexec_b32 s5, s6
	s_cbranch_execz .LBB55_31
; %bb.26:                               ;   in Loop: Header=BB55_7 Depth=2
	s_xor_b32 s6, s27, -1
	s_and_saveexec_b32 s8, s6
	s_xor_b32 s6, exec_lo, s8
; %bb.27:                               ;   in Loop: Header=BB55_7 Depth=2
	v_mov_b32_e32 v13, v12
	ds_write_b64 v51, v[12:13] offset:4224
; %bb.28:                               ;   in Loop: Header=BB55_7 Depth=2
	s_andn2_saveexec_b32 s6, s6
; %bb.29:                               ;   in Loop: Header=BB55_7 Depth=2
	v_mov_b32_e32 v13, v0
	ds_write_b64 v51, v[12:13] offset:4224
; %bb.30:                               ;   in Loop: Header=BB55_7 Depth=2
	s_or_b32 exec_lo, exec_lo, s6
.LBB55_31:                              ;   in Loop: Header=BB55_7 Depth=2
	s_or_b32 exec_lo, exec_lo, s5
	v_add_co_u32 v44, s5, v8, s18
	v_add_co_ci_u32_e64 v45, null, s19, v9, s5
	v_add_co_u32 v46, s6, v18, v34
	v_mov_b32_e32 v48, 0
	v_cmp_le_i64_e64 s5, s[30:31], v[44:45]
	v_mov_b32_e32 v49, 0
	v_add_co_ci_u32_e64 v47, null, v19, v35, s6
	s_nor_b32 s8, s5, s1
	s_and_saveexec_b32 s6, s8
	s_cbranch_execz .LBB55_33
; %bb.32:                               ;   in Loop: Header=BB55_7 Depth=2
	global_load_dwordx2 v[48:49], v[46:47], off offset:-128
.LBB55_33:                              ;   in Loop: Header=BB55_7 Depth=2
	s_or_b32 exec_lo, exec_lo, s6
	s_nor_b32 s5, s5, s2
	s_waitcnt vmcnt(0)
	ds_write_b64 v53, v[48:49]
	s_and_saveexec_b32 s6, s5
	s_xor_b32 s5, exec_lo, s6
	s_cbranch_execz .LBB55_35
; %bb.34:                               ;   in Loop: Header=BB55_7 Depth=2
	global_load_dwordx2 v[46:47], v[46:47], off
	s_waitcnt vmcnt(0)
	ds_write_b64 v53, v[46:47] offset:128
.LBB55_35:                              ;   in Loop: Header=BB55_7 Depth=2
	s_andn2_saveexec_b32 s5, s5
; %bb.36:                               ;   in Loop: Header=BB55_7 Depth=2
	v_mov_b32_e32 v13, v12
	ds_write_b64 v53, v[12:13] offset:128
; %bb.37:                               ;   in Loop: Header=BB55_7 Depth=2
	s_or_b32 exec_lo, exec_lo, s5
	v_cmp_le_i64_e64 s5, s[28:29], v[44:45]
	v_add_co_u32 v44, s6, v26, v34
	v_mov_b32_e32 v46, 0
	v_mov_b32_e32 v47, 0
	v_add_co_ci_u32_e64 v45, null, v27, v35, s6
	s_nor_b32 s8, s5, s1
	s_and_saveexec_b32 s6, s8
	s_cbranch_execz .LBB55_39
; %bb.38:                               ;   in Loop: Header=BB55_7 Depth=2
	global_load_dwordx2 v[46:47], v[44:45], off
.LBB55_39:                              ;   in Loop: Header=BB55_7 Depth=2
	s_or_b32 exec_lo, exec_lo, s6
	s_nor_b32 s5, s5, s2
	s_waitcnt vmcnt(0)
	ds_write_b64 v53, v[46:47] offset:4096
	s_and_saveexec_b32 s6, s5
	s_xor_b32 s5, exec_lo, s6
	s_cbranch_execz .LBB55_41
; %bb.40:                               ;   in Loop: Header=BB55_7 Depth=2
	global_load_dwordx2 v[44:45], v[44:45], off offset:128
	s_waitcnt vmcnt(0)
	ds_write_b64 v53, v[44:45] offset:4224
.LBB55_41:                              ;   in Loop: Header=BB55_7 Depth=2
	s_andn2_saveexec_b32 s5, s5
	s_cbranch_execz .LBB55_6
; %bb.42:                               ;   in Loop: Header=BB55_7 Depth=2
	v_mov_b32_e32 v13, v12
	ds_write_b64 v53, v[12:13] offset:4224
	s_branch .LBB55_6
.LBB55_43:                              ;   in Loop: Header=BB55_4 Depth=1
	v_mov_b32_e32 v42, 0
	v_mov_b32_e32 v40, 0
	;; [unrolled: 1-line block ×8, first 2 shown]
.LBB55_44:                              ;   in Loop: Header=BB55_4 Depth=1
	v_mul_lo_u32 v5, s41, v14
	v_mul_lo_u32 v9, s40, v15
	v_mad_u64_u32 v[15:16], null, s40, v14, 0
	v_cmp_gt_i32_e64 s3, s30, v14
	v_add3_u32 v16, v16, v9, v5
	v_lshlrev_b64 v[15:16], 3, v[15:16]
	v_add_co_u32 v5, s4, s44, v15
	v_add_co_ci_u32_e64 v9, null, s45, v16, s4
	s_and_b32 s4, vcc_lo, s3
	s_and_saveexec_b32 s5, s4
	s_cbranch_execz .LBB55_46
; %bb.45:                               ;   in Loop: Header=BB55_4 Depth=1
	v_add_co_u32 v15, s4, v5, v6
	v_add_co_ci_u32_e64 v16, null, v9, v7, s4
	global_load_dwordx2 v[17:18], v[15:16], off
	s_waitcnt vmcnt(0)
	v_fma_f64 v[17:18], s[34:35], v[42:43], v[17:18]
	global_store_dwordx2 v[15:16], v[17:18], off
.LBB55_46:                              ;   in Loop: Header=BB55_4 Depth=1
	s_or_b32 exec_lo, exec_lo, s5
	s_and_b32 s3, s0, s3
	s_and_saveexec_b32 s4, s3
	s_cbranch_execz .LBB55_48
; %bb.47:                               ;   in Loop: Header=BB55_4 Depth=1
	v_lshlrev_b64 v[15:16], 3, v[2:3]
	v_add_co_u32 v15, s3, v5, v15
	v_add_co_ci_u32_e64 v16, null, v9, v16, s3
	global_load_dwordx2 v[17:18], v[15:16], off
	s_waitcnt vmcnt(0)
	v_fma_f64 v[17:18], s[34:35], v[40:41], v[17:18]
	global_store_dwordx2 v[15:16], v[17:18], off
.LBB55_48:                              ;   in Loop: Header=BB55_4 Depth=1
	s_or_b32 exec_lo, exec_lo, s4
	v_add_nc_u32_e32 v5, 16, v14
	v_ashrrev_i32_e32 v9, 31, v5
	v_mul_lo_u32 v15, s41, v5
	v_mad_u64_u32 v[13:14], null, s40, v5, 0
	v_cmp_gt_i32_e64 s3, s30, v5
	v_mul_lo_u32 v9, s40, v9
	v_add3_u32 v14, v14, v9, v15
	v_lshlrev_b64 v[13:14], 3, v[13:14]
	v_add_co_u32 v5, s4, s44, v13
	v_add_co_ci_u32_e64 v9, null, s45, v14, s4
	s_and_b32 s4, vcc_lo, s3
	s_and_saveexec_b32 s5, s4
	s_cbranch_execz .LBB55_50
; %bb.49:                               ;   in Loop: Header=BB55_4 Depth=1
	v_add_co_u32 v13, s4, v5, v6
	v_add_co_ci_u32_e64 v14, null, v9, v7, s4
	global_load_dwordx2 v[15:16], v[13:14], off
	s_waitcnt vmcnt(0)
	v_fma_f64 v[15:16], s[34:35], v[38:39], v[15:16]
	global_store_dwordx2 v[13:14], v[15:16], off
.LBB55_50:                              ;   in Loop: Header=BB55_4 Depth=1
	s_or_b32 exec_lo, exec_lo, s5
	s_and_b32 s3, s0, s3
	s_and_saveexec_b32 s4, s3
	s_cbranch_execz .LBB55_3
; %bb.51:                               ;   in Loop: Header=BB55_4 Depth=1
	v_lshlrev_b64 v[13:14], 3, v[2:3]
	v_add_co_u32 v13, s3, v5, v13
	v_add_co_ci_u32_e64 v14, null, v9, v14, s3
	global_load_dwordx2 v[15:16], v[13:14], off
	s_waitcnt vmcnt(0)
	v_fma_f64 v[15:16], s[34:35], v[36:37], v[15:16]
	global_store_dwordx2 v[13:14], v[15:16], off
	s_branch .LBB55_3
.LBB55_52:
	s_endpgm
	.section	.rodata,"a",@progbits
	.p2align	6, 0x0
	.amdhsa_kernel _ZL30rocblas_trmm_outofplace_kernelIdLi32ELi2ELb0ELb1ELb1ELb0EdKddEv17rocblas_diagonal_iiT6_lPT7_lllS4_lllPT8_llli
		.amdhsa_group_segment_fixed_size 16384
		.amdhsa_private_segment_fixed_size 0
		.amdhsa_kernarg_size 392
		.amdhsa_user_sgpr_count 6
		.amdhsa_user_sgpr_private_segment_buffer 1
		.amdhsa_user_sgpr_dispatch_ptr 0
		.amdhsa_user_sgpr_queue_ptr 0
		.amdhsa_user_sgpr_kernarg_segment_ptr 1
		.amdhsa_user_sgpr_dispatch_id 0
		.amdhsa_user_sgpr_flat_scratch_init 0
		.amdhsa_user_sgpr_private_segment_size 0
		.amdhsa_wavefront_size32 1
		.amdhsa_uses_dynamic_stack 0
		.amdhsa_system_sgpr_private_segment_wavefront_offset 0
		.amdhsa_system_sgpr_workgroup_id_x 1
		.amdhsa_system_sgpr_workgroup_id_y 1
		.amdhsa_system_sgpr_workgroup_id_z 1
		.amdhsa_system_sgpr_workgroup_info 0
		.amdhsa_system_vgpr_workitem_id 1
		.amdhsa_next_free_vgpr 74
		.amdhsa_next_free_sgpr 49
		.amdhsa_reserve_vcc 1
		.amdhsa_reserve_flat_scratch 0
		.amdhsa_float_round_mode_32 0
		.amdhsa_float_round_mode_16_64 0
		.amdhsa_float_denorm_mode_32 3
		.amdhsa_float_denorm_mode_16_64 3
		.amdhsa_dx10_clamp 1
		.amdhsa_ieee_mode 1
		.amdhsa_fp16_overflow 0
		.amdhsa_workgroup_processor_mode 1
		.amdhsa_memory_ordered 1
		.amdhsa_forward_progress 1
		.amdhsa_shared_vgpr_count 0
		.amdhsa_exception_fp_ieee_invalid_op 0
		.amdhsa_exception_fp_denorm_src 0
		.amdhsa_exception_fp_ieee_div_zero 0
		.amdhsa_exception_fp_ieee_overflow 0
		.amdhsa_exception_fp_ieee_underflow 0
		.amdhsa_exception_fp_ieee_inexact 0
		.amdhsa_exception_int_div_zero 0
	.end_amdhsa_kernel
	.section	.text._ZL30rocblas_trmm_outofplace_kernelIdLi32ELi2ELb0ELb1ELb1ELb0EdKddEv17rocblas_diagonal_iiT6_lPT7_lllS4_lllPT8_llli,"axG",@progbits,_ZL30rocblas_trmm_outofplace_kernelIdLi32ELi2ELb0ELb1ELb1ELb0EdKddEv17rocblas_diagonal_iiT6_lPT7_lllS4_lllPT8_llli,comdat
.Lfunc_end55:
	.size	_ZL30rocblas_trmm_outofplace_kernelIdLi32ELi2ELb0ELb1ELb1ELb0EdKddEv17rocblas_diagonal_iiT6_lPT7_lllS4_lllPT8_llli, .Lfunc_end55-_ZL30rocblas_trmm_outofplace_kernelIdLi32ELi2ELb0ELb1ELb1ELb0EdKddEv17rocblas_diagonal_iiT6_lPT7_lllS4_lllPT8_llli
                                        ; -- End function
	.set _ZL30rocblas_trmm_outofplace_kernelIdLi32ELi2ELb0ELb1ELb1ELb0EdKddEv17rocblas_diagonal_iiT6_lPT7_lllS4_lllPT8_llli.num_vgpr, 74
	.set _ZL30rocblas_trmm_outofplace_kernelIdLi32ELi2ELb0ELb1ELb1ELb0EdKddEv17rocblas_diagonal_iiT6_lPT7_lllS4_lllPT8_llli.num_agpr, 0
	.set _ZL30rocblas_trmm_outofplace_kernelIdLi32ELi2ELb0ELb1ELb1ELb0EdKddEv17rocblas_diagonal_iiT6_lPT7_lllS4_lllPT8_llli.numbered_sgpr, 49
	.set _ZL30rocblas_trmm_outofplace_kernelIdLi32ELi2ELb0ELb1ELb1ELb0EdKddEv17rocblas_diagonal_iiT6_lPT7_lllS4_lllPT8_llli.num_named_barrier, 0
	.set _ZL30rocblas_trmm_outofplace_kernelIdLi32ELi2ELb0ELb1ELb1ELb0EdKddEv17rocblas_diagonal_iiT6_lPT7_lllS4_lllPT8_llli.private_seg_size, 0
	.set _ZL30rocblas_trmm_outofplace_kernelIdLi32ELi2ELb0ELb1ELb1ELb0EdKddEv17rocblas_diagonal_iiT6_lPT7_lllS4_lllPT8_llli.uses_vcc, 1
	.set _ZL30rocblas_trmm_outofplace_kernelIdLi32ELi2ELb0ELb1ELb1ELb0EdKddEv17rocblas_diagonal_iiT6_lPT7_lllS4_lllPT8_llli.uses_flat_scratch, 0
	.set _ZL30rocblas_trmm_outofplace_kernelIdLi32ELi2ELb0ELb1ELb1ELb0EdKddEv17rocblas_diagonal_iiT6_lPT7_lllS4_lllPT8_llli.has_dyn_sized_stack, 0
	.set _ZL30rocblas_trmm_outofplace_kernelIdLi32ELi2ELb0ELb1ELb1ELb0EdKddEv17rocblas_diagonal_iiT6_lPT7_lllS4_lllPT8_llli.has_recursion, 0
	.set _ZL30rocblas_trmm_outofplace_kernelIdLi32ELi2ELb0ELb1ELb1ELb0EdKddEv17rocblas_diagonal_iiT6_lPT7_lllS4_lllPT8_llli.has_indirect_call, 0
	.section	.AMDGPU.csdata,"",@progbits
; Kernel info:
; codeLenInByte = 3800
; TotalNumSgprs: 51
; NumVgprs: 74
; ScratchSize: 0
; MemoryBound: 0
; FloatMode: 240
; IeeeMode: 1
; LDSByteSize: 16384 bytes/workgroup (compile time only)
; SGPRBlocks: 0
; VGPRBlocks: 9
; NumSGPRsForWavesPerEU: 51
; NumVGPRsForWavesPerEU: 74
; Occupancy: 12
; WaveLimiterHint : 0
; COMPUTE_PGM_RSRC2:SCRATCH_EN: 0
; COMPUTE_PGM_RSRC2:USER_SGPR: 6
; COMPUTE_PGM_RSRC2:TRAP_HANDLER: 0
; COMPUTE_PGM_RSRC2:TGID_X_EN: 1
; COMPUTE_PGM_RSRC2:TGID_Y_EN: 1
; COMPUTE_PGM_RSRC2:TGID_Z_EN: 1
; COMPUTE_PGM_RSRC2:TIDIG_COMP_CNT: 1
	.section	.text._ZL30rocblas_trmm_outofplace_kernelIdLi32ELi2ELb0ELb0ELb1ELb1EPKdS0_dEv17rocblas_diagonal_iiT6_lPT7_lllS5_lllPT8_llli,"axG",@progbits,_ZL30rocblas_trmm_outofplace_kernelIdLi32ELi2ELb0ELb0ELb1ELb1EPKdS0_dEv17rocblas_diagonal_iiT6_lPT7_lllS5_lllPT8_llli,comdat
	.globl	_ZL30rocblas_trmm_outofplace_kernelIdLi32ELi2ELb0ELb0ELb1ELb1EPKdS0_dEv17rocblas_diagonal_iiT6_lPT7_lllS5_lllPT8_llli ; -- Begin function _ZL30rocblas_trmm_outofplace_kernelIdLi32ELi2ELb0ELb0ELb1ELb1EPKdS0_dEv17rocblas_diagonal_iiT6_lPT7_lllS5_lllPT8_llli
	.p2align	8
	.type	_ZL30rocblas_trmm_outofplace_kernelIdLi32ELi2ELb0ELb0ELb1ELb1EPKdS0_dEv17rocblas_diagonal_iiT6_lPT7_lllS5_lllPT8_llli,@function
_ZL30rocblas_trmm_outofplace_kernelIdLi32ELi2ELb0ELb0ELb1ELb1EPKdS0_dEv17rocblas_diagonal_iiT6_lPT7_lllS5_lllPT8_llli: ; @_ZL30rocblas_trmm_outofplace_kernelIdLi32ELi2ELb0ELb0ELb1ELb1EPKdS0_dEv17rocblas_diagonal_iiT6_lPT7_lllS5_lllPT8_llli
; %bb.0:
	s_load_dwordx16 s[12:27], s[4:5], 0x10
	s_waitcnt lgkmcnt(0)
	s_mul_i32 s0, s15, s8
	s_mul_hi_u32 s1, s14, s8
	s_add_i32 s1, s1, s0
	s_mul_i32 s0, s14, s8
	s_lshl_b64 s[0:1], s[0:1], 3
	s_add_u32 s0, s12, s0
	s_addc_u32 s1, s13, s1
	s_load_dwordx2 s[34:35], s[0:1], 0x0
	s_waitcnt lgkmcnt(0)
	v_cmp_eq_f64_e64 s0, s[34:35], 0
	s_and_b32 vcc_lo, exec_lo, s0
	s_cbranch_vccnz .LBB56_51
; %bb.1:
	s_load_dwordx4 s[12:15], s[4:5], 0x0
	s_waitcnt lgkmcnt(0)
	s_add_i32 s0, s14, -1
	s_ashr_i32 s1, s0, 31
	s_lshr_b32 s1, s1, 27
	s_add_i32 s0, s0, s1
	s_ashr_i32 s11, s0, 5
	s_cmp_gt_i32 s7, s11
	s_cbranch_scc1 .LBB56_51
; %bb.2:
	s_clause 0x1
	s_load_dwordx8 s[36:43], s[4:5], 0x50
	s_load_dwordx4 s[28:31], s[4:5], 0x70
	s_mul_i32 s1, s23, s8
	s_mul_hi_u32 s2, s22, s8
	s_mul_i32 s0, s22, s8
	s_add_i32 s1, s2, s1
	v_mad_u64_u32 v[2:3], null, s20, v0, 0
	s_lshl_b64 s[0:1], s[0:1], 3
	s_load_dword s33, s[4:5], 0x8c
	s_add_u32 s9, s16, s0
	s_addc_u32 s10, s17, s1
	s_lshl_b64 s[2:3], s[18:19], 3
	v_lshl_add_u32 v14, s6, 5, v0
	s_add_u32 s15, s9, s2
	s_addc_u32 s10, s10, s3
	v_mad_u64_u32 v[3:4], null, s21, v0, v[3:4]
	v_ashrrev_i32_e32 v15, 31, v14
	v_lshlrev_b32_e32 v10, 3, v0
	s_waitcnt lgkmcnt(0)
	s_mul_i32 s5, s39, s8
	s_mul_hi_u32 s9, s38, s8
	s_mul_i32 s4, s38, s8
	s_add_i32 s5, s9, s5
	s_mul_i32 s9, s31, s8
	s_lshl_b64 s[4:5], s[4:5], 3
	s_mul_hi_u32 s18, s30, s8
	s_add_u32 s19, s24, s4
	s_addc_u32 s22, s25, s5
	s_lshl_b64 s[4:5], s[26:27], 3
	s_mul_i32 s8, s30, s8
	s_add_u32 s19, s19, s4
	s_addc_u32 s22, s22, s5
	s_add_i32 s9, s18, s9
	v_mad_u64_u32 v[16:17], null, s36, v1, 0
	v_lshlrev_b64 v[6:7], 3, v[2:3]
	s_lshl_b64 s[4:5], s[8:9], 3
	v_lshlrev_b64 v[4:5], 3, v[14:15]
	s_add_u32 s6, s40, s4
	s_addc_u32 s8, s41, s5
	s_lshl_b64 s[4:5], s[42:43], 3
	v_add_co_u32 v6, vcc_lo, s15, v6
	s_add_u32 s26, s6, s4
	s_addc_u32 s27, s8, s5
	v_mov_b32_e32 v3, v17
	v_add_co_ci_u32_e64 v7, null, s10, v7, vcc_lo
	s_cmpk_eq_i32 s12, 0x84
	v_add_co_u32 v8, vcc_lo, s19, v4
	v_add_co_ci_u32_e64 v9, null, s22, v5, vcc_lo
	s_cselect_b32 s30, -1, 0
	s_ashr_i32 s15, s14, 31
	s_ashr_i32 s4, s13, 31
	s_lshl_b64 s[18:19], s[20:21], 8
	s_lshl_b64 s[22:23], s[36:37], 8
	s_add_u32 s24, s14, -16
	s_addc_u32 s25, s15, -1
	s_lshl_b32 s31, s33, 5
	v_mad_u64_u32 v[21:22], null, s37, v1, v[3:4]
	v_lshlrev_b32_e32 v49, 8, v1
	v_add_nc_u32_e32 v22, 0x80, v10
	s_add_u32 s2, s16, s2
	s_addc_u32 s3, s17, s3
	v_lshl_add_u32 v23, v1, 3, 0x80
	s_add_u32 s0, s2, s0
	s_addc_u32 s1, s3, s1
	v_add_nc_u32_e32 v50, v49, v10
	v_or_b32_e32 v51, 0x2000, v10
	v_mad_u64_u32 v[10:11], null, s20, v22, s[0:1]
	v_mad_u64_u32 v[12:13], null, s36, v23, 0
	v_sub_co_u32 v18, vcc_lo, s13, v14
	v_mov_b32_e32 v17, v21
	v_sub_co_ci_u32_e64 v19, null, s4, v15, vcc_lo
	v_mov_b32_e32 v3, v11
	v_mov_b32_e32 v11, v13
	v_add_nc_u32_e32 v20, 16, v14
	v_cmp_gt_i32_e64 s1, s13, v14
	v_lshlrev_b64 v[14:15], 3, v[16:17]
	v_mad_u64_u32 v[16:17], null, s21, v22, v[3:4]
	v_cmp_gt_i64_e32 vcc_lo, 1, v[18:19]
	v_cmp_gt_i64_e64 s0, 17, v[18:19]
	v_mad_u64_u32 v[17:18], null, s37, v23, v[11:12]
	v_ashrrev_i32_e32 v21, 31, v20
	v_sub_co_u32 v53, s3, 0, v0
	v_sub_co_ci_u32_e64 v54, null, 0, 0, s3
	v_add_co_u32 v55, s3, 0x80, v14
	v_add_co_ci_u32_e64 v56, null, 0, v15, s3
	v_mov_b32_e32 v11, v16
	v_lshlrev_b64 v[15:16], 3, v[20:21]
	v_mov_b32_e32 v2, 0
	v_add_nc_u32_e32 v52, v51, v49
	v_cmp_gt_i32_e64 s2, s13, v20
	v_lshl_add_u32 v13, s7, 5, v1
	v_mov_b32_e32 v57, v17
	v_mov_b32_e32 v58, 0x3ff00000
	s_branch .LBB56_4
.LBB56_3:                               ;   in Loop: Header=BB56_4 Depth=1
	s_or_b32 exec_lo, exec_lo, s4
	v_add_nc_u32_e32 v13, s31, v13
	s_add_i32 s7, s33, s7
	s_cmp_le_i32 s7, s11
	s_cbranch_scc0 .LBB56_51
.LBB56_4:                               ; =>This Loop Header: Depth=1
                                        ;     Child Loop BB56_7 Depth 2
	s_lshl_b32 s16, s7, 5
	v_mov_b32_e32 v41, 0
	v_add_nc_u32_e32 v17, s16, v1
	v_mov_b32_e32 v39, 0
	v_mov_b32_e32 v37, 0
	;; [unrolled: 1-line block ×7, first 2 shown]
	v_ashrrev_i32_e32 v18, 31, v17
	s_cmp_lt_i32 s7, 0
	s_cbranch_scc1 .LBB56_43
; %bb.5:                                ;   in Loop: Header=BB56_4 Depth=1
	v_ashrrev_i32_e32 v14, 31, v13
	v_add_co_u32 v19, s3, v17, 16
	v_add_co_ci_u32_e64 v20, null, 0, v18, s3
	v_add_co_u32 v21, s3, v53, v13
	v_add_co_ci_u32_e64 v22, null, v54, v14, s3
	v_lshlrev_b64 v[23:24], 3, v[13:14]
	v_add_co_u32 v25, s5, v21, 16
	v_add_co_ci_u32_e64 v26, null, 0, v22, s5
	v_add_co_u32 v27, s5, v21, -16
	v_cmp_le_i64_e64 s4, s[14:15], v[19:20]
	v_mov_b32_e32 v35, 0
	v_mov_b32_e32 v30, v7
	;; [unrolled: 1-line block ×7, first 2 shown]
	v_cmp_le_i32_e64 s3, s14, v17
	v_add_co_ci_u32_e64 v28, null, -1, v22, s5
	v_mov_b32_e32 v36, 0
	v_mov_b32_e32 v29, v6
	v_mov_b32_e32 v31, v10
	v_mov_b32_e32 v38, 0
	v_mov_b32_e32 v40, 0
	v_mov_b32_e32 v42, 0
	v_mov_b32_e32 v33, v8
	s_mov_b64 s[12:13], 0
	s_branch .LBB56_7
.LBB56_6:                               ;   in Loop: Header=BB56_7 Depth=2
	s_or_b32 exec_lo, exec_lo, s5
	s_waitcnt lgkmcnt(0)
	s_barrier
	buffer_gl0_inv
	ds_read_b128 v[43:46], v49
	ds_read2_b64 v[59:62], v51 offset1:16
	ds_read_b128 v[63:66], v49 offset:4096
	ds_read_b128 v[67:70], v49 offset:16
	ds_read2_b64 v[71:74], v51 offset0:32 offset1:48
	ds_read_b128 v[75:78], v49 offset:4112
	v_add_nc_u32_e32 v3, 0x800, v51
	v_add_co_u32 v33, s5, v33, s22
	v_add_co_ci_u32_e64 v34, null, s23, v34, s5
	v_add_co_u32 v31, s5, v31, s18
	v_add_co_ci_u32_e64 v32, null, s19, v32, s5
	v_add_co_u32 v29, s5, v29, s18
	s_add_u32 s12, s12, 32
	v_add_co_ci_u32_e64 v30, null, s19, v30, s5
	s_addc_u32 s13, s13, 0
	s_waitcnt lgkmcnt(4)
	v_fma_f64 v[41:42], v[59:60], v[43:44], v[41:42]
	v_fma_f64 v[39:40], v[61:62], v[43:44], v[39:40]
	s_waitcnt lgkmcnt(3)
	v_fma_f64 v[43:44], v[59:60], v[63:64], v[37:38]
	v_fma_f64 v[47:48], v[61:62], v[63:64], v[35:36]
	ds_read2_b64 v[35:38], v51 offset0:64 offset1:80
	s_sub_i32 s6, s12, 32
	s_cmp_ge_i32 s6, s16
	s_waitcnt lgkmcnt(2)
	v_fma_f64 v[59:60], v[71:72], v[45:46], v[41:42]
	v_fma_f64 v[45:46], v[73:74], v[45:46], v[39:40]
	;; [unrolled: 1-line block ×4, first 2 shown]
	ds_read2_b64 v[39:42], v51 offset0:96 offset1:112
	s_waitcnt lgkmcnt(1)
	v_fma_f64 v[59:60], v[35:36], v[67:68], v[59:60]
	v_fma_f64 v[61:62], v[37:38], v[67:68], v[45:46]
	;; [unrolled: 1-line block ×4, first 2 shown]
	ds_read_b128 v[35:38], v49 offset:32
	ds_read2_b64 v[43:46], v51 offset0:128 offset1:144
	s_waitcnt lgkmcnt(2)
	v_fma_f64 v[71:72], v[39:40], v[69:70], v[59:60]
	v_fma_f64 v[73:74], v[41:42], v[69:70], v[61:62]
	;; [unrolled: 1-line block ×4, first 2 shown]
	ds_read_b128 v[39:42], v49 offset:4128
	ds_read_b128 v[59:62], v49 offset:48
	ds_read2_b64 v[63:66], v51 offset0:160 offset1:176
	ds_read_b128 v[67:70], v49 offset:4144
	s_waitcnt lgkmcnt(4)
	v_fma_f64 v[71:72], v[43:44], v[35:36], v[71:72]
	v_fma_f64 v[35:36], v[45:46], v[35:36], v[73:74]
	s_waitcnt lgkmcnt(3)
	v_fma_f64 v[73:74], v[43:44], v[39:40], v[75:76]
	v_fma_f64 v[39:40], v[45:46], v[39:40], v[47:48]
	ds_read2_b64 v[43:46], v51 offset0:192 offset1:208
	s_waitcnt lgkmcnt(2)
	v_fma_f64 v[47:48], v[63:64], v[37:38], v[71:72]
	v_fma_f64 v[71:72], v[65:66], v[37:38], v[35:36]
	;; [unrolled: 1-line block ×4, first 2 shown]
	ds_read2_b64 v[35:38], v51 offset0:224 offset1:240
	s_waitcnt lgkmcnt(1)
	v_fma_f64 v[47:48], v[43:44], v[59:60], v[47:48]
	v_fma_f64 v[59:60], v[45:46], v[59:60], v[71:72]
	;; [unrolled: 1-line block ×4, first 2 shown]
	ds_read_b128 v[39:42], v49 offset:64
	ds_read2_b64 v[43:46], v3 offset1:16
	s_waitcnt lgkmcnt(2)
	v_fma_f64 v[47:48], v[35:36], v[61:62], v[47:48]
	v_fma_f64 v[71:72], v[37:38], v[61:62], v[59:60]
	;; [unrolled: 1-line block ×4, first 2 shown]
	ds_read_b128 v[35:38], v49 offset:4160
	ds_read_b128 v[59:62], v49 offset:80
	;; [unrolled: 1-line block ×3, first 2 shown]
	ds_read2_b64 v[67:70], v3 offset0:32 offset1:48
	s_waitcnt lgkmcnt(4)
	v_fma_f64 v[47:48], v[43:44], v[39:40], v[47:48]
	v_fma_f64 v[39:40], v[45:46], v[39:40], v[71:72]
	s_waitcnt lgkmcnt(3)
	v_fma_f64 v[71:72], v[43:44], v[35:36], v[73:74]
	v_fma_f64 v[35:36], v[45:46], v[35:36], v[75:76]
	ds_read2_b64 v[43:46], v3 offset0:64 offset1:80
	s_waitcnt lgkmcnt(1)
	v_fma_f64 v[47:48], v[67:68], v[41:42], v[47:48]
	v_fma_f64 v[39:40], v[69:70], v[41:42], v[39:40]
	;; [unrolled: 1-line block ×4, first 2 shown]
	ds_read2_b64 v[35:38], v3 offset0:96 offset1:112
	s_waitcnt lgkmcnt(1)
	v_fma_f64 v[47:48], v[43:44], v[59:60], v[47:48]
	v_fma_f64 v[59:60], v[45:46], v[59:60], v[39:40]
	;; [unrolled: 1-line block ×4, first 2 shown]
	ds_read_b128 v[39:42], v49 offset:96
	ds_read2_b64 v[43:46], v3 offset0:128 offset1:144
	s_waitcnt lgkmcnt(2)
	v_fma_f64 v[47:48], v[35:36], v[61:62], v[47:48]
	v_fma_f64 v[71:72], v[37:38], v[61:62], v[59:60]
	v_fma_f64 v[73:74], v[35:36], v[65:66], v[69:70]
	v_fma_f64 v[75:76], v[37:38], v[65:66], v[63:64]
	ds_read_b128 v[35:38], v49 offset:4192
	ds_read_b128 v[59:62], v49 offset:112
	;; [unrolled: 1-line block ×3, first 2 shown]
	ds_read2_b64 v[67:70], v3 offset0:160 offset1:176
	s_waitcnt lgkmcnt(4)
	v_fma_f64 v[47:48], v[43:44], v[39:40], v[47:48]
	v_fma_f64 v[39:40], v[45:46], v[39:40], v[71:72]
	s_waitcnt lgkmcnt(3)
	v_fma_f64 v[71:72], v[43:44], v[35:36], v[73:74]
	v_fma_f64 v[35:36], v[45:46], v[35:36], v[75:76]
	ds_read2_b64 v[43:46], v3 offset0:192 offset1:208
	s_waitcnt lgkmcnt(1)
	v_fma_f64 v[47:48], v[67:68], v[41:42], v[47:48]
	v_fma_f64 v[39:40], v[69:70], v[41:42], v[39:40]
	;; [unrolled: 1-line block ×4, first 2 shown]
	ds_read2_b64 v[35:38], v3 offset0:224 offset1:240
	v_add_nc_u32_e32 v3, 0x1000, v51
	s_waitcnt lgkmcnt(1)
	v_fma_f64 v[47:48], v[43:44], v[59:60], v[47:48]
	v_fma_f64 v[59:60], v[45:46], v[59:60], v[39:40]
	;; [unrolled: 1-line block ×4, first 2 shown]
	ds_read_b128 v[39:42], v49 offset:128
	ds_read2_b64 v[43:46], v3 offset1:16
	s_waitcnt lgkmcnt(2)
	v_fma_f64 v[47:48], v[35:36], v[61:62], v[47:48]
	v_fma_f64 v[71:72], v[37:38], v[61:62], v[59:60]
	;; [unrolled: 1-line block ×4, first 2 shown]
	ds_read_b128 v[35:38], v49 offset:4224
	ds_read_b128 v[59:62], v49 offset:144
	;; [unrolled: 1-line block ×3, first 2 shown]
	ds_read2_b64 v[67:70], v3 offset0:32 offset1:48
	s_waitcnt lgkmcnt(4)
	v_fma_f64 v[47:48], v[43:44], v[39:40], v[47:48]
	v_fma_f64 v[39:40], v[45:46], v[39:40], v[71:72]
	s_waitcnt lgkmcnt(3)
	v_fma_f64 v[71:72], v[43:44], v[35:36], v[73:74]
	v_fma_f64 v[35:36], v[45:46], v[35:36], v[75:76]
	ds_read2_b64 v[43:46], v3 offset0:64 offset1:80
	s_waitcnt lgkmcnt(1)
	v_fma_f64 v[47:48], v[67:68], v[41:42], v[47:48]
	v_fma_f64 v[39:40], v[69:70], v[41:42], v[39:40]
	;; [unrolled: 1-line block ×4, first 2 shown]
	ds_read2_b64 v[35:38], v3 offset0:96 offset1:112
	s_waitcnt lgkmcnt(1)
	v_fma_f64 v[47:48], v[43:44], v[59:60], v[47:48]
	v_fma_f64 v[59:60], v[45:46], v[59:60], v[39:40]
	;; [unrolled: 1-line block ×4, first 2 shown]
	ds_read_b128 v[39:42], v49 offset:160
	ds_read2_b64 v[43:46], v3 offset0:128 offset1:144
	s_waitcnt lgkmcnt(2)
	v_fma_f64 v[47:48], v[35:36], v[61:62], v[47:48]
	v_fma_f64 v[71:72], v[37:38], v[61:62], v[59:60]
	;; [unrolled: 1-line block ×4, first 2 shown]
	ds_read_b128 v[35:38], v49 offset:4256
	ds_read_b128 v[59:62], v49 offset:176
	;; [unrolled: 1-line block ×3, first 2 shown]
	ds_read2_b64 v[67:70], v3 offset0:160 offset1:176
	s_waitcnt lgkmcnt(4)
	v_fma_f64 v[47:48], v[43:44], v[39:40], v[47:48]
	v_fma_f64 v[39:40], v[45:46], v[39:40], v[71:72]
	s_waitcnt lgkmcnt(3)
	v_fma_f64 v[71:72], v[43:44], v[35:36], v[73:74]
	v_fma_f64 v[35:36], v[45:46], v[35:36], v[75:76]
	ds_read2_b64 v[43:46], v3 offset0:192 offset1:208
	s_waitcnt lgkmcnt(1)
	v_fma_f64 v[47:48], v[67:68], v[41:42], v[47:48]
	v_fma_f64 v[39:40], v[69:70], v[41:42], v[39:40]
	;; [unrolled: 1-line block ×4, first 2 shown]
	ds_read2_b64 v[35:38], v3 offset0:224 offset1:240
	v_add_nc_u32_e32 v3, 0x1800, v51
	s_waitcnt lgkmcnt(1)
	v_fma_f64 v[47:48], v[43:44], v[59:60], v[47:48]
	v_fma_f64 v[59:60], v[45:46], v[59:60], v[39:40]
	;; [unrolled: 1-line block ×4, first 2 shown]
	ds_read_b128 v[39:42], v49 offset:192
	ds_read2_b64 v[43:46], v3 offset1:16
	s_waitcnt lgkmcnt(2)
	v_fma_f64 v[47:48], v[35:36], v[61:62], v[47:48]
	v_fma_f64 v[71:72], v[37:38], v[61:62], v[59:60]
	;; [unrolled: 1-line block ×4, first 2 shown]
	ds_read_b128 v[35:38], v49 offset:4288
	ds_read_b128 v[59:62], v49 offset:208
	;; [unrolled: 1-line block ×3, first 2 shown]
	ds_read2_b64 v[67:70], v3 offset0:32 offset1:48
	s_waitcnt lgkmcnt(4)
	v_fma_f64 v[47:48], v[43:44], v[39:40], v[47:48]
	v_fma_f64 v[39:40], v[45:46], v[39:40], v[71:72]
	s_waitcnt lgkmcnt(3)
	v_fma_f64 v[71:72], v[43:44], v[35:36], v[73:74]
	v_fma_f64 v[35:36], v[45:46], v[35:36], v[75:76]
	ds_read2_b64 v[43:46], v3 offset0:64 offset1:80
	s_waitcnt lgkmcnt(1)
	v_fma_f64 v[47:48], v[67:68], v[41:42], v[47:48]
	v_fma_f64 v[39:40], v[69:70], v[41:42], v[39:40]
	;; [unrolled: 1-line block ×4, first 2 shown]
	ds_read2_b64 v[35:38], v3 offset0:96 offset1:112
	s_waitcnt lgkmcnt(1)
	v_fma_f64 v[47:48], v[43:44], v[59:60], v[47:48]
	v_fma_f64 v[59:60], v[45:46], v[59:60], v[39:40]
	;; [unrolled: 1-line block ×4, first 2 shown]
	ds_read_b128 v[39:42], v49 offset:224
	ds_read2_b64 v[43:46], v3 offset0:128 offset1:144
	s_waitcnt lgkmcnt(2)
	v_fma_f64 v[47:48], v[35:36], v[61:62], v[47:48]
	v_fma_f64 v[71:72], v[37:38], v[61:62], v[59:60]
	;; [unrolled: 1-line block ×4, first 2 shown]
	ds_read_b128 v[35:38], v49 offset:4320
	ds_read_b128 v[59:62], v49 offset:240
	;; [unrolled: 1-line block ×3, first 2 shown]
	ds_read2_b64 v[67:70], v3 offset0:160 offset1:176
	s_waitcnt lgkmcnt(4)
	v_fma_f64 v[47:48], v[43:44], v[39:40], v[47:48]
	v_fma_f64 v[39:40], v[45:46], v[39:40], v[71:72]
	s_waitcnt lgkmcnt(3)
	v_fma_f64 v[71:72], v[43:44], v[35:36], v[73:74]
	v_fma_f64 v[35:36], v[45:46], v[35:36], v[75:76]
	ds_read2_b64 v[43:46], v3 offset0:192 offset1:208
	s_waitcnt lgkmcnt(1)
	v_fma_f64 v[47:48], v[67:68], v[41:42], v[47:48]
	v_fma_f64 v[39:40], v[69:70], v[41:42], v[39:40]
	;; [unrolled: 1-line block ×4, first 2 shown]
	ds_read2_b64 v[67:70], v3 offset0:224 offset1:240
	s_waitcnt lgkmcnt(0)
	s_barrier
	buffer_gl0_inv
	v_fma_f64 v[37:38], v[43:44], v[59:60], v[47:48]
	v_fma_f64 v[39:40], v[45:46], v[59:60], v[39:40]
	;; [unrolled: 1-line block ×8, first 2 shown]
	s_cbranch_scc1 .LBB56_43
.LBB56_7:                               ;   Parent Loop BB56_4 Depth=1
                                        ; =>  This Inner Loop Header: Depth=2
	v_add_co_u32 v43, s5, v0, s12
	v_add_co_ci_u32_e64 v44, null, 0, s13, s5
	v_cmp_eq_u64_e64 s8, s[12:13], v[21:22]
                                        ; implicit-def: $vgpr47_vgpr48
	v_cmp_gt_i64_e64 s5, v[43:44], v[17:18]
	v_cmp_le_i64_e64 s6, s[14:15], v[43:44]
	s_and_b32 s17, s30, s8
	v_add_co_u32 v45, s8, v29, v23
	s_or_b32 s9, s3, s5
	v_add_co_ci_u32_e64 v46, null, v30, v24, s8
	s_or_b32 s8, s9, s17
	s_nor_b32 s8, s6, s8
	s_and_saveexec_b32 s9, s8
	s_xor_b32 s8, exec_lo, s9
	s_cbranch_execz .LBB56_9
; %bb.8:                                ;   in Loop: Header=BB56_7 Depth=2
	global_load_dwordx2 v[47:48], v[45:46], off
.LBB56_9:                               ;   in Loop: Header=BB56_7 Depth=2
	s_andn2_saveexec_b32 s8, s8
	s_cbranch_execz .LBB56_11
; %bb.10:                               ;   in Loop: Header=BB56_7 Depth=2
	v_cndmask_b32_e64 v3, 0, 0x3ff00000, s17
	s_waitcnt vmcnt(0)
	v_mov_b32_e32 v48, v3
	v_mov_b32_e32 v47, v2
.LBB56_11:                              ;   in Loop: Header=BB56_7 Depth=2
	s_or_b32 exec_lo, exec_lo, s8
	v_add_co_u32 v59, s8, v43, 16
	v_add_co_ci_u32_e64 v60, null, 0, v44, s8
	v_cmp_eq_u64_e64 s9, s[12:13], v[27:28]
	s_waitcnt vmcnt(0)
	ds_write_b64 v50, v[47:48]
	v_cmp_gt_i64_e64 s10, v[59:60], v[17:18]
	v_cmp_le_i64_e64 s8, s[14:15], v[59:60]
	s_and_b32 s20, s30, s9
	s_or_b32 s9, s3, s10
	s_or_b32 s9, s9, s20
	s_nor_b32 s9, s8, s9
	s_and_saveexec_b32 s10, s9
	s_xor_b32 s10, exec_lo, s10
	s_cbranch_execz .LBB56_13
; %bb.12:                               ;   in Loop: Header=BB56_7 Depth=2
	v_add_co_u32 v47, s9, v31, v23
	v_add_co_ci_u32_e64 v48, null, v32, v24, s9
	global_load_dwordx2 v[47:48], v[47:48], off
	s_waitcnt vmcnt(0)
	ds_write_b64 v50, v[47:48] offset:128
.LBB56_13:                              ;   in Loop: Header=BB56_7 Depth=2
	s_andn2_saveexec_b32 s9, s10
	s_cbranch_execz .LBB56_19
; %bb.14:                               ;   in Loop: Header=BB56_7 Depth=2
	s_xor_b32 s10, s20, -1
	s_and_saveexec_b32 s20, s10
	s_xor_b32 s10, exec_lo, s20
; %bb.15:                               ;   in Loop: Header=BB56_7 Depth=2
	v_mov_b32_e32 v3, v2
	ds_write_b64 v50, v[2:3] offset:128
; %bb.16:                               ;   in Loop: Header=BB56_7 Depth=2
	s_andn2_saveexec_b32 s10, s10
; %bb.17:                               ;   in Loop: Header=BB56_7 Depth=2
	v_mov_b32_e32 v3, v58
	ds_write_b64 v50, v[2:3] offset:128
; %bb.18:                               ;   in Loop: Header=BB56_7 Depth=2
	s_or_b32 exec_lo, exec_lo, s10
.LBB56_19:                              ;   in Loop: Header=BB56_7 Depth=2
	s_or_b32 exec_lo, exec_lo, s9
	v_cmp_eq_u64_e64 s9, s[12:13], v[25:26]
	v_cmp_gt_i64_e64 s10, v[43:44], v[19:20]
                                        ; implicit-def: $vgpr43_vgpr44
	s_and_b32 s9, s30, s9
	s_or_b32 s10, s4, s10
	s_or_b32 s10, s10, s9
	s_nor_b32 s6, s6, s10
	s_and_saveexec_b32 s10, s6
	s_xor_b32 s6, exec_lo, s10
	s_cbranch_execz .LBB56_21
; %bb.20:                               ;   in Loop: Header=BB56_7 Depth=2
	global_load_dwordx2 v[43:44], v[45:46], off offset:128
.LBB56_21:                              ;   in Loop: Header=BB56_7 Depth=2
	s_andn2_saveexec_b32 s6, s6
	s_cbranch_execz .LBB56_23
; %bb.22:                               ;   in Loop: Header=BB56_7 Depth=2
	v_cndmask_b32_e64 v3, 0, 0x3ff00000, s9
	s_waitcnt vmcnt(0)
	v_mov_b32_e32 v44, v3
	v_mov_b32_e32 v43, v2
.LBB56_23:                              ;   in Loop: Header=BB56_7 Depth=2
	s_or_b32 exec_lo, exec_lo, s6
	s_or_b32 s5, s4, s5
	s_waitcnt vmcnt(0)
	ds_write_b64 v50, v[43:44] offset:4096
	s_or_b32 s5, s5, s17
	s_nor_b32 s5, s8, s5
	s_and_saveexec_b32 s6, s5
	s_xor_b32 s6, exec_lo, s6
	s_cbranch_execz .LBB56_25
; %bb.24:                               ;   in Loop: Header=BB56_7 Depth=2
	v_add_co_u32 v43, s5, v31, v23
	v_add_co_ci_u32_e64 v44, null, v32, v24, s5
	global_load_dwordx2 v[43:44], v[43:44], off offset:128
	s_waitcnt vmcnt(0)
	ds_write_b64 v50, v[43:44] offset:4224
.LBB56_25:                              ;   in Loop: Header=BB56_7 Depth=2
	s_andn2_saveexec_b32 s5, s6
	s_cbranch_execz .LBB56_31
; %bb.26:                               ;   in Loop: Header=BB56_7 Depth=2
	s_xor_b32 s6, s17, -1
	s_and_saveexec_b32 s8, s6
	s_xor_b32 s6, exec_lo, s8
; %bb.27:                               ;   in Loop: Header=BB56_7 Depth=2
	v_mov_b32_e32 v3, v2
	ds_write_b64 v50, v[2:3] offset:4224
; %bb.28:                               ;   in Loop: Header=BB56_7 Depth=2
	s_andn2_saveexec_b32 s6, s6
; %bb.29:                               ;   in Loop: Header=BB56_7 Depth=2
	v_mov_b32_e32 v3, v58
	ds_write_b64 v50, v[2:3] offset:4224
; %bb.30:                               ;   in Loop: Header=BB56_7 Depth=2
	s_or_b32 exec_lo, exec_lo, s6
.LBB56_31:                              ;   in Loop: Header=BB56_7 Depth=2
	s_or_b32 exec_lo, exec_lo, s5
	v_add_co_u32 v43, s5, v1, s12
	v_add_co_ci_u32_e64 v44, null, 0, s13, s5
	v_add_co_u32 v45, s6, v33, v55
	v_mov_b32_e32 v47, 0
	v_cmp_le_i64_e64 s5, s[14:15], v[43:44]
	v_mov_b32_e32 v48, 0
	v_add_co_ci_u32_e64 v46, null, v34, v56, s6
	s_nor_b32 s8, s5, vcc_lo
	s_and_saveexec_b32 s6, s8
	s_cbranch_execz .LBB56_33
; %bb.32:                               ;   in Loop: Header=BB56_7 Depth=2
	global_load_dwordx2 v[47:48], v[45:46], off offset:-128
.LBB56_33:                              ;   in Loop: Header=BB56_7 Depth=2
	s_or_b32 exec_lo, exec_lo, s6
	s_nor_b32 s5, s5, s0
	s_waitcnt vmcnt(0)
	ds_write_b64 v52, v[47:48]
	s_and_saveexec_b32 s6, s5
	s_xor_b32 s5, exec_lo, s6
	s_cbranch_execz .LBB56_35
; %bb.34:                               ;   in Loop: Header=BB56_7 Depth=2
	global_load_dwordx2 v[45:46], v[45:46], off
	s_waitcnt vmcnt(0)
	ds_write_b64 v52, v[45:46] offset:128
.LBB56_35:                              ;   in Loop: Header=BB56_7 Depth=2
	s_andn2_saveexec_b32 s5, s5
; %bb.36:                               ;   in Loop: Header=BB56_7 Depth=2
	v_mov_b32_e32 v3, v2
	ds_write_b64 v52, v[2:3] offset:128
; %bb.37:                               ;   in Loop: Header=BB56_7 Depth=2
	s_or_b32 exec_lo, exec_lo, s5
	v_cmp_le_i64_e64 s5, s[24:25], v[43:44]
	v_add_co_u32 v43, s6, v33, v12
	v_mov_b32_e32 v45, 0
	v_mov_b32_e32 v46, 0
	v_add_co_ci_u32_e64 v44, null, v34, v57, s6
	s_nor_b32 s8, s5, vcc_lo
	s_and_saveexec_b32 s6, s8
	s_cbranch_execz .LBB56_39
; %bb.38:                               ;   in Loop: Header=BB56_7 Depth=2
	global_load_dwordx2 v[45:46], v[43:44], off
.LBB56_39:                              ;   in Loop: Header=BB56_7 Depth=2
	s_or_b32 exec_lo, exec_lo, s6
	s_nor_b32 s5, s5, s0
	s_waitcnt vmcnt(0)
	ds_write_b64 v52, v[45:46] offset:4096
	s_and_saveexec_b32 s6, s5
	s_xor_b32 s5, exec_lo, s6
	s_cbranch_execz .LBB56_41
; %bb.40:                               ;   in Loop: Header=BB56_7 Depth=2
	global_load_dwordx2 v[43:44], v[43:44], off offset:128
	s_waitcnt vmcnt(0)
	ds_write_b64 v52, v[43:44] offset:4224
.LBB56_41:                              ;   in Loop: Header=BB56_7 Depth=2
	s_andn2_saveexec_b32 s5, s5
	s_cbranch_execz .LBB56_6
; %bb.42:                               ;   in Loop: Header=BB56_7 Depth=2
	v_mov_b32_e32 v3, v2
	ds_write_b64 v52, v[2:3] offset:4224
	s_branch .LBB56_6
.LBB56_43:                              ;   in Loop: Header=BB56_4 Depth=1
	v_mul_lo_u32 v3, s29, v17
	v_mul_lo_u32 v14, s28, v18
	v_mad_u64_u32 v[18:19], null, s28, v17, 0
	v_cmp_gt_i32_e64 s3, s14, v17
	v_add3_u32 v19, v19, v14, v3
	v_lshlrev_b64 v[18:19], 3, v[18:19]
	v_add_co_u32 v3, s4, s26, v18
	v_add_co_ci_u32_e64 v14, null, s27, v19, s4
	s_and_b32 s4, s1, s3
	s_and_saveexec_b32 s5, s4
	s_cbranch_execz .LBB56_45
; %bb.44:                               ;   in Loop: Header=BB56_4 Depth=1
	v_add_co_u32 v18, s4, v3, v4
	v_add_co_ci_u32_e64 v19, null, v14, v5, s4
	global_load_dwordx2 v[20:21], v[18:19], off
	s_waitcnt vmcnt(0)
	v_fma_f64 v[20:21], s[34:35], v[41:42], v[20:21]
	global_store_dwordx2 v[18:19], v[20:21], off
.LBB56_45:                              ;   in Loop: Header=BB56_4 Depth=1
	s_or_b32 exec_lo, exec_lo, s5
	s_and_b32 s3, s2, s3
	s_and_saveexec_b32 s4, s3
	s_cbranch_execz .LBB56_47
; %bb.46:                               ;   in Loop: Header=BB56_4 Depth=1
	v_add_co_u32 v18, s3, v3, v15
	v_add_co_ci_u32_e64 v19, null, v14, v16, s3
	global_load_dwordx2 v[20:21], v[18:19], off
	s_waitcnt vmcnt(0)
	v_fma_f64 v[20:21], s[34:35], v[39:40], v[20:21]
	global_store_dwordx2 v[18:19], v[20:21], off
.LBB56_47:                              ;   in Loop: Header=BB56_4 Depth=1
	s_or_b32 exec_lo, exec_lo, s4
	v_add_nc_u32_e32 v3, 16, v17
	v_ashrrev_i32_e32 v14, 31, v3
	v_mul_lo_u32 v19, s29, v3
	v_mad_u64_u32 v[17:18], null, s28, v3, 0
	v_cmp_gt_i32_e64 s3, s14, v3
	v_mul_lo_u32 v14, s28, v14
	v_add3_u32 v18, v18, v14, v19
	v_lshlrev_b64 v[17:18], 3, v[17:18]
	v_add_co_u32 v3, s4, s26, v17
	v_add_co_ci_u32_e64 v14, null, s27, v18, s4
	s_and_b32 s4, s1, s3
	s_and_saveexec_b32 s5, s4
	s_cbranch_execz .LBB56_49
; %bb.48:                               ;   in Loop: Header=BB56_4 Depth=1
	v_add_co_u32 v17, s4, v3, v4
	v_add_co_ci_u32_e64 v18, null, v14, v5, s4
	global_load_dwordx2 v[19:20], v[17:18], off
	s_waitcnt vmcnt(0)
	v_fma_f64 v[19:20], s[34:35], v[37:38], v[19:20]
	global_store_dwordx2 v[17:18], v[19:20], off
.LBB56_49:                              ;   in Loop: Header=BB56_4 Depth=1
	s_or_b32 exec_lo, exec_lo, s5
	s_and_b32 s3, s2, s3
	s_and_saveexec_b32 s4, s3
	s_cbranch_execz .LBB56_3
; %bb.50:                               ;   in Loop: Header=BB56_4 Depth=1
	v_add_co_u32 v17, s3, v3, v15
	v_add_co_ci_u32_e64 v18, null, v14, v16, s3
	global_load_dwordx2 v[19:20], v[17:18], off
	s_waitcnt vmcnt(0)
	v_fma_f64 v[19:20], s[34:35], v[35:36], v[19:20]
	global_store_dwordx2 v[17:18], v[19:20], off
	s_branch .LBB56_3
.LBB56_51:
	s_endpgm
	.section	.rodata,"a",@progbits
	.p2align	6, 0x0
	.amdhsa_kernel _ZL30rocblas_trmm_outofplace_kernelIdLi32ELi2ELb0ELb0ELb1ELb1EPKdS0_dEv17rocblas_diagonal_iiT6_lPT7_lllS5_lllPT8_llli
		.amdhsa_group_segment_fixed_size 16384
		.amdhsa_private_segment_fixed_size 0
		.amdhsa_kernarg_size 392
		.amdhsa_user_sgpr_count 6
		.amdhsa_user_sgpr_private_segment_buffer 1
		.amdhsa_user_sgpr_dispatch_ptr 0
		.amdhsa_user_sgpr_queue_ptr 0
		.amdhsa_user_sgpr_kernarg_segment_ptr 1
		.amdhsa_user_sgpr_dispatch_id 0
		.amdhsa_user_sgpr_flat_scratch_init 0
		.amdhsa_user_sgpr_private_segment_size 0
		.amdhsa_wavefront_size32 1
		.amdhsa_uses_dynamic_stack 0
		.amdhsa_system_sgpr_private_segment_wavefront_offset 0
		.amdhsa_system_sgpr_workgroup_id_x 1
		.amdhsa_system_sgpr_workgroup_id_y 1
		.amdhsa_system_sgpr_workgroup_id_z 1
		.amdhsa_system_sgpr_workgroup_info 0
		.amdhsa_system_vgpr_workitem_id 1
		.amdhsa_next_free_vgpr 79
		.amdhsa_next_free_sgpr 44
		.amdhsa_reserve_vcc 1
		.amdhsa_reserve_flat_scratch 0
		.amdhsa_float_round_mode_32 0
		.amdhsa_float_round_mode_16_64 0
		.amdhsa_float_denorm_mode_32 3
		.amdhsa_float_denorm_mode_16_64 3
		.amdhsa_dx10_clamp 1
		.amdhsa_ieee_mode 1
		.amdhsa_fp16_overflow 0
		.amdhsa_workgroup_processor_mode 1
		.amdhsa_memory_ordered 1
		.amdhsa_forward_progress 1
		.amdhsa_shared_vgpr_count 0
		.amdhsa_exception_fp_ieee_invalid_op 0
		.amdhsa_exception_fp_denorm_src 0
		.amdhsa_exception_fp_ieee_div_zero 0
		.amdhsa_exception_fp_ieee_overflow 0
		.amdhsa_exception_fp_ieee_underflow 0
		.amdhsa_exception_fp_ieee_inexact 0
		.amdhsa_exception_int_div_zero 0
	.end_amdhsa_kernel
	.section	.text._ZL30rocblas_trmm_outofplace_kernelIdLi32ELi2ELb0ELb0ELb1ELb1EPKdS0_dEv17rocblas_diagonal_iiT6_lPT7_lllS5_lllPT8_llli,"axG",@progbits,_ZL30rocblas_trmm_outofplace_kernelIdLi32ELi2ELb0ELb0ELb1ELb1EPKdS0_dEv17rocblas_diagonal_iiT6_lPT7_lllS5_lllPT8_llli,comdat
.Lfunc_end56:
	.size	_ZL30rocblas_trmm_outofplace_kernelIdLi32ELi2ELb0ELb0ELb1ELb1EPKdS0_dEv17rocblas_diagonal_iiT6_lPT7_lllS5_lllPT8_llli, .Lfunc_end56-_ZL30rocblas_trmm_outofplace_kernelIdLi32ELi2ELb0ELb0ELb1ELb1EPKdS0_dEv17rocblas_diagonal_iiT6_lPT7_lllS5_lllPT8_llli
                                        ; -- End function
	.set _ZL30rocblas_trmm_outofplace_kernelIdLi32ELi2ELb0ELb0ELb1ELb1EPKdS0_dEv17rocblas_diagonal_iiT6_lPT7_lllS5_lllPT8_llli.num_vgpr, 79
	.set _ZL30rocblas_trmm_outofplace_kernelIdLi32ELi2ELb0ELb0ELb1ELb1EPKdS0_dEv17rocblas_diagonal_iiT6_lPT7_lllS5_lllPT8_llli.num_agpr, 0
	.set _ZL30rocblas_trmm_outofplace_kernelIdLi32ELi2ELb0ELb0ELb1ELb1EPKdS0_dEv17rocblas_diagonal_iiT6_lPT7_lllS5_lllPT8_llli.numbered_sgpr, 44
	.set _ZL30rocblas_trmm_outofplace_kernelIdLi32ELi2ELb0ELb0ELb1ELb1EPKdS0_dEv17rocblas_diagonal_iiT6_lPT7_lllS5_lllPT8_llli.num_named_barrier, 0
	.set _ZL30rocblas_trmm_outofplace_kernelIdLi32ELi2ELb0ELb0ELb1ELb1EPKdS0_dEv17rocblas_diagonal_iiT6_lPT7_lllS5_lllPT8_llli.private_seg_size, 0
	.set _ZL30rocblas_trmm_outofplace_kernelIdLi32ELi2ELb0ELb0ELb1ELb1EPKdS0_dEv17rocblas_diagonal_iiT6_lPT7_lllS5_lllPT8_llli.uses_vcc, 1
	.set _ZL30rocblas_trmm_outofplace_kernelIdLi32ELi2ELb0ELb0ELb1ELb1EPKdS0_dEv17rocblas_diagonal_iiT6_lPT7_lllS5_lllPT8_llli.uses_flat_scratch, 0
	.set _ZL30rocblas_trmm_outofplace_kernelIdLi32ELi2ELb0ELb0ELb1ELb1EPKdS0_dEv17rocblas_diagonal_iiT6_lPT7_lllS5_lllPT8_llli.has_dyn_sized_stack, 0
	.set _ZL30rocblas_trmm_outofplace_kernelIdLi32ELi2ELb0ELb0ELb1ELb1EPKdS0_dEv17rocblas_diagonal_iiT6_lPT7_lllS5_lllPT8_llli.has_recursion, 0
	.set _ZL30rocblas_trmm_outofplace_kernelIdLi32ELi2ELb0ELb0ELb1ELb1EPKdS0_dEv17rocblas_diagonal_iiT6_lPT7_lllS5_lllPT8_llli.has_indirect_call, 0
	.section	.AMDGPU.csdata,"",@progbits
; Kernel info:
; codeLenInByte = 3840
; TotalNumSgprs: 46
; NumVgprs: 79
; ScratchSize: 0
; MemoryBound: 0
; FloatMode: 240
; IeeeMode: 1
; LDSByteSize: 16384 bytes/workgroup (compile time only)
; SGPRBlocks: 0
; VGPRBlocks: 9
; NumSGPRsForWavesPerEU: 46
; NumVGPRsForWavesPerEU: 79
; Occupancy: 12
; WaveLimiterHint : 0
; COMPUTE_PGM_RSRC2:SCRATCH_EN: 0
; COMPUTE_PGM_RSRC2:USER_SGPR: 6
; COMPUTE_PGM_RSRC2:TRAP_HANDLER: 0
; COMPUTE_PGM_RSRC2:TGID_X_EN: 1
; COMPUTE_PGM_RSRC2:TGID_Y_EN: 1
; COMPUTE_PGM_RSRC2:TGID_Z_EN: 1
; COMPUTE_PGM_RSRC2:TIDIG_COMP_CNT: 1
	.section	.text._ZL30rocblas_trmm_outofplace_kernelIdLi32ELi2ELb0ELb0ELb1ELb1EdKddEv17rocblas_diagonal_iiT6_lPT7_lllS4_lllPT8_llli,"axG",@progbits,_ZL30rocblas_trmm_outofplace_kernelIdLi32ELi2ELb0ELb0ELb1ELb1EdKddEv17rocblas_diagonal_iiT6_lPT7_lllS4_lllPT8_llli,comdat
	.globl	_ZL30rocblas_trmm_outofplace_kernelIdLi32ELi2ELb0ELb0ELb1ELb1EdKddEv17rocblas_diagonal_iiT6_lPT7_lllS4_lllPT8_llli ; -- Begin function _ZL30rocblas_trmm_outofplace_kernelIdLi32ELi2ELb0ELb0ELb1ELb1EdKddEv17rocblas_diagonal_iiT6_lPT7_lllS4_lllPT8_llli
	.p2align	8
	.type	_ZL30rocblas_trmm_outofplace_kernelIdLi32ELi2ELb0ELb0ELb1ELb1EdKddEv17rocblas_diagonal_iiT6_lPT7_lllS4_lllPT8_llli,@function
_ZL30rocblas_trmm_outofplace_kernelIdLi32ELi2ELb0ELb0ELb1ELb1EdKddEv17rocblas_diagonal_iiT6_lPT7_lllS4_lllPT8_llli: ; @_ZL30rocblas_trmm_outofplace_kernelIdLi32ELi2ELb0ELb0ELb1ELb1EdKddEv17rocblas_diagonal_iiT6_lPT7_lllS4_lllPT8_llli
; %bb.0:
	s_load_dwordx2 s[34:35], s[4:5], 0x10
	s_waitcnt lgkmcnt(0)
	v_cmp_eq_f64_e64 s0, s[34:35], 0
	s_and_b32 vcc_lo, exec_lo, s0
	s_cbranch_vccnz .LBB57_51
; %bb.1:
	s_load_dwordx4 s[28:31], s[4:5], 0x0
	s_waitcnt lgkmcnt(0)
	s_add_i32 s0, s30, -1
	s_ashr_i32 s1, s0, 31
	s_lshr_b32 s1, s1, 27
	s_add_i32 s0, s0, s1
	s_ashr_i32 s11, s0, 5
	s_cmp_gt_i32 s7, s11
	s_cbranch_scc1 .LBB57_51
; %bb.2:
	s_clause 0x1
	s_load_dwordx16 s[12:27], s[4:5], 0x20
	s_load_dwordx8 s[36:43], s[4:5], 0x60
	v_lshl_add_u32 v14, s6, 5, v0
	v_lshlrev_b32_e32 v10, 3, v0
	v_lshlrev_b32_e32 v49, 8, v1
	v_lshl_add_u32 v23, v1, 3, 0x80
	v_mov_b32_e32 v2, 0
	v_ashrrev_i32_e32 v15, 31, v14
	v_or_b32_e32 v51, 0x2000, v10
	v_add_nc_u32_e32 v50, v49, v10
	v_add_nc_u32_e32 v20, 16, v14
	v_mov_b32_e32 v58, 0x3ff00000
	v_add_nc_u32_e32 v52, v51, v49
	s_waitcnt lgkmcnt(0)
	s_mul_i32 s1, s19, s8
	s_mul_hi_u32 s2, s18, s8
	s_mul_i32 s0, s18, s8
	s_add_i32 s1, s2, s1
	v_mad_u64_u32 v[3:4], null, s16, v0, 0
	s_lshl_b64 s[0:1], s[0:1], 3
	s_mul_i32 s3, s27, s8
	s_add_u32 s10, s12, s0
	s_addc_u32 s18, s13, s1
	s_lshl_b64 s[44:45], s[14:15], 3
	s_mul_hi_u32 s6, s26, s8
	s_add_u32 s10, s10, s44
	s_mul_i32 s2, s26, s8
	s_addc_u32 s14, s18, s45
	s_add_i32 s3, s6, s3
	v_mad_u64_u32 v[4:5], null, s17, v0, v[4:5]
	s_lshl_b64 s[2:3], s[2:3], 3
	s_mul_i32 s9, s43, s8
	s_add_u32 s15, s20, s2
	s_addc_u32 s18, s21, s3
	s_lshl_b64 s[2:3], s[22:23], 3
	s_load_dword s22, s[4:5], 0x8c
	s_mul_hi_u32 s6, s42, s8
	s_add_u32 s15, s15, s2
	s_mul_i32 s8, s42, s8
	s_addc_u32 s18, s18, s3
	s_add_i32 s9, s6, s9
	v_mad_u64_u32 v[16:17], null, s24, v1, 0
	v_lshlrev_b64 v[6:7], 3, v[3:4]
	s_lshl_b64 s[2:3], s[8:9], 3
	v_lshlrev_b64 v[4:5], 3, v[14:15]
	s_add_u32 s4, s36, s2
	s_addc_u32 s5, s37, s3
	s_lshl_b64 s[2:3], s[38:39], 3
	v_add_co_u32 v6, vcc_lo, s10, v6
	s_add_u32 s23, s4, s2
	s_addc_u32 s26, s5, s3
	v_mov_b32_e32 v3, v17
	s_cmpk_eq_i32 s28, 0x84
	v_add_co_ci_u32_e64 v7, null, s14, v7, vcc_lo
	v_add_co_u32 v8, vcc_lo, s15, v4
	v_add_co_ci_u32_e64 v9, null, s18, v5, vcc_lo
	s_cselect_b32 s27, -1, 0
	s_ashr_i32 s31, s30, 31
	s_ashr_i32 s2, s29, 31
	s_lshl_b64 s[14:15], s[16:17], 8
	s_lshl_b64 s[18:19], s[24:25], 8
	v_sub_co_u32 v18, vcc_lo, s29, v14
	s_add_u32 s20, s30, -16
	s_addc_u32 s21, s31, -1
	s_waitcnt lgkmcnt(0)
	s_lshl_b32 s28, s22, 5
	v_mad_u64_u32 v[21:22], null, s25, v1, v[3:4]
	v_sub_co_ci_u32_e64 v19, null, s2, v15, vcc_lo
	v_add_nc_u32_e32 v22, 0x80, v10
	s_add_u32 s2, s12, s44
	s_addc_u32 s3, s13, s45
	s_add_u32 s0, s2, s0
	s_addc_u32 s1, s3, s1
	v_mad_u64_u32 v[12:13], null, s24, v23, 0
	v_mad_u64_u32 v[10:11], null, s16, v22, s[0:1]
	v_mov_b32_e32 v17, v21
	v_cmp_gt_i32_e64 s1, s29, v14
	v_cmp_gt_i64_e32 vcc_lo, 1, v[18:19]
	v_cmp_gt_i64_e64 s0, 17, v[18:19]
	v_ashrrev_i32_e32 v21, 31, v20
	v_lshlrev_b64 v[14:15], 3, v[16:17]
	v_mov_b32_e32 v3, v11
	v_mov_b32_e32 v11, v13
	v_sub_co_u32 v53, s3, 0, v0
	v_sub_co_ci_u32_e64 v54, null, 0, 0, s3
	v_mad_u64_u32 v[16:17], null, s17, v22, v[3:4]
	v_mad_u64_u32 v[17:18], null, s25, v23, v[11:12]
	v_add_co_u32 v55, s3, 0x80, v14
	v_add_co_ci_u32_e64 v56, null, 0, v15, s3
	v_mov_b32_e32 v11, v16
	v_lshlrev_b64 v[15:16], 3, v[20:21]
	v_cmp_gt_i32_e64 s2, s29, v20
	v_lshl_add_u32 v13, s7, 5, v1
	v_mov_b32_e32 v57, v17
	s_branch .LBB57_4
.LBB57_3:                               ;   in Loop: Header=BB57_4 Depth=1
	s_or_b32 exec_lo, exec_lo, s4
	v_add_nc_u32_e32 v13, s28, v13
	s_add_i32 s7, s22, s7
	s_cmp_le_i32 s7, s11
	s_cbranch_scc0 .LBB57_51
.LBB57_4:                               ; =>This Loop Header: Depth=1
                                        ;     Child Loop BB57_7 Depth 2
	s_lshl_b32 s16, s7, 5
	v_mov_b32_e32 v41, 0
	v_add_nc_u32_e32 v17, s16, v1
	v_mov_b32_e32 v39, 0
	v_mov_b32_e32 v37, 0
	;; [unrolled: 1-line block ×7, first 2 shown]
	v_ashrrev_i32_e32 v18, 31, v17
	s_cmp_lt_i32 s7, 0
	s_cbranch_scc1 .LBB57_43
; %bb.5:                                ;   in Loop: Header=BB57_4 Depth=1
	v_ashrrev_i32_e32 v14, 31, v13
	v_add_co_u32 v19, s3, v17, 16
	v_add_co_ci_u32_e64 v20, null, 0, v18, s3
	v_add_co_u32 v21, s3, v53, v13
	v_add_co_ci_u32_e64 v22, null, v54, v14, s3
	v_lshlrev_b64 v[23:24], 3, v[13:14]
	v_add_co_u32 v25, s5, v21, 16
	v_add_co_ci_u32_e64 v26, null, 0, v22, s5
	v_add_co_u32 v27, s5, v21, -16
	v_cmp_le_i64_e64 s4, s[30:31], v[19:20]
	v_mov_b32_e32 v35, 0
	v_mov_b32_e32 v30, v7
	v_mov_b32_e32 v32, v11
	v_mov_b32_e32 v37, 0
	v_mov_b32_e32 v39, 0
	v_mov_b32_e32 v41, 0
	v_mov_b32_e32 v34, v9
	v_cmp_le_i32_e64 s3, s30, v17
	v_add_co_ci_u32_e64 v28, null, -1, v22, s5
	v_mov_b32_e32 v36, 0
	v_mov_b32_e32 v29, v6
	;; [unrolled: 1-line block ×7, first 2 shown]
	s_mov_b64 s[12:13], 0
	s_branch .LBB57_7
.LBB57_6:                               ;   in Loop: Header=BB57_7 Depth=2
	s_or_b32 exec_lo, exec_lo, s5
	s_waitcnt lgkmcnt(0)
	s_barrier
	buffer_gl0_inv
	ds_read_b128 v[43:46], v49
	ds_read2_b64 v[59:62], v51 offset1:16
	ds_read_b128 v[63:66], v49 offset:4096
	ds_read_b128 v[67:70], v49 offset:16
	ds_read2_b64 v[71:74], v51 offset0:32 offset1:48
	ds_read_b128 v[75:78], v49 offset:4112
	v_add_nc_u32_e32 v3, 0x800, v51
	v_add_co_u32 v33, s5, v33, s18
	v_add_co_ci_u32_e64 v34, null, s19, v34, s5
	v_add_co_u32 v31, s5, v31, s14
	v_add_co_ci_u32_e64 v32, null, s15, v32, s5
	v_add_co_u32 v29, s5, v29, s14
	s_add_u32 s12, s12, 32
	v_add_co_ci_u32_e64 v30, null, s15, v30, s5
	s_addc_u32 s13, s13, 0
	s_waitcnt lgkmcnt(4)
	v_fma_f64 v[41:42], v[59:60], v[43:44], v[41:42]
	v_fma_f64 v[39:40], v[61:62], v[43:44], v[39:40]
	s_waitcnt lgkmcnt(3)
	v_fma_f64 v[43:44], v[59:60], v[63:64], v[37:38]
	v_fma_f64 v[47:48], v[61:62], v[63:64], v[35:36]
	ds_read2_b64 v[35:38], v51 offset0:64 offset1:80
	s_sub_i32 s6, s12, 32
	s_cmp_ge_i32 s6, s16
	s_waitcnt lgkmcnt(2)
	v_fma_f64 v[59:60], v[71:72], v[45:46], v[41:42]
	v_fma_f64 v[45:46], v[73:74], v[45:46], v[39:40]
	;; [unrolled: 1-line block ×4, first 2 shown]
	ds_read2_b64 v[39:42], v51 offset0:96 offset1:112
	s_waitcnt lgkmcnt(1)
	v_fma_f64 v[59:60], v[35:36], v[67:68], v[59:60]
	v_fma_f64 v[61:62], v[37:38], v[67:68], v[45:46]
	;; [unrolled: 1-line block ×4, first 2 shown]
	ds_read_b128 v[35:38], v49 offset:32
	ds_read2_b64 v[43:46], v51 offset0:128 offset1:144
	s_waitcnt lgkmcnt(2)
	v_fma_f64 v[71:72], v[39:40], v[69:70], v[59:60]
	v_fma_f64 v[73:74], v[41:42], v[69:70], v[61:62]
	;; [unrolled: 1-line block ×4, first 2 shown]
	ds_read_b128 v[39:42], v49 offset:4128
	ds_read_b128 v[59:62], v49 offset:48
	ds_read2_b64 v[63:66], v51 offset0:160 offset1:176
	ds_read_b128 v[67:70], v49 offset:4144
	s_waitcnt lgkmcnt(4)
	v_fma_f64 v[71:72], v[43:44], v[35:36], v[71:72]
	v_fma_f64 v[35:36], v[45:46], v[35:36], v[73:74]
	s_waitcnt lgkmcnt(3)
	v_fma_f64 v[73:74], v[43:44], v[39:40], v[75:76]
	v_fma_f64 v[39:40], v[45:46], v[39:40], v[47:48]
	ds_read2_b64 v[43:46], v51 offset0:192 offset1:208
	s_waitcnt lgkmcnt(2)
	v_fma_f64 v[47:48], v[63:64], v[37:38], v[71:72]
	v_fma_f64 v[71:72], v[65:66], v[37:38], v[35:36]
	;; [unrolled: 1-line block ×4, first 2 shown]
	ds_read2_b64 v[35:38], v51 offset0:224 offset1:240
	s_waitcnt lgkmcnt(1)
	v_fma_f64 v[47:48], v[43:44], v[59:60], v[47:48]
	v_fma_f64 v[59:60], v[45:46], v[59:60], v[71:72]
	;; [unrolled: 1-line block ×4, first 2 shown]
	ds_read_b128 v[39:42], v49 offset:64
	ds_read2_b64 v[43:46], v3 offset1:16
	s_waitcnt lgkmcnt(2)
	v_fma_f64 v[47:48], v[35:36], v[61:62], v[47:48]
	v_fma_f64 v[71:72], v[37:38], v[61:62], v[59:60]
	;; [unrolled: 1-line block ×4, first 2 shown]
	ds_read_b128 v[35:38], v49 offset:4160
	ds_read_b128 v[59:62], v49 offset:80
	;; [unrolled: 1-line block ×3, first 2 shown]
	ds_read2_b64 v[67:70], v3 offset0:32 offset1:48
	s_waitcnt lgkmcnt(4)
	v_fma_f64 v[47:48], v[43:44], v[39:40], v[47:48]
	v_fma_f64 v[39:40], v[45:46], v[39:40], v[71:72]
	s_waitcnt lgkmcnt(3)
	v_fma_f64 v[71:72], v[43:44], v[35:36], v[73:74]
	v_fma_f64 v[35:36], v[45:46], v[35:36], v[75:76]
	ds_read2_b64 v[43:46], v3 offset0:64 offset1:80
	s_waitcnt lgkmcnt(1)
	v_fma_f64 v[47:48], v[67:68], v[41:42], v[47:48]
	v_fma_f64 v[39:40], v[69:70], v[41:42], v[39:40]
	;; [unrolled: 1-line block ×4, first 2 shown]
	ds_read2_b64 v[35:38], v3 offset0:96 offset1:112
	s_waitcnt lgkmcnt(1)
	v_fma_f64 v[47:48], v[43:44], v[59:60], v[47:48]
	v_fma_f64 v[59:60], v[45:46], v[59:60], v[39:40]
	;; [unrolled: 1-line block ×4, first 2 shown]
	ds_read_b128 v[39:42], v49 offset:96
	ds_read2_b64 v[43:46], v3 offset0:128 offset1:144
	s_waitcnt lgkmcnt(2)
	v_fma_f64 v[47:48], v[35:36], v[61:62], v[47:48]
	v_fma_f64 v[71:72], v[37:38], v[61:62], v[59:60]
	;; [unrolled: 1-line block ×4, first 2 shown]
	ds_read_b128 v[35:38], v49 offset:4192
	ds_read_b128 v[59:62], v49 offset:112
	;; [unrolled: 1-line block ×3, first 2 shown]
	ds_read2_b64 v[67:70], v3 offset0:160 offset1:176
	s_waitcnt lgkmcnt(4)
	v_fma_f64 v[47:48], v[43:44], v[39:40], v[47:48]
	v_fma_f64 v[39:40], v[45:46], v[39:40], v[71:72]
	s_waitcnt lgkmcnt(3)
	v_fma_f64 v[71:72], v[43:44], v[35:36], v[73:74]
	v_fma_f64 v[35:36], v[45:46], v[35:36], v[75:76]
	ds_read2_b64 v[43:46], v3 offset0:192 offset1:208
	s_waitcnt lgkmcnt(1)
	v_fma_f64 v[47:48], v[67:68], v[41:42], v[47:48]
	v_fma_f64 v[39:40], v[69:70], v[41:42], v[39:40]
	;; [unrolled: 1-line block ×4, first 2 shown]
	ds_read2_b64 v[35:38], v3 offset0:224 offset1:240
	v_add_nc_u32_e32 v3, 0x1000, v51
	s_waitcnt lgkmcnt(1)
	v_fma_f64 v[47:48], v[43:44], v[59:60], v[47:48]
	v_fma_f64 v[59:60], v[45:46], v[59:60], v[39:40]
	;; [unrolled: 1-line block ×4, first 2 shown]
	ds_read_b128 v[39:42], v49 offset:128
	ds_read2_b64 v[43:46], v3 offset1:16
	s_waitcnt lgkmcnt(2)
	v_fma_f64 v[47:48], v[35:36], v[61:62], v[47:48]
	v_fma_f64 v[71:72], v[37:38], v[61:62], v[59:60]
	;; [unrolled: 1-line block ×4, first 2 shown]
	ds_read_b128 v[35:38], v49 offset:4224
	ds_read_b128 v[59:62], v49 offset:144
	;; [unrolled: 1-line block ×3, first 2 shown]
	ds_read2_b64 v[67:70], v3 offset0:32 offset1:48
	s_waitcnt lgkmcnt(4)
	v_fma_f64 v[47:48], v[43:44], v[39:40], v[47:48]
	v_fma_f64 v[39:40], v[45:46], v[39:40], v[71:72]
	s_waitcnt lgkmcnt(3)
	v_fma_f64 v[71:72], v[43:44], v[35:36], v[73:74]
	v_fma_f64 v[35:36], v[45:46], v[35:36], v[75:76]
	ds_read2_b64 v[43:46], v3 offset0:64 offset1:80
	s_waitcnt lgkmcnt(1)
	v_fma_f64 v[47:48], v[67:68], v[41:42], v[47:48]
	v_fma_f64 v[39:40], v[69:70], v[41:42], v[39:40]
	;; [unrolled: 1-line block ×4, first 2 shown]
	ds_read2_b64 v[35:38], v3 offset0:96 offset1:112
	s_waitcnt lgkmcnt(1)
	v_fma_f64 v[47:48], v[43:44], v[59:60], v[47:48]
	v_fma_f64 v[59:60], v[45:46], v[59:60], v[39:40]
	;; [unrolled: 1-line block ×4, first 2 shown]
	ds_read_b128 v[39:42], v49 offset:160
	ds_read2_b64 v[43:46], v3 offset0:128 offset1:144
	s_waitcnt lgkmcnt(2)
	v_fma_f64 v[47:48], v[35:36], v[61:62], v[47:48]
	v_fma_f64 v[71:72], v[37:38], v[61:62], v[59:60]
	;; [unrolled: 1-line block ×4, first 2 shown]
	ds_read_b128 v[35:38], v49 offset:4256
	ds_read_b128 v[59:62], v49 offset:176
	;; [unrolled: 1-line block ×3, first 2 shown]
	ds_read2_b64 v[67:70], v3 offset0:160 offset1:176
	s_waitcnt lgkmcnt(4)
	v_fma_f64 v[47:48], v[43:44], v[39:40], v[47:48]
	v_fma_f64 v[39:40], v[45:46], v[39:40], v[71:72]
	s_waitcnt lgkmcnt(3)
	v_fma_f64 v[71:72], v[43:44], v[35:36], v[73:74]
	v_fma_f64 v[35:36], v[45:46], v[35:36], v[75:76]
	ds_read2_b64 v[43:46], v3 offset0:192 offset1:208
	s_waitcnt lgkmcnt(1)
	v_fma_f64 v[47:48], v[67:68], v[41:42], v[47:48]
	v_fma_f64 v[39:40], v[69:70], v[41:42], v[39:40]
	v_fma_f64 v[41:42], v[67:68], v[37:38], v[71:72]
	v_fma_f64 v[67:68], v[69:70], v[37:38], v[35:36]
	ds_read2_b64 v[35:38], v3 offset0:224 offset1:240
	v_add_nc_u32_e32 v3, 0x1800, v51
	s_waitcnt lgkmcnt(1)
	v_fma_f64 v[47:48], v[43:44], v[59:60], v[47:48]
	v_fma_f64 v[59:60], v[45:46], v[59:60], v[39:40]
	;; [unrolled: 1-line block ×4, first 2 shown]
	ds_read_b128 v[39:42], v49 offset:192
	ds_read2_b64 v[43:46], v3 offset1:16
	s_waitcnt lgkmcnt(2)
	v_fma_f64 v[47:48], v[35:36], v[61:62], v[47:48]
	v_fma_f64 v[71:72], v[37:38], v[61:62], v[59:60]
	;; [unrolled: 1-line block ×4, first 2 shown]
	ds_read_b128 v[35:38], v49 offset:4288
	ds_read_b128 v[59:62], v49 offset:208
	;; [unrolled: 1-line block ×3, first 2 shown]
	ds_read2_b64 v[67:70], v3 offset0:32 offset1:48
	s_waitcnt lgkmcnt(4)
	v_fma_f64 v[47:48], v[43:44], v[39:40], v[47:48]
	v_fma_f64 v[39:40], v[45:46], v[39:40], v[71:72]
	s_waitcnt lgkmcnt(3)
	v_fma_f64 v[71:72], v[43:44], v[35:36], v[73:74]
	v_fma_f64 v[35:36], v[45:46], v[35:36], v[75:76]
	ds_read2_b64 v[43:46], v3 offset0:64 offset1:80
	s_waitcnt lgkmcnt(1)
	v_fma_f64 v[47:48], v[67:68], v[41:42], v[47:48]
	v_fma_f64 v[39:40], v[69:70], v[41:42], v[39:40]
	;; [unrolled: 1-line block ×4, first 2 shown]
	ds_read2_b64 v[35:38], v3 offset0:96 offset1:112
	s_waitcnt lgkmcnt(1)
	v_fma_f64 v[47:48], v[43:44], v[59:60], v[47:48]
	v_fma_f64 v[59:60], v[45:46], v[59:60], v[39:40]
	;; [unrolled: 1-line block ×4, first 2 shown]
	ds_read_b128 v[39:42], v49 offset:224
	ds_read2_b64 v[43:46], v3 offset0:128 offset1:144
	s_waitcnt lgkmcnt(2)
	v_fma_f64 v[47:48], v[35:36], v[61:62], v[47:48]
	v_fma_f64 v[71:72], v[37:38], v[61:62], v[59:60]
	;; [unrolled: 1-line block ×4, first 2 shown]
	ds_read_b128 v[35:38], v49 offset:4320
	ds_read_b128 v[59:62], v49 offset:240
	;; [unrolled: 1-line block ×3, first 2 shown]
	ds_read2_b64 v[67:70], v3 offset0:160 offset1:176
	s_waitcnt lgkmcnt(4)
	v_fma_f64 v[47:48], v[43:44], v[39:40], v[47:48]
	v_fma_f64 v[39:40], v[45:46], v[39:40], v[71:72]
	s_waitcnt lgkmcnt(3)
	v_fma_f64 v[71:72], v[43:44], v[35:36], v[73:74]
	v_fma_f64 v[35:36], v[45:46], v[35:36], v[75:76]
	ds_read2_b64 v[43:46], v3 offset0:192 offset1:208
	s_waitcnt lgkmcnt(1)
	v_fma_f64 v[47:48], v[67:68], v[41:42], v[47:48]
	v_fma_f64 v[39:40], v[69:70], v[41:42], v[39:40]
	;; [unrolled: 1-line block ×4, first 2 shown]
	ds_read2_b64 v[67:70], v3 offset0:224 offset1:240
	s_waitcnt lgkmcnt(0)
	s_barrier
	buffer_gl0_inv
	v_fma_f64 v[37:38], v[43:44], v[59:60], v[47:48]
	v_fma_f64 v[39:40], v[45:46], v[59:60], v[39:40]
	v_fma_f64 v[43:44], v[43:44], v[63:64], v[41:42]
	v_fma_f64 v[35:36], v[45:46], v[63:64], v[35:36]
	v_fma_f64 v[41:42], v[67:68], v[61:62], v[37:38]
	v_fma_f64 v[39:40], v[69:70], v[61:62], v[39:40]
	v_fma_f64 v[37:38], v[67:68], v[65:66], v[43:44]
	v_fma_f64 v[35:36], v[69:70], v[65:66], v[35:36]
	s_cbranch_scc1 .LBB57_43
.LBB57_7:                               ;   Parent Loop BB57_4 Depth=1
                                        ; =>  This Inner Loop Header: Depth=2
	v_add_co_u32 v43, s5, v0, s12
	v_add_co_ci_u32_e64 v44, null, 0, s13, s5
	v_cmp_eq_u64_e64 s8, s[12:13], v[21:22]
                                        ; implicit-def: $vgpr47_vgpr48
	v_cmp_gt_i64_e64 s5, v[43:44], v[17:18]
	v_cmp_le_i64_e64 s6, s[30:31], v[43:44]
	s_and_b32 s17, s27, s8
	v_add_co_u32 v45, s8, v29, v23
	s_or_b32 s9, s3, s5
	v_add_co_ci_u32_e64 v46, null, v30, v24, s8
	s_or_b32 s8, s9, s17
	s_nor_b32 s8, s6, s8
	s_and_saveexec_b32 s9, s8
	s_xor_b32 s8, exec_lo, s9
	s_cbranch_execz .LBB57_9
; %bb.8:                                ;   in Loop: Header=BB57_7 Depth=2
	global_load_dwordx2 v[47:48], v[45:46], off
.LBB57_9:                               ;   in Loop: Header=BB57_7 Depth=2
	s_andn2_saveexec_b32 s8, s8
	s_cbranch_execz .LBB57_11
; %bb.10:                               ;   in Loop: Header=BB57_7 Depth=2
	v_cndmask_b32_e64 v3, 0, 0x3ff00000, s17
	s_waitcnt vmcnt(0)
	v_mov_b32_e32 v48, v3
	v_mov_b32_e32 v47, v2
.LBB57_11:                              ;   in Loop: Header=BB57_7 Depth=2
	s_or_b32 exec_lo, exec_lo, s8
	v_add_co_u32 v59, s8, v43, 16
	v_add_co_ci_u32_e64 v60, null, 0, v44, s8
	v_cmp_eq_u64_e64 s9, s[12:13], v[27:28]
	s_waitcnt vmcnt(0)
	ds_write_b64 v50, v[47:48]
	v_cmp_gt_i64_e64 s10, v[59:60], v[17:18]
	v_cmp_le_i64_e64 s8, s[30:31], v[59:60]
	s_and_b32 s24, s27, s9
	s_or_b32 s9, s3, s10
	s_or_b32 s9, s9, s24
	s_nor_b32 s9, s8, s9
	s_and_saveexec_b32 s10, s9
	s_xor_b32 s10, exec_lo, s10
	s_cbranch_execz .LBB57_13
; %bb.12:                               ;   in Loop: Header=BB57_7 Depth=2
	v_add_co_u32 v47, s9, v31, v23
	v_add_co_ci_u32_e64 v48, null, v32, v24, s9
	global_load_dwordx2 v[47:48], v[47:48], off
	s_waitcnt vmcnt(0)
	ds_write_b64 v50, v[47:48] offset:128
.LBB57_13:                              ;   in Loop: Header=BB57_7 Depth=2
	s_andn2_saveexec_b32 s9, s10
	s_cbranch_execz .LBB57_19
; %bb.14:                               ;   in Loop: Header=BB57_7 Depth=2
	s_xor_b32 s10, s24, -1
	s_and_saveexec_b32 s24, s10
	s_xor_b32 s10, exec_lo, s24
; %bb.15:                               ;   in Loop: Header=BB57_7 Depth=2
	v_mov_b32_e32 v3, v2
	ds_write_b64 v50, v[2:3] offset:128
; %bb.16:                               ;   in Loop: Header=BB57_7 Depth=2
	s_andn2_saveexec_b32 s10, s10
; %bb.17:                               ;   in Loop: Header=BB57_7 Depth=2
	v_mov_b32_e32 v3, v58
	ds_write_b64 v50, v[2:3] offset:128
; %bb.18:                               ;   in Loop: Header=BB57_7 Depth=2
	s_or_b32 exec_lo, exec_lo, s10
.LBB57_19:                              ;   in Loop: Header=BB57_7 Depth=2
	s_or_b32 exec_lo, exec_lo, s9
	v_cmp_eq_u64_e64 s9, s[12:13], v[25:26]
	v_cmp_gt_i64_e64 s10, v[43:44], v[19:20]
                                        ; implicit-def: $vgpr43_vgpr44
	s_and_b32 s9, s27, s9
	s_or_b32 s10, s4, s10
	s_or_b32 s10, s10, s9
	s_nor_b32 s6, s6, s10
	s_and_saveexec_b32 s10, s6
	s_xor_b32 s6, exec_lo, s10
	s_cbranch_execz .LBB57_21
; %bb.20:                               ;   in Loop: Header=BB57_7 Depth=2
	global_load_dwordx2 v[43:44], v[45:46], off offset:128
.LBB57_21:                              ;   in Loop: Header=BB57_7 Depth=2
	s_andn2_saveexec_b32 s6, s6
	s_cbranch_execz .LBB57_23
; %bb.22:                               ;   in Loop: Header=BB57_7 Depth=2
	v_cndmask_b32_e64 v3, 0, 0x3ff00000, s9
	s_waitcnt vmcnt(0)
	v_mov_b32_e32 v44, v3
	v_mov_b32_e32 v43, v2
.LBB57_23:                              ;   in Loop: Header=BB57_7 Depth=2
	s_or_b32 exec_lo, exec_lo, s6
	s_or_b32 s5, s4, s5
	s_waitcnt vmcnt(0)
	ds_write_b64 v50, v[43:44] offset:4096
	s_or_b32 s5, s5, s17
	s_nor_b32 s5, s8, s5
	s_and_saveexec_b32 s6, s5
	s_xor_b32 s6, exec_lo, s6
	s_cbranch_execz .LBB57_25
; %bb.24:                               ;   in Loop: Header=BB57_7 Depth=2
	v_add_co_u32 v43, s5, v31, v23
	v_add_co_ci_u32_e64 v44, null, v32, v24, s5
	global_load_dwordx2 v[43:44], v[43:44], off offset:128
	s_waitcnt vmcnt(0)
	ds_write_b64 v50, v[43:44] offset:4224
.LBB57_25:                              ;   in Loop: Header=BB57_7 Depth=2
	s_andn2_saveexec_b32 s5, s6
	s_cbranch_execz .LBB57_31
; %bb.26:                               ;   in Loop: Header=BB57_7 Depth=2
	s_xor_b32 s6, s17, -1
	s_and_saveexec_b32 s8, s6
	s_xor_b32 s6, exec_lo, s8
; %bb.27:                               ;   in Loop: Header=BB57_7 Depth=2
	v_mov_b32_e32 v3, v2
	ds_write_b64 v50, v[2:3] offset:4224
; %bb.28:                               ;   in Loop: Header=BB57_7 Depth=2
	s_andn2_saveexec_b32 s6, s6
; %bb.29:                               ;   in Loop: Header=BB57_7 Depth=2
	v_mov_b32_e32 v3, v58
	ds_write_b64 v50, v[2:3] offset:4224
; %bb.30:                               ;   in Loop: Header=BB57_7 Depth=2
	s_or_b32 exec_lo, exec_lo, s6
.LBB57_31:                              ;   in Loop: Header=BB57_7 Depth=2
	s_or_b32 exec_lo, exec_lo, s5
	v_add_co_u32 v43, s5, v1, s12
	v_add_co_ci_u32_e64 v44, null, 0, s13, s5
	v_add_co_u32 v45, s6, v33, v55
	v_mov_b32_e32 v47, 0
	v_cmp_le_i64_e64 s5, s[30:31], v[43:44]
	v_mov_b32_e32 v48, 0
	v_add_co_ci_u32_e64 v46, null, v34, v56, s6
	s_nor_b32 s8, s5, vcc_lo
	s_and_saveexec_b32 s6, s8
	s_cbranch_execz .LBB57_33
; %bb.32:                               ;   in Loop: Header=BB57_7 Depth=2
	global_load_dwordx2 v[47:48], v[45:46], off offset:-128
.LBB57_33:                              ;   in Loop: Header=BB57_7 Depth=2
	s_or_b32 exec_lo, exec_lo, s6
	s_nor_b32 s5, s5, s0
	s_waitcnt vmcnt(0)
	ds_write_b64 v52, v[47:48]
	s_and_saveexec_b32 s6, s5
	s_xor_b32 s5, exec_lo, s6
	s_cbranch_execz .LBB57_35
; %bb.34:                               ;   in Loop: Header=BB57_7 Depth=2
	global_load_dwordx2 v[45:46], v[45:46], off
	s_waitcnt vmcnt(0)
	ds_write_b64 v52, v[45:46] offset:128
.LBB57_35:                              ;   in Loop: Header=BB57_7 Depth=2
	s_andn2_saveexec_b32 s5, s5
; %bb.36:                               ;   in Loop: Header=BB57_7 Depth=2
	v_mov_b32_e32 v3, v2
	ds_write_b64 v52, v[2:3] offset:128
; %bb.37:                               ;   in Loop: Header=BB57_7 Depth=2
	s_or_b32 exec_lo, exec_lo, s5
	v_cmp_le_i64_e64 s5, s[20:21], v[43:44]
	v_add_co_u32 v43, s6, v33, v12
	v_mov_b32_e32 v45, 0
	v_mov_b32_e32 v46, 0
	v_add_co_ci_u32_e64 v44, null, v34, v57, s6
	s_nor_b32 s8, s5, vcc_lo
	s_and_saveexec_b32 s6, s8
	s_cbranch_execz .LBB57_39
; %bb.38:                               ;   in Loop: Header=BB57_7 Depth=2
	global_load_dwordx2 v[45:46], v[43:44], off
.LBB57_39:                              ;   in Loop: Header=BB57_7 Depth=2
	s_or_b32 exec_lo, exec_lo, s6
	s_nor_b32 s5, s5, s0
	s_waitcnt vmcnt(0)
	ds_write_b64 v52, v[45:46] offset:4096
	s_and_saveexec_b32 s6, s5
	s_xor_b32 s5, exec_lo, s6
	s_cbranch_execz .LBB57_41
; %bb.40:                               ;   in Loop: Header=BB57_7 Depth=2
	global_load_dwordx2 v[43:44], v[43:44], off offset:128
	s_waitcnt vmcnt(0)
	ds_write_b64 v52, v[43:44] offset:4224
.LBB57_41:                              ;   in Loop: Header=BB57_7 Depth=2
	s_andn2_saveexec_b32 s5, s5
	s_cbranch_execz .LBB57_6
; %bb.42:                               ;   in Loop: Header=BB57_7 Depth=2
	v_mov_b32_e32 v3, v2
	ds_write_b64 v52, v[2:3] offset:4224
	s_branch .LBB57_6
.LBB57_43:                              ;   in Loop: Header=BB57_4 Depth=1
	v_mul_lo_u32 v3, s41, v17
	v_mul_lo_u32 v14, s40, v18
	v_mad_u64_u32 v[18:19], null, s40, v17, 0
	v_cmp_gt_i32_e64 s3, s30, v17
	v_add3_u32 v19, v19, v14, v3
	v_lshlrev_b64 v[18:19], 3, v[18:19]
	v_add_co_u32 v3, s4, s23, v18
	v_add_co_ci_u32_e64 v14, null, s26, v19, s4
	s_and_b32 s4, s1, s3
	s_and_saveexec_b32 s5, s4
	s_cbranch_execz .LBB57_45
; %bb.44:                               ;   in Loop: Header=BB57_4 Depth=1
	v_add_co_u32 v18, s4, v3, v4
	v_add_co_ci_u32_e64 v19, null, v14, v5, s4
	global_load_dwordx2 v[20:21], v[18:19], off
	s_waitcnt vmcnt(0)
	v_fma_f64 v[20:21], s[34:35], v[41:42], v[20:21]
	global_store_dwordx2 v[18:19], v[20:21], off
.LBB57_45:                              ;   in Loop: Header=BB57_4 Depth=1
	s_or_b32 exec_lo, exec_lo, s5
	s_and_b32 s3, s2, s3
	s_and_saveexec_b32 s4, s3
	s_cbranch_execz .LBB57_47
; %bb.46:                               ;   in Loop: Header=BB57_4 Depth=1
	v_add_co_u32 v18, s3, v3, v15
	v_add_co_ci_u32_e64 v19, null, v14, v16, s3
	global_load_dwordx2 v[20:21], v[18:19], off
	s_waitcnt vmcnt(0)
	v_fma_f64 v[20:21], s[34:35], v[39:40], v[20:21]
	global_store_dwordx2 v[18:19], v[20:21], off
.LBB57_47:                              ;   in Loop: Header=BB57_4 Depth=1
	s_or_b32 exec_lo, exec_lo, s4
	v_add_nc_u32_e32 v3, 16, v17
	v_ashrrev_i32_e32 v14, 31, v3
	v_mul_lo_u32 v19, s41, v3
	v_mad_u64_u32 v[17:18], null, s40, v3, 0
	v_cmp_gt_i32_e64 s3, s30, v3
	v_mul_lo_u32 v14, s40, v14
	v_add3_u32 v18, v18, v14, v19
	v_lshlrev_b64 v[17:18], 3, v[17:18]
	v_add_co_u32 v3, s4, s23, v17
	v_add_co_ci_u32_e64 v14, null, s26, v18, s4
	s_and_b32 s4, s1, s3
	s_and_saveexec_b32 s5, s4
	s_cbranch_execz .LBB57_49
; %bb.48:                               ;   in Loop: Header=BB57_4 Depth=1
	v_add_co_u32 v17, s4, v3, v4
	v_add_co_ci_u32_e64 v18, null, v14, v5, s4
	global_load_dwordx2 v[19:20], v[17:18], off
	s_waitcnt vmcnt(0)
	v_fma_f64 v[19:20], s[34:35], v[37:38], v[19:20]
	global_store_dwordx2 v[17:18], v[19:20], off
.LBB57_49:                              ;   in Loop: Header=BB57_4 Depth=1
	s_or_b32 exec_lo, exec_lo, s5
	s_and_b32 s3, s2, s3
	s_and_saveexec_b32 s4, s3
	s_cbranch_execz .LBB57_3
; %bb.50:                               ;   in Loop: Header=BB57_4 Depth=1
	v_add_co_u32 v17, s3, v3, v15
	v_add_co_ci_u32_e64 v18, null, v14, v16, s3
	global_load_dwordx2 v[19:20], v[17:18], off
	s_waitcnt vmcnt(0)
	v_fma_f64 v[19:20], s[34:35], v[35:36], v[19:20]
	global_store_dwordx2 v[17:18], v[19:20], off
	s_branch .LBB57_3
.LBB57_51:
	s_endpgm
	.section	.rodata,"a",@progbits
	.p2align	6, 0x0
	.amdhsa_kernel _ZL30rocblas_trmm_outofplace_kernelIdLi32ELi2ELb0ELb0ELb1ELb1EdKddEv17rocblas_diagonal_iiT6_lPT7_lllS4_lllPT8_llli
		.amdhsa_group_segment_fixed_size 16384
		.amdhsa_private_segment_fixed_size 0
		.amdhsa_kernarg_size 392
		.amdhsa_user_sgpr_count 6
		.amdhsa_user_sgpr_private_segment_buffer 1
		.amdhsa_user_sgpr_dispatch_ptr 0
		.amdhsa_user_sgpr_queue_ptr 0
		.amdhsa_user_sgpr_kernarg_segment_ptr 1
		.amdhsa_user_sgpr_dispatch_id 0
		.amdhsa_user_sgpr_flat_scratch_init 0
		.amdhsa_user_sgpr_private_segment_size 0
		.amdhsa_wavefront_size32 1
		.amdhsa_uses_dynamic_stack 0
		.amdhsa_system_sgpr_private_segment_wavefront_offset 0
		.amdhsa_system_sgpr_workgroup_id_x 1
		.amdhsa_system_sgpr_workgroup_id_y 1
		.amdhsa_system_sgpr_workgroup_id_z 1
		.amdhsa_system_sgpr_workgroup_info 0
		.amdhsa_system_vgpr_workitem_id 1
		.amdhsa_next_free_vgpr 79
		.amdhsa_next_free_sgpr 46
		.amdhsa_reserve_vcc 1
		.amdhsa_reserve_flat_scratch 0
		.amdhsa_float_round_mode_32 0
		.amdhsa_float_round_mode_16_64 0
		.amdhsa_float_denorm_mode_32 3
		.amdhsa_float_denorm_mode_16_64 3
		.amdhsa_dx10_clamp 1
		.amdhsa_ieee_mode 1
		.amdhsa_fp16_overflow 0
		.amdhsa_workgroup_processor_mode 1
		.amdhsa_memory_ordered 1
		.amdhsa_forward_progress 1
		.amdhsa_shared_vgpr_count 0
		.amdhsa_exception_fp_ieee_invalid_op 0
		.amdhsa_exception_fp_denorm_src 0
		.amdhsa_exception_fp_ieee_div_zero 0
		.amdhsa_exception_fp_ieee_overflow 0
		.amdhsa_exception_fp_ieee_underflow 0
		.amdhsa_exception_fp_ieee_inexact 0
		.amdhsa_exception_int_div_zero 0
	.end_amdhsa_kernel
	.section	.text._ZL30rocblas_trmm_outofplace_kernelIdLi32ELi2ELb0ELb0ELb1ELb1EdKddEv17rocblas_diagonal_iiT6_lPT7_lllS4_lllPT8_llli,"axG",@progbits,_ZL30rocblas_trmm_outofplace_kernelIdLi32ELi2ELb0ELb0ELb1ELb1EdKddEv17rocblas_diagonal_iiT6_lPT7_lllS4_lllPT8_llli,comdat
.Lfunc_end57:
	.size	_ZL30rocblas_trmm_outofplace_kernelIdLi32ELi2ELb0ELb0ELb1ELb1EdKddEv17rocblas_diagonal_iiT6_lPT7_lllS4_lllPT8_llli, .Lfunc_end57-_ZL30rocblas_trmm_outofplace_kernelIdLi32ELi2ELb0ELb0ELb1ELb1EdKddEv17rocblas_diagonal_iiT6_lPT7_lllS4_lllPT8_llli
                                        ; -- End function
	.set _ZL30rocblas_trmm_outofplace_kernelIdLi32ELi2ELb0ELb0ELb1ELb1EdKddEv17rocblas_diagonal_iiT6_lPT7_lllS4_lllPT8_llli.num_vgpr, 79
	.set _ZL30rocblas_trmm_outofplace_kernelIdLi32ELi2ELb0ELb0ELb1ELb1EdKddEv17rocblas_diagonal_iiT6_lPT7_lllS4_lllPT8_llli.num_agpr, 0
	.set _ZL30rocblas_trmm_outofplace_kernelIdLi32ELi2ELb0ELb0ELb1ELb1EdKddEv17rocblas_diagonal_iiT6_lPT7_lllS4_lllPT8_llli.numbered_sgpr, 46
	.set _ZL30rocblas_trmm_outofplace_kernelIdLi32ELi2ELb0ELb0ELb1ELb1EdKddEv17rocblas_diagonal_iiT6_lPT7_lllS4_lllPT8_llli.num_named_barrier, 0
	.set _ZL30rocblas_trmm_outofplace_kernelIdLi32ELi2ELb0ELb0ELb1ELb1EdKddEv17rocblas_diagonal_iiT6_lPT7_lllS4_lllPT8_llli.private_seg_size, 0
	.set _ZL30rocblas_trmm_outofplace_kernelIdLi32ELi2ELb0ELb0ELb1ELb1EdKddEv17rocblas_diagonal_iiT6_lPT7_lllS4_lllPT8_llli.uses_vcc, 1
	.set _ZL30rocblas_trmm_outofplace_kernelIdLi32ELi2ELb0ELb0ELb1ELb1EdKddEv17rocblas_diagonal_iiT6_lPT7_lllS4_lllPT8_llli.uses_flat_scratch, 0
	.set _ZL30rocblas_trmm_outofplace_kernelIdLi32ELi2ELb0ELb0ELb1ELb1EdKddEv17rocblas_diagonal_iiT6_lPT7_lllS4_lllPT8_llli.has_dyn_sized_stack, 0
	.set _ZL30rocblas_trmm_outofplace_kernelIdLi32ELi2ELb0ELb0ELb1ELb1EdKddEv17rocblas_diagonal_iiT6_lPT7_lllS4_lllPT8_llli.has_recursion, 0
	.set _ZL30rocblas_trmm_outofplace_kernelIdLi32ELi2ELb0ELb0ELb1ELb1EdKddEv17rocblas_diagonal_iiT6_lPT7_lllS4_lllPT8_llli.has_indirect_call, 0
	.section	.AMDGPU.csdata,"",@progbits
; Kernel info:
; codeLenInByte = 3804
; TotalNumSgprs: 48
; NumVgprs: 79
; ScratchSize: 0
; MemoryBound: 0
; FloatMode: 240
; IeeeMode: 1
; LDSByteSize: 16384 bytes/workgroup (compile time only)
; SGPRBlocks: 0
; VGPRBlocks: 9
; NumSGPRsForWavesPerEU: 48
; NumVGPRsForWavesPerEU: 79
; Occupancy: 12
; WaveLimiterHint : 0
; COMPUTE_PGM_RSRC2:SCRATCH_EN: 0
; COMPUTE_PGM_RSRC2:USER_SGPR: 6
; COMPUTE_PGM_RSRC2:TRAP_HANDLER: 0
; COMPUTE_PGM_RSRC2:TGID_X_EN: 1
; COMPUTE_PGM_RSRC2:TGID_Y_EN: 1
; COMPUTE_PGM_RSRC2:TGID_Z_EN: 1
; COMPUTE_PGM_RSRC2:TIDIG_COMP_CNT: 1
	.section	.text._ZL30rocblas_trmm_outofplace_kernelIdLi32ELi2ELb0ELb1ELb1ELb1EPKdS0_dEv17rocblas_diagonal_iiT6_lPT7_lllS5_lllPT8_llli,"axG",@progbits,_ZL30rocblas_trmm_outofplace_kernelIdLi32ELi2ELb0ELb1ELb1ELb1EPKdS0_dEv17rocblas_diagonal_iiT6_lPT7_lllS5_lllPT8_llli,comdat
	.globl	_ZL30rocblas_trmm_outofplace_kernelIdLi32ELi2ELb0ELb1ELb1ELb1EPKdS0_dEv17rocblas_diagonal_iiT6_lPT7_lllS5_lllPT8_llli ; -- Begin function _ZL30rocblas_trmm_outofplace_kernelIdLi32ELi2ELb0ELb1ELb1ELb1EPKdS0_dEv17rocblas_diagonal_iiT6_lPT7_lllS5_lllPT8_llli
	.p2align	8
	.type	_ZL30rocblas_trmm_outofplace_kernelIdLi32ELi2ELb0ELb1ELb1ELb1EPKdS0_dEv17rocblas_diagonal_iiT6_lPT7_lllS5_lllPT8_llli,@function
_ZL30rocblas_trmm_outofplace_kernelIdLi32ELi2ELb0ELb1ELb1ELb1EPKdS0_dEv17rocblas_diagonal_iiT6_lPT7_lllS5_lllPT8_llli: ; @_ZL30rocblas_trmm_outofplace_kernelIdLi32ELi2ELb0ELb1ELb1ELb1EPKdS0_dEv17rocblas_diagonal_iiT6_lPT7_lllS5_lllPT8_llli
; %bb.0:
	s_load_dwordx16 s[12:27], s[4:5], 0x10
	s_waitcnt lgkmcnt(0)
	s_mul_i32 s0, s15, s8
	s_mul_hi_u32 s1, s14, s8
	s_add_i32 s1, s1, s0
	s_mul_i32 s0, s14, s8
	s_lshl_b64 s[0:1], s[0:1], 3
	s_add_u32 s0, s12, s0
	s_addc_u32 s1, s13, s1
	s_load_dwordx2 s[34:35], s[0:1], 0x0
	s_waitcnt lgkmcnt(0)
	v_cmp_eq_f64_e64 s0, s[34:35], 0
	s_and_b32 vcc_lo, exec_lo, s0
	s_cbranch_vccnz .LBB58_52
; %bb.1:
	s_load_dwordx4 s[12:15], s[4:5], 0x0
	s_waitcnt lgkmcnt(0)
	s_add_i32 s0, s14, -1
	s_ashr_i32 s1, s0, 31
	s_lshr_b32 s1, s1, 27
	s_add_i32 s0, s0, s1
	s_ashr_i32 s11, s0, 5
	s_cmp_gt_i32 s7, s11
	s_cbranch_scc1 .LBB58_52
; %bb.2:
	s_clause 0x2
	s_load_dwordx4 s[28:31], s[4:5], 0x70
	s_load_dwordx8 s[36:43], s[4:5], 0x50
	s_load_dword s33, s[4:5], 0x8c
	v_lshl_add_u32 v5, s6, 5, v0
	v_lshlrev_b32_e32 v50, 8, v1
	v_lshlrev_b32_e32 v2, 3, v0
	v_mov_b32_e32 v12, 0
	v_ashrrev_i32_e32 v6, 31, v5
	v_cmp_gt_i32_e32 vcc_lo, s13, v5
	v_add_nc_u32_e32 v51, v50, v2
	v_or_b32_e32 v52, 0x2000, v2
	v_add_nc_u32_e32 v2, 16, v5
	v_add_nc_u32_e32 v53, v52, v50
	v_ashrrev_i32_e32 v3, 31, v2
	s_waitcnt lgkmcnt(0)
	s_mul_i32 s1, s31, s8
	s_mul_hi_u32 s2, s30, s8
	s_mul_i32 s0, s30, s8
	s_add_i32 s1, s2, s1
	s_mul_hi_u32 s5, s38, s8
	s_lshl_b64 s[0:1], s[0:1], 3
	s_add_u32 s4, s40, s0
	s_addc_u32 s1, s41, s1
	s_lshl_b64 s[2:3], s[42:43], 3
	v_cmp_gt_i32_e64 s0, s13, v2
	s_add_u32 s44, s4, s2
	s_addc_u32 s45, s1, s3
	s_cmpk_eq_i32 s12, 0x84
	v_sub_co_u32 v7, s1, s13, v5
	s_cselect_b32 s46, -1, 0
	s_ashr_i32 s15, s14, 31
	s_ashr_i32 s2, s13, 31
	s_lshl_b64 s[30:31], s[20:21], 8
	s_lshl_b64 s[40:41], s[36:37], 8
	s_add_u32 s12, s14, -16
	v_sub_co_ci_u32_e64 v8, null, s2, v6, s1
	s_addc_u32 s13, s15, -1
	s_lshl_b32 s3, s7, 5
	s_lshl_b32 s47, s33, 5
	s_mul_i32 s4, s39, s8
	s_add_u32 s42, s24, 0x80
	s_addc_u32 s43, s25, 0
	s_add_i32 s5, s5, s4
	s_mul_i32 s4, s38, s8
	s_lshl_b64 s[38:39], s[26:27], 3
	s_lshl_b64 s[4:5], s[4:5], 3
	v_cmp_gt_i64_e64 s1, 1, v[7:8]
	v_cmp_gt_i64_e64 s2, 17, v[7:8]
	s_lshl_b64 s[26:27], s[36:37], 3
	v_lshlrev_b64 v[6:7], 3, v[5:6]
	s_add_u32 s6, s4, s38
	s_addc_u32 s10, s5, s39
	s_mul_i32 s4, s23, s8
	s_mul_hi_u32 s5, s22, s8
	v_add_nc_u32_e32 v4, s3, v0
	s_add_i32 s5, s5, s4
	s_mul_i32 s4, s22, s8
	v_add_nc_u32_e32 v8, s3, v1
	s_lshl_b64 s[4:5], s[4:5], 3
	s_lshl_b64 s[8:9], s[18:19], 3
	v_add_co_u32 v10, s3, s6, v6
	v_add_co_ci_u32_e64 v11, null, s10, v7, s3
	s_add_u32 s3, s4, s8
	v_mov_b32_e32 v0, 0x3ff00000
	s_addc_u32 s4, s5, s9
	s_add_u32 s16, s16, s3
	s_addc_u32 s17, s17, s4
	s_lshl_b64 s[18:19], s[20:21], 3
	s_branch .LBB58_4
.LBB58_3:                               ;   in Loop: Header=BB58_4 Depth=1
	s_or_b32 exec_lo, exec_lo, s4
	v_add_nc_u32_e32 v4, s47, v4
	v_add_nc_u32_e32 v8, s47, v8
	s_add_i32 s7, s33, s7
	s_cmp_le_i32 s7, s11
	s_cbranch_scc0 .LBB58_52
.LBB58_4:                               ; =>This Loop Header: Depth=1
                                        ;     Child Loop BB58_7 Depth 2
	s_lshl_b32 s3, s7, 5
	v_ashrrev_i32_e32 v5, 31, v4
	v_add_nc_u32_e32 v14, s3, v1
	v_ashrrev_i32_e32 v9, 31, v8
	s_sub_i32 s38, s14, s3
	s_cmp_lt_i32 s38, 1
	v_ashrrev_i32_e32 v15, 31, v14
	s_cbranch_scc1 .LBB58_43
; %bb.5:                                ;   in Loop: Header=BB58_4 Depth=1
	v_lshlrev_b64 v[18:19], 3, v[4:5]
	v_sub_co_u32 v16, s3, v8, v4
	v_sub_co_ci_u32_e64 v17, null, v9, v5, s3
	v_lshlrev_b64 v[20:21], 3, v[8:9]
	v_add_co_u32 v13, s3, 0x80, v18
	v_add_co_ci_u32_e64 v22, null, 0, v19, s3
	v_mad_u64_u32 v[18:19], null, s26, v8, s[42:43]
	v_mul_lo_u32 v28, s26, v9
	v_mul_lo_u32 v29, s27, v8
	v_mul_lo_u32 v30, s20, v22
	v_mul_lo_u32 v31, s21, v13
	v_mad_u64_u32 v[22:23], null, s20, v13, s[16:17]
	v_add_co_u32 v13, s3, 0x80, v20
	v_add_co_ci_u32_e64 v26, null, 0, v21, s3
	v_mad_u64_u32 v[24:25], null, s18, v4, s[16:17]
	v_mul_lo_u32 v32, s18, v5
	v_mul_lo_u32 v33, s19, v4
	;; [unrolled: 1-line block ×4, first 2 shown]
	v_mad_u64_u32 v[26:27], null, s36, v13, s[24:25]
	v_add3_u32 v19, v29, v19, v28
	v_add_co_u32 v28, s3, v14, 16
	v_add_co_ci_u32_e64 v29, null, 0, v15, s3
	v_add3_u32 v23, v31, v23, v30
	v_add_co_u32 v30, s5, v16, 16
	v_add3_u32 v25, v33, v25, v32
	v_add_co_ci_u32_e64 v31, null, 0, v17, s5
	v_add_co_u32 v32, s5, v16, -16
	v_add3_u32 v27, v35, v27, v34
	v_cmp_le_i64_e64 s4, s[14:15], v[28:29]
	v_mov_b32_e32 v36, 0
	v_mov_b32_e32 v38, 0
	;; [unrolled: 1-line block ×5, first 2 shown]
	v_cmp_le_i32_e64 s3, s14, v14
	v_add_co_ci_u32_e64 v33, null, -1, v17, s5
	v_mov_b32_e32 v37, 0
	v_mov_b32_e32 v39, 0
	;; [unrolled: 1-line block ×5, first 2 shown]
	s_mov_b64 s[22:23], 0
	s_branch .LBB58_7
.LBB58_6:                               ;   in Loop: Header=BB58_7 Depth=2
	s_or_b32 exec_lo, exec_lo, s5
	s_waitcnt lgkmcnt(0)
	s_barrier
	buffer_gl0_inv
	ds_read_b128 v[44:47], v50
	ds_read2_b64 v[54:57], v52 offset1:16
	ds_read_b128 v[58:61], v50 offset:4096
	ds_read_b128 v[62:65], v50 offset:16
	ds_read2_b64 v[66:69], v52 offset0:32 offset1:48
	ds_read_b128 v[70:73], v50 offset:4112
	v_add_nc_u32_e32 v13, 0x800, v52
	v_add_co_u32 v34, s5, v34, s40
	v_add_co_ci_u32_e64 v35, null, s41, v35, s5
	v_add_co_u32 v22, s5, v22, s30
	v_add_co_ci_u32_e64 v23, null, s31, v23, s5
	;; [unrolled: 2-line block ×3, first 2 shown]
	s_add_u32 s22, s22, 32
	s_addc_u32 s23, s23, 0
	s_waitcnt lgkmcnt(4)
	v_fma_f64 v[42:43], v[54:55], v[44:45], v[42:43]
	v_fma_f64 v[40:41], v[56:57], v[44:45], v[40:41]
	s_waitcnt lgkmcnt(3)
	v_fma_f64 v[44:45], v[54:55], v[58:59], v[38:39]
	v_fma_f64 v[48:49], v[56:57], v[58:59], v[36:37]
	ds_read2_b64 v[36:39], v52 offset0:64 offset1:80
	s_cmp_ge_i32 s22, s38
	s_waitcnt lgkmcnt(2)
	v_fma_f64 v[54:55], v[66:67], v[46:47], v[42:43]
	v_fma_f64 v[46:47], v[68:69], v[46:47], v[40:41]
	;; [unrolled: 1-line block ×4, first 2 shown]
	ds_read2_b64 v[40:43], v52 offset0:96 offset1:112
	s_waitcnt lgkmcnt(1)
	v_fma_f64 v[54:55], v[36:37], v[62:63], v[54:55]
	v_fma_f64 v[56:57], v[38:39], v[62:63], v[46:47]
	;; [unrolled: 1-line block ×4, first 2 shown]
	ds_read_b128 v[36:39], v50 offset:32
	ds_read2_b64 v[44:47], v52 offset0:128 offset1:144
	s_waitcnt lgkmcnt(2)
	v_fma_f64 v[66:67], v[40:41], v[64:65], v[54:55]
	v_fma_f64 v[68:69], v[42:43], v[64:65], v[56:57]
	;; [unrolled: 1-line block ×4, first 2 shown]
	ds_read_b128 v[40:43], v50 offset:4128
	ds_read_b128 v[54:57], v50 offset:48
	ds_read2_b64 v[58:61], v52 offset0:160 offset1:176
	ds_read_b128 v[62:65], v50 offset:4144
	s_waitcnt lgkmcnt(4)
	v_fma_f64 v[66:67], v[44:45], v[36:37], v[66:67]
	v_fma_f64 v[36:37], v[46:47], v[36:37], v[68:69]
	s_waitcnt lgkmcnt(3)
	v_fma_f64 v[68:69], v[44:45], v[40:41], v[70:71]
	v_fma_f64 v[40:41], v[46:47], v[40:41], v[48:49]
	ds_read2_b64 v[44:47], v52 offset0:192 offset1:208
	s_waitcnt lgkmcnt(2)
	v_fma_f64 v[48:49], v[58:59], v[38:39], v[66:67]
	v_fma_f64 v[66:67], v[60:61], v[38:39], v[36:37]
	;; [unrolled: 1-line block ×4, first 2 shown]
	ds_read2_b64 v[36:39], v52 offset0:224 offset1:240
	s_waitcnt lgkmcnt(1)
	v_fma_f64 v[48:49], v[44:45], v[54:55], v[48:49]
	v_fma_f64 v[54:55], v[46:47], v[54:55], v[66:67]
	;; [unrolled: 1-line block ×4, first 2 shown]
	ds_read_b128 v[40:43], v50 offset:64
	ds_read2_b64 v[44:47], v13 offset1:16
	s_waitcnt lgkmcnt(2)
	v_fma_f64 v[48:49], v[36:37], v[56:57], v[48:49]
	v_fma_f64 v[66:67], v[38:39], v[56:57], v[54:55]
	;; [unrolled: 1-line block ×4, first 2 shown]
	ds_read_b128 v[36:39], v50 offset:4160
	ds_read_b128 v[54:57], v50 offset:80
	;; [unrolled: 1-line block ×3, first 2 shown]
	ds_read2_b64 v[62:65], v13 offset0:32 offset1:48
	s_waitcnt lgkmcnt(4)
	v_fma_f64 v[48:49], v[44:45], v[40:41], v[48:49]
	v_fma_f64 v[40:41], v[46:47], v[40:41], v[66:67]
	s_waitcnt lgkmcnt(3)
	v_fma_f64 v[66:67], v[44:45], v[36:37], v[68:69]
	v_fma_f64 v[36:37], v[46:47], v[36:37], v[70:71]
	ds_read2_b64 v[44:47], v13 offset0:64 offset1:80
	s_waitcnt lgkmcnt(1)
	v_fma_f64 v[48:49], v[62:63], v[42:43], v[48:49]
	v_fma_f64 v[40:41], v[64:65], v[42:43], v[40:41]
	;; [unrolled: 1-line block ×4, first 2 shown]
	ds_read2_b64 v[36:39], v13 offset0:96 offset1:112
	s_waitcnt lgkmcnt(1)
	v_fma_f64 v[48:49], v[44:45], v[54:55], v[48:49]
	v_fma_f64 v[54:55], v[46:47], v[54:55], v[40:41]
	;; [unrolled: 1-line block ×4, first 2 shown]
	ds_read_b128 v[40:43], v50 offset:96
	ds_read2_b64 v[44:47], v13 offset0:128 offset1:144
	s_waitcnt lgkmcnt(2)
	v_fma_f64 v[48:49], v[36:37], v[56:57], v[48:49]
	v_fma_f64 v[66:67], v[38:39], v[56:57], v[54:55]
	;; [unrolled: 1-line block ×4, first 2 shown]
	ds_read_b128 v[36:39], v50 offset:4192
	ds_read_b128 v[54:57], v50 offset:112
	;; [unrolled: 1-line block ×3, first 2 shown]
	ds_read2_b64 v[62:65], v13 offset0:160 offset1:176
	s_waitcnt lgkmcnt(4)
	v_fma_f64 v[48:49], v[44:45], v[40:41], v[48:49]
	v_fma_f64 v[40:41], v[46:47], v[40:41], v[66:67]
	s_waitcnt lgkmcnt(3)
	v_fma_f64 v[66:67], v[44:45], v[36:37], v[68:69]
	v_fma_f64 v[36:37], v[46:47], v[36:37], v[70:71]
	ds_read2_b64 v[44:47], v13 offset0:192 offset1:208
	s_waitcnt lgkmcnt(1)
	v_fma_f64 v[48:49], v[62:63], v[42:43], v[48:49]
	v_fma_f64 v[40:41], v[64:65], v[42:43], v[40:41]
	;; [unrolled: 1-line block ×4, first 2 shown]
	ds_read2_b64 v[36:39], v13 offset0:224 offset1:240
	v_add_nc_u32_e32 v13, 0x1000, v52
	s_waitcnt lgkmcnt(1)
	v_fma_f64 v[48:49], v[44:45], v[54:55], v[48:49]
	v_fma_f64 v[54:55], v[46:47], v[54:55], v[40:41]
	;; [unrolled: 1-line block ×4, first 2 shown]
	ds_read_b128 v[40:43], v50 offset:128
	ds_read2_b64 v[44:47], v13 offset1:16
	s_waitcnt lgkmcnt(2)
	v_fma_f64 v[48:49], v[36:37], v[56:57], v[48:49]
	v_fma_f64 v[66:67], v[38:39], v[56:57], v[54:55]
	;; [unrolled: 1-line block ×4, first 2 shown]
	ds_read_b128 v[36:39], v50 offset:4224
	ds_read_b128 v[54:57], v50 offset:144
	;; [unrolled: 1-line block ×3, first 2 shown]
	ds_read2_b64 v[62:65], v13 offset0:32 offset1:48
	s_waitcnt lgkmcnt(4)
	v_fma_f64 v[48:49], v[44:45], v[40:41], v[48:49]
	v_fma_f64 v[40:41], v[46:47], v[40:41], v[66:67]
	s_waitcnt lgkmcnt(3)
	v_fma_f64 v[66:67], v[44:45], v[36:37], v[68:69]
	v_fma_f64 v[36:37], v[46:47], v[36:37], v[70:71]
	ds_read2_b64 v[44:47], v13 offset0:64 offset1:80
	s_waitcnt lgkmcnt(1)
	v_fma_f64 v[48:49], v[62:63], v[42:43], v[48:49]
	v_fma_f64 v[40:41], v[64:65], v[42:43], v[40:41]
	;; [unrolled: 1-line block ×4, first 2 shown]
	ds_read2_b64 v[36:39], v13 offset0:96 offset1:112
	s_waitcnt lgkmcnt(1)
	v_fma_f64 v[48:49], v[44:45], v[54:55], v[48:49]
	v_fma_f64 v[54:55], v[46:47], v[54:55], v[40:41]
	;; [unrolled: 1-line block ×4, first 2 shown]
	ds_read_b128 v[40:43], v50 offset:160
	ds_read2_b64 v[44:47], v13 offset0:128 offset1:144
	s_waitcnt lgkmcnt(2)
	v_fma_f64 v[48:49], v[36:37], v[56:57], v[48:49]
	v_fma_f64 v[66:67], v[38:39], v[56:57], v[54:55]
	;; [unrolled: 1-line block ×4, first 2 shown]
	ds_read_b128 v[36:39], v50 offset:4256
	ds_read_b128 v[54:57], v50 offset:176
	;; [unrolled: 1-line block ×3, first 2 shown]
	ds_read2_b64 v[62:65], v13 offset0:160 offset1:176
	s_waitcnt lgkmcnt(4)
	v_fma_f64 v[48:49], v[44:45], v[40:41], v[48:49]
	v_fma_f64 v[40:41], v[46:47], v[40:41], v[66:67]
	s_waitcnt lgkmcnt(3)
	v_fma_f64 v[66:67], v[44:45], v[36:37], v[68:69]
	v_fma_f64 v[36:37], v[46:47], v[36:37], v[70:71]
	ds_read2_b64 v[44:47], v13 offset0:192 offset1:208
	s_waitcnt lgkmcnt(1)
	v_fma_f64 v[48:49], v[62:63], v[42:43], v[48:49]
	v_fma_f64 v[40:41], v[64:65], v[42:43], v[40:41]
	;; [unrolled: 1-line block ×4, first 2 shown]
	ds_read2_b64 v[36:39], v13 offset0:224 offset1:240
	v_add_nc_u32_e32 v13, 0x1800, v52
	s_waitcnt lgkmcnt(1)
	v_fma_f64 v[48:49], v[44:45], v[54:55], v[48:49]
	v_fma_f64 v[54:55], v[46:47], v[54:55], v[40:41]
	;; [unrolled: 1-line block ×4, first 2 shown]
	ds_read_b128 v[40:43], v50 offset:192
	ds_read2_b64 v[44:47], v13 offset1:16
	s_waitcnt lgkmcnt(2)
	v_fma_f64 v[48:49], v[36:37], v[56:57], v[48:49]
	v_fma_f64 v[66:67], v[38:39], v[56:57], v[54:55]
	;; [unrolled: 1-line block ×4, first 2 shown]
	ds_read_b128 v[36:39], v50 offset:4288
	ds_read_b128 v[54:57], v50 offset:208
	;; [unrolled: 1-line block ×3, first 2 shown]
	ds_read2_b64 v[62:65], v13 offset0:32 offset1:48
	s_waitcnt lgkmcnt(4)
	v_fma_f64 v[48:49], v[44:45], v[40:41], v[48:49]
	v_fma_f64 v[40:41], v[46:47], v[40:41], v[66:67]
	s_waitcnt lgkmcnt(3)
	v_fma_f64 v[66:67], v[44:45], v[36:37], v[68:69]
	v_fma_f64 v[36:37], v[46:47], v[36:37], v[70:71]
	ds_read2_b64 v[44:47], v13 offset0:64 offset1:80
	s_waitcnt lgkmcnt(1)
	v_fma_f64 v[48:49], v[62:63], v[42:43], v[48:49]
	v_fma_f64 v[40:41], v[64:65], v[42:43], v[40:41]
	;; [unrolled: 1-line block ×4, first 2 shown]
	ds_read2_b64 v[36:39], v13 offset0:96 offset1:112
	s_waitcnt lgkmcnt(1)
	v_fma_f64 v[48:49], v[44:45], v[54:55], v[48:49]
	v_fma_f64 v[54:55], v[46:47], v[54:55], v[40:41]
	;; [unrolled: 1-line block ×4, first 2 shown]
	ds_read_b128 v[40:43], v50 offset:224
	ds_read2_b64 v[44:47], v13 offset0:128 offset1:144
	s_waitcnt lgkmcnt(2)
	v_fma_f64 v[48:49], v[36:37], v[56:57], v[48:49]
	v_fma_f64 v[66:67], v[38:39], v[56:57], v[54:55]
	;; [unrolled: 1-line block ×4, first 2 shown]
	ds_read_b128 v[36:39], v50 offset:4320
	ds_read_b128 v[54:57], v50 offset:240
	;; [unrolled: 1-line block ×3, first 2 shown]
	ds_read2_b64 v[62:65], v13 offset0:160 offset1:176
	s_waitcnt lgkmcnt(4)
	v_fma_f64 v[48:49], v[44:45], v[40:41], v[48:49]
	v_fma_f64 v[40:41], v[46:47], v[40:41], v[66:67]
	s_waitcnt lgkmcnt(3)
	v_fma_f64 v[66:67], v[44:45], v[36:37], v[68:69]
	v_fma_f64 v[36:37], v[46:47], v[36:37], v[70:71]
	ds_read2_b64 v[44:47], v13 offset0:192 offset1:208
	s_waitcnt lgkmcnt(1)
	v_fma_f64 v[48:49], v[62:63], v[42:43], v[48:49]
	v_fma_f64 v[40:41], v[64:65], v[42:43], v[40:41]
	;; [unrolled: 1-line block ×4, first 2 shown]
	ds_read2_b64 v[62:65], v13 offset0:224 offset1:240
	s_waitcnt lgkmcnt(0)
	s_barrier
	buffer_gl0_inv
	v_fma_f64 v[38:39], v[44:45], v[54:55], v[48:49]
	v_fma_f64 v[40:41], v[46:47], v[54:55], v[40:41]
	;; [unrolled: 1-line block ×8, first 2 shown]
	s_cbranch_scc1 .LBB58_44
.LBB58_7:                               ;   Parent Loop BB58_4 Depth=1
                                        ; =>  This Inner Loop Header: Depth=2
	v_add_co_u32 v44, s5, v4, s22
	v_add_co_ci_u32_e64 v45, null, s23, v5, s5
	v_cmp_eq_u64_e64 s8, s[22:23], v[16:17]
	v_add_co_u32 v46, s9, v24, v20
	v_cmp_lt_i64_e64 s5, v[44:45], v[14:15]
	v_cmp_le_i64_e64 s6, s[14:15], v[44:45]
	v_add_co_ci_u32_e64 v47, null, v25, v21, s9
	s_and_b32 s39, s46, s8
                                        ; implicit-def: $vgpr48_vgpr49
	s_or_b32 s9, s3, s5
	s_or_b32 s8, s6, s9
	s_nor_b32 s8, s8, s39
	s_and_saveexec_b32 s9, s8
	s_xor_b32 s8, exec_lo, s9
	s_cbranch_execz .LBB58_9
; %bb.8:                                ;   in Loop: Header=BB58_7 Depth=2
	global_load_dwordx2 v[48:49], v[46:47], off
.LBB58_9:                               ;   in Loop: Header=BB58_7 Depth=2
	s_andn2_saveexec_b32 s8, s8
	s_cbranch_execz .LBB58_11
; %bb.10:                               ;   in Loop: Header=BB58_7 Depth=2
	v_cndmask_b32_e64 v13, 0, 0x3ff00000, s39
	s_waitcnt vmcnt(0)
	v_mov_b32_e32 v49, v13
	v_mov_b32_e32 v48, v12
.LBB58_11:                              ;   in Loop: Header=BB58_7 Depth=2
	s_or_b32 exec_lo, exec_lo, s8
	v_add_co_u32 v54, s8, v44, 16
	v_add_co_ci_u32_e64 v55, null, 0, v45, s8
	v_cmp_eq_u64_e64 s10, s[22:23], v[32:33]
	s_waitcnt vmcnt(0)
	ds_write_b64 v51, v[48:49]
	v_cmp_lt_i64_e64 s9, v[54:55], v[14:15]
	v_cmp_le_i64_e64 s8, s[14:15], v[54:55]
	s_and_b32 s10, s46, s10
	s_or_b32 s9, s3, s9
	s_or_b32 s9, s8, s9
	s_nor_b32 s9, s9, s10
	s_and_saveexec_b32 s48, s9
	s_xor_b32 s48, exec_lo, s48
	s_cbranch_execz .LBB58_13
; %bb.12:                               ;   in Loop: Header=BB58_7 Depth=2
	v_add_co_u32 v48, s9, v22, v20
	v_add_co_ci_u32_e64 v49, null, v23, v21, s9
	global_load_dwordx2 v[48:49], v[48:49], off
	s_waitcnt vmcnt(0)
	ds_write_b64 v51, v[48:49] offset:128
.LBB58_13:                              ;   in Loop: Header=BB58_7 Depth=2
	s_andn2_saveexec_b32 s9, s48
	s_cbranch_execz .LBB58_19
; %bb.14:                               ;   in Loop: Header=BB58_7 Depth=2
	s_xor_b32 s10, s10, -1
	s_and_saveexec_b32 s48, s10
	s_xor_b32 s10, exec_lo, s48
; %bb.15:                               ;   in Loop: Header=BB58_7 Depth=2
	v_mov_b32_e32 v13, v12
	ds_write_b64 v51, v[12:13] offset:128
; %bb.16:                               ;   in Loop: Header=BB58_7 Depth=2
	s_andn2_saveexec_b32 s10, s10
; %bb.17:                               ;   in Loop: Header=BB58_7 Depth=2
	v_mov_b32_e32 v13, v0
	ds_write_b64 v51, v[12:13] offset:128
; %bb.18:                               ;   in Loop: Header=BB58_7 Depth=2
	s_or_b32 exec_lo, exec_lo, s10
.LBB58_19:                              ;   in Loop: Header=BB58_7 Depth=2
	s_or_b32 exec_lo, exec_lo, s9
	v_cmp_eq_u64_e64 s9, s[22:23], v[30:31]
	v_cmp_lt_i64_e64 s10, v[44:45], v[28:29]
                                        ; implicit-def: $vgpr44_vgpr45
	s_and_b32 s9, s46, s9
	s_or_b32 s10, s4, s10
	s_or_b32 s10, s10, s9
	s_nor_b32 s6, s6, s10
	s_and_saveexec_b32 s10, s6
	s_xor_b32 s6, exec_lo, s10
	s_cbranch_execz .LBB58_21
; %bb.20:                               ;   in Loop: Header=BB58_7 Depth=2
	global_load_dwordx2 v[44:45], v[46:47], off offset:128
.LBB58_21:                              ;   in Loop: Header=BB58_7 Depth=2
	s_andn2_saveexec_b32 s6, s6
	s_cbranch_execz .LBB58_23
; %bb.22:                               ;   in Loop: Header=BB58_7 Depth=2
	v_cndmask_b32_e64 v13, 0, 0x3ff00000, s9
	s_waitcnt vmcnt(0)
	v_mov_b32_e32 v45, v13
	v_mov_b32_e32 v44, v12
.LBB58_23:                              ;   in Loop: Header=BB58_7 Depth=2
	s_or_b32 exec_lo, exec_lo, s6
	s_or_b32 s5, s4, s5
	s_waitcnt vmcnt(0)
	ds_write_b64 v51, v[44:45] offset:4096
	s_or_b32 s5, s8, s5
	s_nor_b32 s5, s5, s39
	s_and_saveexec_b32 s6, s5
	s_xor_b32 s6, exec_lo, s6
	s_cbranch_execz .LBB58_25
; %bb.24:                               ;   in Loop: Header=BB58_7 Depth=2
	v_add_co_u32 v44, s5, v22, v20
	v_add_co_ci_u32_e64 v45, null, v23, v21, s5
	global_load_dwordx2 v[44:45], v[44:45], off offset:128
	s_waitcnt vmcnt(0)
	ds_write_b64 v51, v[44:45] offset:4224
.LBB58_25:                              ;   in Loop: Header=BB58_7 Depth=2
	s_andn2_saveexec_b32 s5, s6
	s_cbranch_execz .LBB58_31
; %bb.26:                               ;   in Loop: Header=BB58_7 Depth=2
	s_xor_b32 s6, s39, -1
	s_and_saveexec_b32 s8, s6
	s_xor_b32 s6, exec_lo, s8
; %bb.27:                               ;   in Loop: Header=BB58_7 Depth=2
	v_mov_b32_e32 v13, v12
	ds_write_b64 v51, v[12:13] offset:4224
; %bb.28:                               ;   in Loop: Header=BB58_7 Depth=2
	s_andn2_saveexec_b32 s6, s6
; %bb.29:                               ;   in Loop: Header=BB58_7 Depth=2
	v_mov_b32_e32 v13, v0
	ds_write_b64 v51, v[12:13] offset:4224
; %bb.30:                               ;   in Loop: Header=BB58_7 Depth=2
	s_or_b32 exec_lo, exec_lo, s6
.LBB58_31:                              ;   in Loop: Header=BB58_7 Depth=2
	s_or_b32 exec_lo, exec_lo, s5
	v_add_co_u32 v44, s5, v8, s22
	v_add_co_ci_u32_e64 v45, null, s23, v9, s5
	v_add_co_u32 v46, s6, v18, v34
	v_mov_b32_e32 v48, 0
	v_cmp_le_i64_e64 s5, s[14:15], v[44:45]
	v_mov_b32_e32 v49, 0
	v_add_co_ci_u32_e64 v47, null, v19, v35, s6
	s_nor_b32 s8, s5, s1
	s_and_saveexec_b32 s6, s8
	s_cbranch_execz .LBB58_33
; %bb.32:                               ;   in Loop: Header=BB58_7 Depth=2
	global_load_dwordx2 v[48:49], v[46:47], off offset:-128
.LBB58_33:                              ;   in Loop: Header=BB58_7 Depth=2
	s_or_b32 exec_lo, exec_lo, s6
	s_nor_b32 s5, s5, s2
	s_waitcnt vmcnt(0)
	ds_write_b64 v53, v[48:49]
	s_and_saveexec_b32 s6, s5
	s_xor_b32 s5, exec_lo, s6
	s_cbranch_execz .LBB58_35
; %bb.34:                               ;   in Loop: Header=BB58_7 Depth=2
	global_load_dwordx2 v[46:47], v[46:47], off
	s_waitcnt vmcnt(0)
	ds_write_b64 v53, v[46:47] offset:128
.LBB58_35:                              ;   in Loop: Header=BB58_7 Depth=2
	s_andn2_saveexec_b32 s5, s5
; %bb.36:                               ;   in Loop: Header=BB58_7 Depth=2
	v_mov_b32_e32 v13, v12
	ds_write_b64 v53, v[12:13] offset:128
; %bb.37:                               ;   in Loop: Header=BB58_7 Depth=2
	s_or_b32 exec_lo, exec_lo, s5
	v_cmp_le_i64_e64 s5, s[12:13], v[44:45]
	v_add_co_u32 v44, s6, v26, v34
	v_mov_b32_e32 v46, 0
	v_mov_b32_e32 v47, 0
	v_add_co_ci_u32_e64 v45, null, v27, v35, s6
	s_nor_b32 s8, s5, s1
	s_and_saveexec_b32 s6, s8
	s_cbranch_execz .LBB58_39
; %bb.38:                               ;   in Loop: Header=BB58_7 Depth=2
	global_load_dwordx2 v[46:47], v[44:45], off
.LBB58_39:                              ;   in Loop: Header=BB58_7 Depth=2
	s_or_b32 exec_lo, exec_lo, s6
	s_nor_b32 s5, s5, s2
	s_waitcnt vmcnt(0)
	ds_write_b64 v53, v[46:47] offset:4096
	s_and_saveexec_b32 s6, s5
	s_xor_b32 s5, exec_lo, s6
	s_cbranch_execz .LBB58_41
; %bb.40:                               ;   in Loop: Header=BB58_7 Depth=2
	global_load_dwordx2 v[44:45], v[44:45], off offset:128
	s_waitcnt vmcnt(0)
	ds_write_b64 v53, v[44:45] offset:4224
.LBB58_41:                              ;   in Loop: Header=BB58_7 Depth=2
	s_andn2_saveexec_b32 s5, s5
	s_cbranch_execz .LBB58_6
; %bb.42:                               ;   in Loop: Header=BB58_7 Depth=2
	v_mov_b32_e32 v13, v12
	ds_write_b64 v53, v[12:13] offset:4224
	s_branch .LBB58_6
.LBB58_43:                              ;   in Loop: Header=BB58_4 Depth=1
	v_mov_b32_e32 v42, 0
	v_mov_b32_e32 v40, 0
	;; [unrolled: 1-line block ×8, first 2 shown]
.LBB58_44:                              ;   in Loop: Header=BB58_4 Depth=1
	v_mul_lo_u32 v5, s29, v14
	v_mul_lo_u32 v9, s28, v15
	v_mad_u64_u32 v[15:16], null, s28, v14, 0
	v_cmp_gt_i32_e64 s3, s14, v14
	v_add3_u32 v16, v16, v9, v5
	v_lshlrev_b64 v[15:16], 3, v[15:16]
	v_add_co_u32 v5, s4, s44, v15
	v_add_co_ci_u32_e64 v9, null, s45, v16, s4
	s_and_b32 s4, vcc_lo, s3
	s_and_saveexec_b32 s5, s4
	s_cbranch_execz .LBB58_46
; %bb.45:                               ;   in Loop: Header=BB58_4 Depth=1
	v_add_co_u32 v15, s4, v5, v6
	v_add_co_ci_u32_e64 v16, null, v9, v7, s4
	global_load_dwordx2 v[17:18], v[15:16], off
	s_waitcnt vmcnt(0)
	v_fma_f64 v[17:18], s[34:35], v[42:43], v[17:18]
	global_store_dwordx2 v[15:16], v[17:18], off
.LBB58_46:                              ;   in Loop: Header=BB58_4 Depth=1
	s_or_b32 exec_lo, exec_lo, s5
	s_and_b32 s3, s0, s3
	s_and_saveexec_b32 s4, s3
	s_cbranch_execz .LBB58_48
; %bb.47:                               ;   in Loop: Header=BB58_4 Depth=1
	v_lshlrev_b64 v[15:16], 3, v[2:3]
	v_add_co_u32 v15, s3, v5, v15
	v_add_co_ci_u32_e64 v16, null, v9, v16, s3
	global_load_dwordx2 v[17:18], v[15:16], off
	s_waitcnt vmcnt(0)
	v_fma_f64 v[17:18], s[34:35], v[40:41], v[17:18]
	global_store_dwordx2 v[15:16], v[17:18], off
.LBB58_48:                              ;   in Loop: Header=BB58_4 Depth=1
	s_or_b32 exec_lo, exec_lo, s4
	v_add_nc_u32_e32 v5, 16, v14
	v_ashrrev_i32_e32 v9, 31, v5
	v_mul_lo_u32 v15, s29, v5
	v_mad_u64_u32 v[13:14], null, s28, v5, 0
	v_cmp_gt_i32_e64 s3, s14, v5
	v_mul_lo_u32 v9, s28, v9
	v_add3_u32 v14, v14, v9, v15
	v_lshlrev_b64 v[13:14], 3, v[13:14]
	v_add_co_u32 v5, s4, s44, v13
	v_add_co_ci_u32_e64 v9, null, s45, v14, s4
	s_and_b32 s4, vcc_lo, s3
	s_and_saveexec_b32 s5, s4
	s_cbranch_execz .LBB58_50
; %bb.49:                               ;   in Loop: Header=BB58_4 Depth=1
	v_add_co_u32 v13, s4, v5, v6
	v_add_co_ci_u32_e64 v14, null, v9, v7, s4
	global_load_dwordx2 v[15:16], v[13:14], off
	s_waitcnt vmcnt(0)
	v_fma_f64 v[15:16], s[34:35], v[38:39], v[15:16]
	global_store_dwordx2 v[13:14], v[15:16], off
.LBB58_50:                              ;   in Loop: Header=BB58_4 Depth=1
	s_or_b32 exec_lo, exec_lo, s5
	s_and_b32 s3, s0, s3
	s_and_saveexec_b32 s4, s3
	s_cbranch_execz .LBB58_3
; %bb.51:                               ;   in Loop: Header=BB58_4 Depth=1
	v_lshlrev_b64 v[13:14], 3, v[2:3]
	v_add_co_u32 v13, s3, v5, v13
	v_add_co_ci_u32_e64 v14, null, v9, v14, s3
	global_load_dwordx2 v[15:16], v[13:14], off
	s_waitcnt vmcnt(0)
	v_fma_f64 v[15:16], s[34:35], v[36:37], v[15:16]
	global_store_dwordx2 v[13:14], v[15:16], off
	s_branch .LBB58_3
.LBB58_52:
	s_endpgm
	.section	.rodata,"a",@progbits
	.p2align	6, 0x0
	.amdhsa_kernel _ZL30rocblas_trmm_outofplace_kernelIdLi32ELi2ELb0ELb1ELb1ELb1EPKdS0_dEv17rocblas_diagonal_iiT6_lPT7_lllS5_lllPT8_llli
		.amdhsa_group_segment_fixed_size 16384
		.amdhsa_private_segment_fixed_size 0
		.amdhsa_kernarg_size 392
		.amdhsa_user_sgpr_count 6
		.amdhsa_user_sgpr_private_segment_buffer 1
		.amdhsa_user_sgpr_dispatch_ptr 0
		.amdhsa_user_sgpr_queue_ptr 0
		.amdhsa_user_sgpr_kernarg_segment_ptr 1
		.amdhsa_user_sgpr_dispatch_id 0
		.amdhsa_user_sgpr_flat_scratch_init 0
		.amdhsa_user_sgpr_private_segment_size 0
		.amdhsa_wavefront_size32 1
		.amdhsa_uses_dynamic_stack 0
		.amdhsa_system_sgpr_private_segment_wavefront_offset 0
		.amdhsa_system_sgpr_workgroup_id_x 1
		.amdhsa_system_sgpr_workgroup_id_y 1
		.amdhsa_system_sgpr_workgroup_id_z 1
		.amdhsa_system_sgpr_workgroup_info 0
		.amdhsa_system_vgpr_workitem_id 1
		.amdhsa_next_free_vgpr 74
		.amdhsa_next_free_sgpr 49
		.amdhsa_reserve_vcc 1
		.amdhsa_reserve_flat_scratch 0
		.amdhsa_float_round_mode_32 0
		.amdhsa_float_round_mode_16_64 0
		.amdhsa_float_denorm_mode_32 3
		.amdhsa_float_denorm_mode_16_64 3
		.amdhsa_dx10_clamp 1
		.amdhsa_ieee_mode 1
		.amdhsa_fp16_overflow 0
		.amdhsa_workgroup_processor_mode 1
		.amdhsa_memory_ordered 1
		.amdhsa_forward_progress 1
		.amdhsa_shared_vgpr_count 0
		.amdhsa_exception_fp_ieee_invalid_op 0
		.amdhsa_exception_fp_denorm_src 0
		.amdhsa_exception_fp_ieee_div_zero 0
		.amdhsa_exception_fp_ieee_overflow 0
		.amdhsa_exception_fp_ieee_underflow 0
		.amdhsa_exception_fp_ieee_inexact 0
		.amdhsa_exception_int_div_zero 0
	.end_amdhsa_kernel
	.section	.text._ZL30rocblas_trmm_outofplace_kernelIdLi32ELi2ELb0ELb1ELb1ELb1EPKdS0_dEv17rocblas_diagonal_iiT6_lPT7_lllS5_lllPT8_llli,"axG",@progbits,_ZL30rocblas_trmm_outofplace_kernelIdLi32ELi2ELb0ELb1ELb1ELb1EPKdS0_dEv17rocblas_diagonal_iiT6_lPT7_lllS5_lllPT8_llli,comdat
.Lfunc_end58:
	.size	_ZL30rocblas_trmm_outofplace_kernelIdLi32ELi2ELb0ELb1ELb1ELb1EPKdS0_dEv17rocblas_diagonal_iiT6_lPT7_lllS5_lllPT8_llli, .Lfunc_end58-_ZL30rocblas_trmm_outofplace_kernelIdLi32ELi2ELb0ELb1ELb1ELb1EPKdS0_dEv17rocblas_diagonal_iiT6_lPT7_lllS5_lllPT8_llli
                                        ; -- End function
	.set _ZL30rocblas_trmm_outofplace_kernelIdLi32ELi2ELb0ELb1ELb1ELb1EPKdS0_dEv17rocblas_diagonal_iiT6_lPT7_lllS5_lllPT8_llli.num_vgpr, 74
	.set _ZL30rocblas_trmm_outofplace_kernelIdLi32ELi2ELb0ELb1ELb1ELb1EPKdS0_dEv17rocblas_diagonal_iiT6_lPT7_lllS5_lllPT8_llli.num_agpr, 0
	.set _ZL30rocblas_trmm_outofplace_kernelIdLi32ELi2ELb0ELb1ELb1ELb1EPKdS0_dEv17rocblas_diagonal_iiT6_lPT7_lllS5_lllPT8_llli.numbered_sgpr, 49
	.set _ZL30rocblas_trmm_outofplace_kernelIdLi32ELi2ELb0ELb1ELb1ELb1EPKdS0_dEv17rocblas_diagonal_iiT6_lPT7_lllS5_lllPT8_llli.num_named_barrier, 0
	.set _ZL30rocblas_trmm_outofplace_kernelIdLi32ELi2ELb0ELb1ELb1ELb1EPKdS0_dEv17rocblas_diagonal_iiT6_lPT7_lllS5_lllPT8_llli.private_seg_size, 0
	.set _ZL30rocblas_trmm_outofplace_kernelIdLi32ELi2ELb0ELb1ELb1ELb1EPKdS0_dEv17rocblas_diagonal_iiT6_lPT7_lllS5_lllPT8_llli.uses_vcc, 1
	.set _ZL30rocblas_trmm_outofplace_kernelIdLi32ELi2ELb0ELb1ELb1ELb1EPKdS0_dEv17rocblas_diagonal_iiT6_lPT7_lllS5_lllPT8_llli.uses_flat_scratch, 0
	.set _ZL30rocblas_trmm_outofplace_kernelIdLi32ELi2ELb0ELb1ELb1ELb1EPKdS0_dEv17rocblas_diagonal_iiT6_lPT7_lllS5_lllPT8_llli.has_dyn_sized_stack, 0
	.set _ZL30rocblas_trmm_outofplace_kernelIdLi32ELi2ELb0ELb1ELb1ELb1EPKdS0_dEv17rocblas_diagonal_iiT6_lPT7_lllS5_lllPT8_llli.has_recursion, 0
	.set _ZL30rocblas_trmm_outofplace_kernelIdLi32ELi2ELb0ELb1ELb1ELb1EPKdS0_dEv17rocblas_diagonal_iiT6_lPT7_lllS5_lllPT8_llli.has_indirect_call, 0
	.section	.AMDGPU.csdata,"",@progbits
; Kernel info:
; codeLenInByte = 3840
; TotalNumSgprs: 51
; NumVgprs: 74
; ScratchSize: 0
; MemoryBound: 0
; FloatMode: 240
; IeeeMode: 1
; LDSByteSize: 16384 bytes/workgroup (compile time only)
; SGPRBlocks: 0
; VGPRBlocks: 9
; NumSGPRsForWavesPerEU: 51
; NumVGPRsForWavesPerEU: 74
; Occupancy: 12
; WaveLimiterHint : 0
; COMPUTE_PGM_RSRC2:SCRATCH_EN: 0
; COMPUTE_PGM_RSRC2:USER_SGPR: 6
; COMPUTE_PGM_RSRC2:TRAP_HANDLER: 0
; COMPUTE_PGM_RSRC2:TGID_X_EN: 1
; COMPUTE_PGM_RSRC2:TGID_Y_EN: 1
; COMPUTE_PGM_RSRC2:TGID_Z_EN: 1
; COMPUTE_PGM_RSRC2:TIDIG_COMP_CNT: 1
	.section	.text._ZL30rocblas_trmm_outofplace_kernelIdLi32ELi2ELb0ELb1ELb1ELb1EdKddEv17rocblas_diagonal_iiT6_lPT7_lllS4_lllPT8_llli,"axG",@progbits,_ZL30rocblas_trmm_outofplace_kernelIdLi32ELi2ELb0ELb1ELb1ELb1EdKddEv17rocblas_diagonal_iiT6_lPT7_lllS4_lllPT8_llli,comdat
	.globl	_ZL30rocblas_trmm_outofplace_kernelIdLi32ELi2ELb0ELb1ELb1ELb1EdKddEv17rocblas_diagonal_iiT6_lPT7_lllS4_lllPT8_llli ; -- Begin function _ZL30rocblas_trmm_outofplace_kernelIdLi32ELi2ELb0ELb1ELb1ELb1EdKddEv17rocblas_diagonal_iiT6_lPT7_lllS4_lllPT8_llli
	.p2align	8
	.type	_ZL30rocblas_trmm_outofplace_kernelIdLi32ELi2ELb0ELb1ELb1ELb1EdKddEv17rocblas_diagonal_iiT6_lPT7_lllS4_lllPT8_llli,@function
_ZL30rocblas_trmm_outofplace_kernelIdLi32ELi2ELb0ELb1ELb1ELb1EdKddEv17rocblas_diagonal_iiT6_lPT7_lllS4_lllPT8_llli: ; @_ZL30rocblas_trmm_outofplace_kernelIdLi32ELi2ELb0ELb1ELb1ELb1EdKddEv17rocblas_diagonal_iiT6_lPT7_lllS4_lllPT8_llli
; %bb.0:
	s_load_dwordx2 s[34:35], s[4:5], 0x10
	s_waitcnt lgkmcnt(0)
	v_cmp_eq_f64_e64 s0, s[34:35], 0
	s_and_b32 vcc_lo, exec_lo, s0
	s_cbranch_vccnz .LBB59_52
; %bb.1:
	s_load_dwordx4 s[28:31], s[4:5], 0x0
	s_waitcnt lgkmcnt(0)
	s_add_i32 s0, s30, -1
	s_ashr_i32 s1, s0, 31
	s_lshr_b32 s1, s1, 27
	s_add_i32 s0, s0, s1
	s_ashr_i32 s11, s0, 5
	s_cmp_gt_i32 s7, s11
	s_cbranch_scc1 .LBB59_52
; %bb.2:
	s_clause 0x2
	s_load_dwordx8 s[36:43], s[4:5], 0x60
	s_load_dwordx16 s[12:27], s[4:5], 0x20
	s_load_dword s33, s[4:5], 0x8c
	v_lshl_add_u32 v5, s6, 5, v0
	v_lshlrev_b32_e32 v50, 8, v1
	v_lshlrev_b32_e32 v2, 3, v0
	v_mov_b32_e32 v12, 0
	v_ashrrev_i32_e32 v6, 31, v5
	v_cmp_gt_i32_e32 vcc_lo, s29, v5
	v_add_nc_u32_e32 v51, v50, v2
	v_or_b32_e32 v52, 0x2000, v2
	v_add_nc_u32_e32 v2, 16, v5
	v_add_nc_u32_e32 v53, v52, v50
	v_ashrrev_i32_e32 v3, 31, v2
	s_waitcnt lgkmcnt(0)
	s_mul_hi_u32 s5, s26, s8
	s_mul_i32 s1, s43, s8
	s_mul_hi_u32 s2, s42, s8
	s_mul_i32 s0, s42, s8
	s_add_i32 s1, s2, s1
	s_lshl_b64 s[0:1], s[0:1], 3
	s_add_u32 s4, s36, s0
	s_addc_u32 s1, s37, s1
	s_lshl_b64 s[2:3], s[38:39], 3
	v_cmp_gt_i32_e64 s0, s29, v2
	s_add_u32 s44, s4, s2
	s_addc_u32 s45, s1, s3
	s_cmpk_eq_i32 s28, 0x84
	v_sub_co_u32 v7, s1, s29, v5
	s_cselect_b32 s46, -1, 0
	s_ashr_i32 s31, s30, 31
	s_ashr_i32 s2, s29, 31
	s_lshl_b64 s[36:37], s[16:17], 8
	s_lshl_b64 s[38:39], s[24:25], 8
	s_add_u32 s28, s30, -16
	v_sub_co_ci_u32_e64 v8, null, s2, v6, s1
	s_addc_u32 s29, s31, -1
	s_lshl_b32 s3, s7, 5
	s_lshl_b32 s47, s33, 5
	s_mul_i32 s4, s27, s8
	s_add_u32 s42, s20, 0x80
	s_addc_u32 s43, s21, 0
	s_add_i32 s5, s5, s4
	s_mul_i32 s4, s26, s8
	s_lshl_b64 s[26:27], s[22:23], 3
	s_lshl_b64 s[4:5], s[4:5], 3
	v_cmp_gt_i64_e64 s1, 1, v[7:8]
	v_cmp_gt_i64_e64 s2, 17, v[7:8]
	s_lshl_b64 s[22:23], s[24:25], 3
	v_lshlrev_b64 v[6:7], 3, v[5:6]
	s_add_u32 s6, s4, s26
	s_addc_u32 s10, s5, s27
	s_mul_i32 s4, s19, s8
	s_mul_hi_u32 s5, s18, s8
	v_add_nc_u32_e32 v4, s3, v0
	s_add_i32 s5, s5, s4
	s_mul_i32 s4, s18, s8
	v_add_nc_u32_e32 v8, s3, v1
	s_lshl_b64 s[4:5], s[4:5], 3
	s_lshl_b64 s[8:9], s[14:15], 3
	v_add_co_u32 v10, s3, s6, v6
	v_add_co_ci_u32_e64 v11, null, s10, v7, s3
	s_add_u32 s3, s4, s8
	v_mov_b32_e32 v0, 0x3ff00000
	s_addc_u32 s4, s5, s9
	s_add_u32 s12, s12, s3
	s_addc_u32 s13, s13, s4
	s_lshl_b64 s[14:15], s[16:17], 3
	s_branch .LBB59_4
.LBB59_3:                               ;   in Loop: Header=BB59_4 Depth=1
	s_or_b32 exec_lo, exec_lo, s4
	v_add_nc_u32_e32 v4, s47, v4
	v_add_nc_u32_e32 v8, s47, v8
	s_add_i32 s7, s33, s7
	s_cmp_le_i32 s7, s11
	s_cbranch_scc0 .LBB59_52
.LBB59_4:                               ; =>This Loop Header: Depth=1
                                        ;     Child Loop BB59_7 Depth 2
	s_lshl_b32 s3, s7, 5
	v_ashrrev_i32_e32 v5, 31, v4
	v_add_nc_u32_e32 v14, s3, v1
	v_ashrrev_i32_e32 v9, 31, v8
	s_sub_i32 s26, s30, s3
	s_cmp_lt_i32 s26, 1
	v_ashrrev_i32_e32 v15, 31, v14
	s_cbranch_scc1 .LBB59_43
; %bb.5:                                ;   in Loop: Header=BB59_4 Depth=1
	v_lshlrev_b64 v[18:19], 3, v[4:5]
	v_sub_co_u32 v16, s3, v8, v4
	v_sub_co_ci_u32_e64 v17, null, v9, v5, s3
	v_lshlrev_b64 v[20:21], 3, v[8:9]
	v_add_co_u32 v13, s3, 0x80, v18
	v_add_co_ci_u32_e64 v22, null, 0, v19, s3
	v_mad_u64_u32 v[18:19], null, s22, v8, s[42:43]
	v_mul_lo_u32 v28, s22, v9
	v_mul_lo_u32 v29, s23, v8
	v_mul_lo_u32 v30, s16, v22
	v_mul_lo_u32 v31, s17, v13
	v_mad_u64_u32 v[22:23], null, s16, v13, s[12:13]
	v_add_co_u32 v13, s3, 0x80, v20
	v_add_co_ci_u32_e64 v26, null, 0, v21, s3
	v_mad_u64_u32 v[24:25], null, s14, v4, s[12:13]
	v_mul_lo_u32 v32, s14, v5
	v_mul_lo_u32 v33, s15, v4
	;; [unrolled: 1-line block ×4, first 2 shown]
	v_mad_u64_u32 v[26:27], null, s24, v13, s[20:21]
	v_add3_u32 v19, v29, v19, v28
	v_add_co_u32 v28, s3, v14, 16
	v_add_co_ci_u32_e64 v29, null, 0, v15, s3
	v_add3_u32 v23, v31, v23, v30
	v_add_co_u32 v30, s5, v16, 16
	v_add3_u32 v25, v33, v25, v32
	v_add_co_ci_u32_e64 v31, null, 0, v17, s5
	v_add_co_u32 v32, s5, v16, -16
	v_add3_u32 v27, v35, v27, v34
	v_cmp_le_i64_e64 s4, s[30:31], v[28:29]
	v_mov_b32_e32 v36, 0
	v_mov_b32_e32 v38, 0
	;; [unrolled: 1-line block ×5, first 2 shown]
	v_cmp_le_i32_e64 s3, s30, v14
	v_add_co_ci_u32_e64 v33, null, -1, v17, s5
	v_mov_b32_e32 v37, 0
	v_mov_b32_e32 v39, 0
	;; [unrolled: 1-line block ×5, first 2 shown]
	s_mov_b64 s[18:19], 0
	s_branch .LBB59_7
.LBB59_6:                               ;   in Loop: Header=BB59_7 Depth=2
	s_or_b32 exec_lo, exec_lo, s5
	s_waitcnt lgkmcnt(0)
	s_barrier
	buffer_gl0_inv
	ds_read_b128 v[44:47], v50
	ds_read2_b64 v[54:57], v52 offset1:16
	ds_read_b128 v[58:61], v50 offset:4096
	ds_read_b128 v[62:65], v50 offset:16
	ds_read2_b64 v[66:69], v52 offset0:32 offset1:48
	ds_read_b128 v[70:73], v50 offset:4112
	v_add_nc_u32_e32 v13, 0x800, v52
	v_add_co_u32 v34, s5, v34, s38
	v_add_co_ci_u32_e64 v35, null, s39, v35, s5
	v_add_co_u32 v22, s5, v22, s36
	v_add_co_ci_u32_e64 v23, null, s37, v23, s5
	;; [unrolled: 2-line block ×3, first 2 shown]
	s_add_u32 s18, s18, 32
	s_addc_u32 s19, s19, 0
	s_waitcnt lgkmcnt(4)
	v_fma_f64 v[42:43], v[54:55], v[44:45], v[42:43]
	v_fma_f64 v[40:41], v[56:57], v[44:45], v[40:41]
	s_waitcnt lgkmcnt(3)
	v_fma_f64 v[44:45], v[54:55], v[58:59], v[38:39]
	v_fma_f64 v[48:49], v[56:57], v[58:59], v[36:37]
	ds_read2_b64 v[36:39], v52 offset0:64 offset1:80
	s_cmp_ge_i32 s18, s26
	s_waitcnt lgkmcnt(2)
	v_fma_f64 v[54:55], v[66:67], v[46:47], v[42:43]
	v_fma_f64 v[46:47], v[68:69], v[46:47], v[40:41]
	;; [unrolled: 1-line block ×4, first 2 shown]
	ds_read2_b64 v[40:43], v52 offset0:96 offset1:112
	s_waitcnt lgkmcnt(1)
	v_fma_f64 v[54:55], v[36:37], v[62:63], v[54:55]
	v_fma_f64 v[56:57], v[38:39], v[62:63], v[46:47]
	;; [unrolled: 1-line block ×4, first 2 shown]
	ds_read_b128 v[36:39], v50 offset:32
	ds_read2_b64 v[44:47], v52 offset0:128 offset1:144
	s_waitcnt lgkmcnt(2)
	v_fma_f64 v[66:67], v[40:41], v[64:65], v[54:55]
	v_fma_f64 v[68:69], v[42:43], v[64:65], v[56:57]
	v_fma_f64 v[70:71], v[40:41], v[72:73], v[58:59]
	v_fma_f64 v[48:49], v[42:43], v[72:73], v[48:49]
	ds_read_b128 v[40:43], v50 offset:4128
	ds_read_b128 v[54:57], v50 offset:48
	ds_read2_b64 v[58:61], v52 offset0:160 offset1:176
	ds_read_b128 v[62:65], v50 offset:4144
	s_waitcnt lgkmcnt(4)
	v_fma_f64 v[66:67], v[44:45], v[36:37], v[66:67]
	v_fma_f64 v[36:37], v[46:47], v[36:37], v[68:69]
	s_waitcnt lgkmcnt(3)
	v_fma_f64 v[68:69], v[44:45], v[40:41], v[70:71]
	v_fma_f64 v[40:41], v[46:47], v[40:41], v[48:49]
	ds_read2_b64 v[44:47], v52 offset0:192 offset1:208
	s_waitcnt lgkmcnt(2)
	v_fma_f64 v[48:49], v[58:59], v[38:39], v[66:67]
	v_fma_f64 v[66:67], v[60:61], v[38:39], v[36:37]
	v_fma_f64 v[58:59], v[58:59], v[42:43], v[68:69]
	v_fma_f64 v[40:41], v[60:61], v[42:43], v[40:41]
	ds_read2_b64 v[36:39], v52 offset0:224 offset1:240
	s_waitcnt lgkmcnt(1)
	v_fma_f64 v[48:49], v[44:45], v[54:55], v[48:49]
	v_fma_f64 v[54:55], v[46:47], v[54:55], v[66:67]
	;; [unrolled: 1-line block ×4, first 2 shown]
	ds_read_b128 v[40:43], v50 offset:64
	ds_read2_b64 v[44:47], v13 offset1:16
	s_waitcnt lgkmcnt(2)
	v_fma_f64 v[48:49], v[36:37], v[56:57], v[48:49]
	v_fma_f64 v[66:67], v[38:39], v[56:57], v[54:55]
	;; [unrolled: 1-line block ×4, first 2 shown]
	ds_read_b128 v[36:39], v50 offset:4160
	ds_read_b128 v[54:57], v50 offset:80
	;; [unrolled: 1-line block ×3, first 2 shown]
	ds_read2_b64 v[62:65], v13 offset0:32 offset1:48
	s_waitcnt lgkmcnt(4)
	v_fma_f64 v[48:49], v[44:45], v[40:41], v[48:49]
	v_fma_f64 v[40:41], v[46:47], v[40:41], v[66:67]
	s_waitcnt lgkmcnt(3)
	v_fma_f64 v[66:67], v[44:45], v[36:37], v[68:69]
	v_fma_f64 v[36:37], v[46:47], v[36:37], v[70:71]
	ds_read2_b64 v[44:47], v13 offset0:64 offset1:80
	s_waitcnt lgkmcnt(1)
	v_fma_f64 v[48:49], v[62:63], v[42:43], v[48:49]
	v_fma_f64 v[40:41], v[64:65], v[42:43], v[40:41]
	;; [unrolled: 1-line block ×4, first 2 shown]
	ds_read2_b64 v[36:39], v13 offset0:96 offset1:112
	s_waitcnt lgkmcnt(1)
	v_fma_f64 v[48:49], v[44:45], v[54:55], v[48:49]
	v_fma_f64 v[54:55], v[46:47], v[54:55], v[40:41]
	;; [unrolled: 1-line block ×4, first 2 shown]
	ds_read_b128 v[40:43], v50 offset:96
	ds_read2_b64 v[44:47], v13 offset0:128 offset1:144
	s_waitcnt lgkmcnt(2)
	v_fma_f64 v[48:49], v[36:37], v[56:57], v[48:49]
	v_fma_f64 v[66:67], v[38:39], v[56:57], v[54:55]
	;; [unrolled: 1-line block ×4, first 2 shown]
	ds_read_b128 v[36:39], v50 offset:4192
	ds_read_b128 v[54:57], v50 offset:112
	;; [unrolled: 1-line block ×3, first 2 shown]
	ds_read2_b64 v[62:65], v13 offset0:160 offset1:176
	s_waitcnt lgkmcnt(4)
	v_fma_f64 v[48:49], v[44:45], v[40:41], v[48:49]
	v_fma_f64 v[40:41], v[46:47], v[40:41], v[66:67]
	s_waitcnt lgkmcnt(3)
	v_fma_f64 v[66:67], v[44:45], v[36:37], v[68:69]
	v_fma_f64 v[36:37], v[46:47], v[36:37], v[70:71]
	ds_read2_b64 v[44:47], v13 offset0:192 offset1:208
	s_waitcnt lgkmcnt(1)
	v_fma_f64 v[48:49], v[62:63], v[42:43], v[48:49]
	v_fma_f64 v[40:41], v[64:65], v[42:43], v[40:41]
	;; [unrolled: 1-line block ×4, first 2 shown]
	ds_read2_b64 v[36:39], v13 offset0:224 offset1:240
	v_add_nc_u32_e32 v13, 0x1000, v52
	s_waitcnt lgkmcnt(1)
	v_fma_f64 v[48:49], v[44:45], v[54:55], v[48:49]
	v_fma_f64 v[54:55], v[46:47], v[54:55], v[40:41]
	;; [unrolled: 1-line block ×4, first 2 shown]
	ds_read_b128 v[40:43], v50 offset:128
	ds_read2_b64 v[44:47], v13 offset1:16
	s_waitcnt lgkmcnt(2)
	v_fma_f64 v[48:49], v[36:37], v[56:57], v[48:49]
	v_fma_f64 v[66:67], v[38:39], v[56:57], v[54:55]
	;; [unrolled: 1-line block ×4, first 2 shown]
	ds_read_b128 v[36:39], v50 offset:4224
	ds_read_b128 v[54:57], v50 offset:144
	;; [unrolled: 1-line block ×3, first 2 shown]
	ds_read2_b64 v[62:65], v13 offset0:32 offset1:48
	s_waitcnt lgkmcnt(4)
	v_fma_f64 v[48:49], v[44:45], v[40:41], v[48:49]
	v_fma_f64 v[40:41], v[46:47], v[40:41], v[66:67]
	s_waitcnt lgkmcnt(3)
	v_fma_f64 v[66:67], v[44:45], v[36:37], v[68:69]
	v_fma_f64 v[36:37], v[46:47], v[36:37], v[70:71]
	ds_read2_b64 v[44:47], v13 offset0:64 offset1:80
	s_waitcnt lgkmcnt(1)
	v_fma_f64 v[48:49], v[62:63], v[42:43], v[48:49]
	v_fma_f64 v[40:41], v[64:65], v[42:43], v[40:41]
	;; [unrolled: 1-line block ×4, first 2 shown]
	ds_read2_b64 v[36:39], v13 offset0:96 offset1:112
	s_waitcnt lgkmcnt(1)
	v_fma_f64 v[48:49], v[44:45], v[54:55], v[48:49]
	v_fma_f64 v[54:55], v[46:47], v[54:55], v[40:41]
	;; [unrolled: 1-line block ×4, first 2 shown]
	ds_read_b128 v[40:43], v50 offset:160
	ds_read2_b64 v[44:47], v13 offset0:128 offset1:144
	s_waitcnt lgkmcnt(2)
	v_fma_f64 v[48:49], v[36:37], v[56:57], v[48:49]
	v_fma_f64 v[66:67], v[38:39], v[56:57], v[54:55]
	;; [unrolled: 1-line block ×4, first 2 shown]
	ds_read_b128 v[36:39], v50 offset:4256
	ds_read_b128 v[54:57], v50 offset:176
	;; [unrolled: 1-line block ×3, first 2 shown]
	ds_read2_b64 v[62:65], v13 offset0:160 offset1:176
	s_waitcnt lgkmcnt(4)
	v_fma_f64 v[48:49], v[44:45], v[40:41], v[48:49]
	v_fma_f64 v[40:41], v[46:47], v[40:41], v[66:67]
	s_waitcnt lgkmcnt(3)
	v_fma_f64 v[66:67], v[44:45], v[36:37], v[68:69]
	v_fma_f64 v[36:37], v[46:47], v[36:37], v[70:71]
	ds_read2_b64 v[44:47], v13 offset0:192 offset1:208
	s_waitcnt lgkmcnt(1)
	v_fma_f64 v[48:49], v[62:63], v[42:43], v[48:49]
	v_fma_f64 v[40:41], v[64:65], v[42:43], v[40:41]
	;; [unrolled: 1-line block ×4, first 2 shown]
	ds_read2_b64 v[36:39], v13 offset0:224 offset1:240
	v_add_nc_u32_e32 v13, 0x1800, v52
	s_waitcnt lgkmcnt(1)
	v_fma_f64 v[48:49], v[44:45], v[54:55], v[48:49]
	v_fma_f64 v[54:55], v[46:47], v[54:55], v[40:41]
	;; [unrolled: 1-line block ×4, first 2 shown]
	ds_read_b128 v[40:43], v50 offset:192
	ds_read2_b64 v[44:47], v13 offset1:16
	s_waitcnt lgkmcnt(2)
	v_fma_f64 v[48:49], v[36:37], v[56:57], v[48:49]
	v_fma_f64 v[66:67], v[38:39], v[56:57], v[54:55]
	;; [unrolled: 1-line block ×4, first 2 shown]
	ds_read_b128 v[36:39], v50 offset:4288
	ds_read_b128 v[54:57], v50 offset:208
	;; [unrolled: 1-line block ×3, first 2 shown]
	ds_read2_b64 v[62:65], v13 offset0:32 offset1:48
	s_waitcnt lgkmcnt(4)
	v_fma_f64 v[48:49], v[44:45], v[40:41], v[48:49]
	v_fma_f64 v[40:41], v[46:47], v[40:41], v[66:67]
	s_waitcnt lgkmcnt(3)
	v_fma_f64 v[66:67], v[44:45], v[36:37], v[68:69]
	v_fma_f64 v[36:37], v[46:47], v[36:37], v[70:71]
	ds_read2_b64 v[44:47], v13 offset0:64 offset1:80
	s_waitcnt lgkmcnt(1)
	v_fma_f64 v[48:49], v[62:63], v[42:43], v[48:49]
	v_fma_f64 v[40:41], v[64:65], v[42:43], v[40:41]
	;; [unrolled: 1-line block ×4, first 2 shown]
	ds_read2_b64 v[36:39], v13 offset0:96 offset1:112
	s_waitcnt lgkmcnt(1)
	v_fma_f64 v[48:49], v[44:45], v[54:55], v[48:49]
	v_fma_f64 v[54:55], v[46:47], v[54:55], v[40:41]
	;; [unrolled: 1-line block ×4, first 2 shown]
	ds_read_b128 v[40:43], v50 offset:224
	ds_read2_b64 v[44:47], v13 offset0:128 offset1:144
	s_waitcnt lgkmcnt(2)
	v_fma_f64 v[48:49], v[36:37], v[56:57], v[48:49]
	v_fma_f64 v[66:67], v[38:39], v[56:57], v[54:55]
	v_fma_f64 v[68:69], v[36:37], v[60:61], v[64:65]
	v_fma_f64 v[70:71], v[38:39], v[60:61], v[58:59]
	ds_read_b128 v[36:39], v50 offset:4320
	ds_read_b128 v[54:57], v50 offset:240
	ds_read_b128 v[58:61], v50 offset:4336
	ds_read2_b64 v[62:65], v13 offset0:160 offset1:176
	s_waitcnt lgkmcnt(4)
	v_fma_f64 v[48:49], v[44:45], v[40:41], v[48:49]
	v_fma_f64 v[40:41], v[46:47], v[40:41], v[66:67]
	s_waitcnt lgkmcnt(3)
	v_fma_f64 v[66:67], v[44:45], v[36:37], v[68:69]
	v_fma_f64 v[36:37], v[46:47], v[36:37], v[70:71]
	ds_read2_b64 v[44:47], v13 offset0:192 offset1:208
	s_waitcnt lgkmcnt(1)
	v_fma_f64 v[48:49], v[62:63], v[42:43], v[48:49]
	v_fma_f64 v[40:41], v[64:65], v[42:43], v[40:41]
	;; [unrolled: 1-line block ×4, first 2 shown]
	ds_read2_b64 v[62:65], v13 offset0:224 offset1:240
	s_waitcnt lgkmcnt(0)
	s_barrier
	buffer_gl0_inv
	v_fma_f64 v[38:39], v[44:45], v[54:55], v[48:49]
	v_fma_f64 v[40:41], v[46:47], v[54:55], v[40:41]
	;; [unrolled: 1-line block ×8, first 2 shown]
	s_cbranch_scc1 .LBB59_44
.LBB59_7:                               ;   Parent Loop BB59_4 Depth=1
                                        ; =>  This Inner Loop Header: Depth=2
	v_add_co_u32 v44, s5, v4, s18
	v_add_co_ci_u32_e64 v45, null, s19, v5, s5
	v_cmp_eq_u64_e64 s8, s[18:19], v[16:17]
	v_add_co_u32 v46, s9, v24, v20
	v_cmp_lt_i64_e64 s5, v[44:45], v[14:15]
	v_cmp_le_i64_e64 s6, s[30:31], v[44:45]
	v_add_co_ci_u32_e64 v47, null, v25, v21, s9
	s_and_b32 s27, s46, s8
                                        ; implicit-def: $vgpr48_vgpr49
	s_or_b32 s9, s3, s5
	s_or_b32 s8, s6, s9
	s_nor_b32 s8, s8, s27
	s_and_saveexec_b32 s9, s8
	s_xor_b32 s8, exec_lo, s9
	s_cbranch_execz .LBB59_9
; %bb.8:                                ;   in Loop: Header=BB59_7 Depth=2
	global_load_dwordx2 v[48:49], v[46:47], off
.LBB59_9:                               ;   in Loop: Header=BB59_7 Depth=2
	s_andn2_saveexec_b32 s8, s8
	s_cbranch_execz .LBB59_11
; %bb.10:                               ;   in Loop: Header=BB59_7 Depth=2
	v_cndmask_b32_e64 v13, 0, 0x3ff00000, s27
	s_waitcnt vmcnt(0)
	v_mov_b32_e32 v49, v13
	v_mov_b32_e32 v48, v12
.LBB59_11:                              ;   in Loop: Header=BB59_7 Depth=2
	s_or_b32 exec_lo, exec_lo, s8
	v_add_co_u32 v54, s8, v44, 16
	v_add_co_ci_u32_e64 v55, null, 0, v45, s8
	v_cmp_eq_u64_e64 s10, s[18:19], v[32:33]
	s_waitcnt vmcnt(0)
	ds_write_b64 v51, v[48:49]
	v_cmp_lt_i64_e64 s9, v[54:55], v[14:15]
	v_cmp_le_i64_e64 s8, s[30:31], v[54:55]
	s_and_b32 s10, s46, s10
	s_or_b32 s9, s3, s9
	s_or_b32 s9, s8, s9
	s_nor_b32 s9, s9, s10
	s_and_saveexec_b32 s48, s9
	s_xor_b32 s48, exec_lo, s48
	s_cbranch_execz .LBB59_13
; %bb.12:                               ;   in Loop: Header=BB59_7 Depth=2
	v_add_co_u32 v48, s9, v22, v20
	v_add_co_ci_u32_e64 v49, null, v23, v21, s9
	global_load_dwordx2 v[48:49], v[48:49], off
	s_waitcnt vmcnt(0)
	ds_write_b64 v51, v[48:49] offset:128
.LBB59_13:                              ;   in Loop: Header=BB59_7 Depth=2
	s_andn2_saveexec_b32 s9, s48
	s_cbranch_execz .LBB59_19
; %bb.14:                               ;   in Loop: Header=BB59_7 Depth=2
	s_xor_b32 s10, s10, -1
	s_and_saveexec_b32 s48, s10
	s_xor_b32 s10, exec_lo, s48
; %bb.15:                               ;   in Loop: Header=BB59_7 Depth=2
	v_mov_b32_e32 v13, v12
	ds_write_b64 v51, v[12:13] offset:128
; %bb.16:                               ;   in Loop: Header=BB59_7 Depth=2
	s_andn2_saveexec_b32 s10, s10
; %bb.17:                               ;   in Loop: Header=BB59_7 Depth=2
	v_mov_b32_e32 v13, v0
	ds_write_b64 v51, v[12:13] offset:128
; %bb.18:                               ;   in Loop: Header=BB59_7 Depth=2
	s_or_b32 exec_lo, exec_lo, s10
.LBB59_19:                              ;   in Loop: Header=BB59_7 Depth=2
	s_or_b32 exec_lo, exec_lo, s9
	v_cmp_eq_u64_e64 s9, s[18:19], v[30:31]
	v_cmp_lt_i64_e64 s10, v[44:45], v[28:29]
                                        ; implicit-def: $vgpr44_vgpr45
	s_and_b32 s9, s46, s9
	s_or_b32 s10, s4, s10
	s_or_b32 s10, s10, s9
	s_nor_b32 s6, s6, s10
	s_and_saveexec_b32 s10, s6
	s_xor_b32 s6, exec_lo, s10
	s_cbranch_execz .LBB59_21
; %bb.20:                               ;   in Loop: Header=BB59_7 Depth=2
	global_load_dwordx2 v[44:45], v[46:47], off offset:128
.LBB59_21:                              ;   in Loop: Header=BB59_7 Depth=2
	s_andn2_saveexec_b32 s6, s6
	s_cbranch_execz .LBB59_23
; %bb.22:                               ;   in Loop: Header=BB59_7 Depth=2
	v_cndmask_b32_e64 v13, 0, 0x3ff00000, s9
	s_waitcnt vmcnt(0)
	v_mov_b32_e32 v45, v13
	v_mov_b32_e32 v44, v12
.LBB59_23:                              ;   in Loop: Header=BB59_7 Depth=2
	s_or_b32 exec_lo, exec_lo, s6
	s_or_b32 s5, s4, s5
	s_waitcnt vmcnt(0)
	ds_write_b64 v51, v[44:45] offset:4096
	s_or_b32 s5, s8, s5
	s_nor_b32 s5, s5, s27
	s_and_saveexec_b32 s6, s5
	s_xor_b32 s6, exec_lo, s6
	s_cbranch_execz .LBB59_25
; %bb.24:                               ;   in Loop: Header=BB59_7 Depth=2
	v_add_co_u32 v44, s5, v22, v20
	v_add_co_ci_u32_e64 v45, null, v23, v21, s5
	global_load_dwordx2 v[44:45], v[44:45], off offset:128
	s_waitcnt vmcnt(0)
	ds_write_b64 v51, v[44:45] offset:4224
.LBB59_25:                              ;   in Loop: Header=BB59_7 Depth=2
	s_andn2_saveexec_b32 s5, s6
	s_cbranch_execz .LBB59_31
; %bb.26:                               ;   in Loop: Header=BB59_7 Depth=2
	s_xor_b32 s6, s27, -1
	s_and_saveexec_b32 s8, s6
	s_xor_b32 s6, exec_lo, s8
; %bb.27:                               ;   in Loop: Header=BB59_7 Depth=2
	v_mov_b32_e32 v13, v12
	ds_write_b64 v51, v[12:13] offset:4224
; %bb.28:                               ;   in Loop: Header=BB59_7 Depth=2
	s_andn2_saveexec_b32 s6, s6
; %bb.29:                               ;   in Loop: Header=BB59_7 Depth=2
	v_mov_b32_e32 v13, v0
	ds_write_b64 v51, v[12:13] offset:4224
; %bb.30:                               ;   in Loop: Header=BB59_7 Depth=2
	s_or_b32 exec_lo, exec_lo, s6
.LBB59_31:                              ;   in Loop: Header=BB59_7 Depth=2
	s_or_b32 exec_lo, exec_lo, s5
	v_add_co_u32 v44, s5, v8, s18
	v_add_co_ci_u32_e64 v45, null, s19, v9, s5
	v_add_co_u32 v46, s6, v18, v34
	v_mov_b32_e32 v48, 0
	v_cmp_le_i64_e64 s5, s[30:31], v[44:45]
	v_mov_b32_e32 v49, 0
	v_add_co_ci_u32_e64 v47, null, v19, v35, s6
	s_nor_b32 s8, s5, s1
	s_and_saveexec_b32 s6, s8
	s_cbranch_execz .LBB59_33
; %bb.32:                               ;   in Loop: Header=BB59_7 Depth=2
	global_load_dwordx2 v[48:49], v[46:47], off offset:-128
.LBB59_33:                              ;   in Loop: Header=BB59_7 Depth=2
	s_or_b32 exec_lo, exec_lo, s6
	s_nor_b32 s5, s5, s2
	s_waitcnt vmcnt(0)
	ds_write_b64 v53, v[48:49]
	s_and_saveexec_b32 s6, s5
	s_xor_b32 s5, exec_lo, s6
	s_cbranch_execz .LBB59_35
; %bb.34:                               ;   in Loop: Header=BB59_7 Depth=2
	global_load_dwordx2 v[46:47], v[46:47], off
	s_waitcnt vmcnt(0)
	ds_write_b64 v53, v[46:47] offset:128
.LBB59_35:                              ;   in Loop: Header=BB59_7 Depth=2
	s_andn2_saveexec_b32 s5, s5
; %bb.36:                               ;   in Loop: Header=BB59_7 Depth=2
	v_mov_b32_e32 v13, v12
	ds_write_b64 v53, v[12:13] offset:128
; %bb.37:                               ;   in Loop: Header=BB59_7 Depth=2
	s_or_b32 exec_lo, exec_lo, s5
	v_cmp_le_i64_e64 s5, s[28:29], v[44:45]
	v_add_co_u32 v44, s6, v26, v34
	v_mov_b32_e32 v46, 0
	v_mov_b32_e32 v47, 0
	v_add_co_ci_u32_e64 v45, null, v27, v35, s6
	s_nor_b32 s8, s5, s1
	s_and_saveexec_b32 s6, s8
	s_cbranch_execz .LBB59_39
; %bb.38:                               ;   in Loop: Header=BB59_7 Depth=2
	global_load_dwordx2 v[46:47], v[44:45], off
.LBB59_39:                              ;   in Loop: Header=BB59_7 Depth=2
	s_or_b32 exec_lo, exec_lo, s6
	s_nor_b32 s5, s5, s2
	s_waitcnt vmcnt(0)
	ds_write_b64 v53, v[46:47] offset:4096
	s_and_saveexec_b32 s6, s5
	s_xor_b32 s5, exec_lo, s6
	s_cbranch_execz .LBB59_41
; %bb.40:                               ;   in Loop: Header=BB59_7 Depth=2
	global_load_dwordx2 v[44:45], v[44:45], off offset:128
	s_waitcnt vmcnt(0)
	ds_write_b64 v53, v[44:45] offset:4224
.LBB59_41:                              ;   in Loop: Header=BB59_7 Depth=2
	s_andn2_saveexec_b32 s5, s5
	s_cbranch_execz .LBB59_6
; %bb.42:                               ;   in Loop: Header=BB59_7 Depth=2
	v_mov_b32_e32 v13, v12
	ds_write_b64 v53, v[12:13] offset:4224
	s_branch .LBB59_6
.LBB59_43:                              ;   in Loop: Header=BB59_4 Depth=1
	v_mov_b32_e32 v42, 0
	v_mov_b32_e32 v40, 0
	;; [unrolled: 1-line block ×8, first 2 shown]
.LBB59_44:                              ;   in Loop: Header=BB59_4 Depth=1
	v_mul_lo_u32 v5, s41, v14
	v_mul_lo_u32 v9, s40, v15
	v_mad_u64_u32 v[15:16], null, s40, v14, 0
	v_cmp_gt_i32_e64 s3, s30, v14
	v_add3_u32 v16, v16, v9, v5
	v_lshlrev_b64 v[15:16], 3, v[15:16]
	v_add_co_u32 v5, s4, s44, v15
	v_add_co_ci_u32_e64 v9, null, s45, v16, s4
	s_and_b32 s4, vcc_lo, s3
	s_and_saveexec_b32 s5, s4
	s_cbranch_execz .LBB59_46
; %bb.45:                               ;   in Loop: Header=BB59_4 Depth=1
	v_add_co_u32 v15, s4, v5, v6
	v_add_co_ci_u32_e64 v16, null, v9, v7, s4
	global_load_dwordx2 v[17:18], v[15:16], off
	s_waitcnt vmcnt(0)
	v_fma_f64 v[17:18], s[34:35], v[42:43], v[17:18]
	global_store_dwordx2 v[15:16], v[17:18], off
.LBB59_46:                              ;   in Loop: Header=BB59_4 Depth=1
	s_or_b32 exec_lo, exec_lo, s5
	s_and_b32 s3, s0, s3
	s_and_saveexec_b32 s4, s3
	s_cbranch_execz .LBB59_48
; %bb.47:                               ;   in Loop: Header=BB59_4 Depth=1
	v_lshlrev_b64 v[15:16], 3, v[2:3]
	v_add_co_u32 v15, s3, v5, v15
	v_add_co_ci_u32_e64 v16, null, v9, v16, s3
	global_load_dwordx2 v[17:18], v[15:16], off
	s_waitcnt vmcnt(0)
	v_fma_f64 v[17:18], s[34:35], v[40:41], v[17:18]
	global_store_dwordx2 v[15:16], v[17:18], off
.LBB59_48:                              ;   in Loop: Header=BB59_4 Depth=1
	s_or_b32 exec_lo, exec_lo, s4
	v_add_nc_u32_e32 v5, 16, v14
	v_ashrrev_i32_e32 v9, 31, v5
	v_mul_lo_u32 v15, s41, v5
	v_mad_u64_u32 v[13:14], null, s40, v5, 0
	v_cmp_gt_i32_e64 s3, s30, v5
	v_mul_lo_u32 v9, s40, v9
	v_add3_u32 v14, v14, v9, v15
	v_lshlrev_b64 v[13:14], 3, v[13:14]
	v_add_co_u32 v5, s4, s44, v13
	v_add_co_ci_u32_e64 v9, null, s45, v14, s4
	s_and_b32 s4, vcc_lo, s3
	s_and_saveexec_b32 s5, s4
	s_cbranch_execz .LBB59_50
; %bb.49:                               ;   in Loop: Header=BB59_4 Depth=1
	v_add_co_u32 v13, s4, v5, v6
	v_add_co_ci_u32_e64 v14, null, v9, v7, s4
	global_load_dwordx2 v[15:16], v[13:14], off
	s_waitcnt vmcnt(0)
	v_fma_f64 v[15:16], s[34:35], v[38:39], v[15:16]
	global_store_dwordx2 v[13:14], v[15:16], off
.LBB59_50:                              ;   in Loop: Header=BB59_4 Depth=1
	s_or_b32 exec_lo, exec_lo, s5
	s_and_b32 s3, s0, s3
	s_and_saveexec_b32 s4, s3
	s_cbranch_execz .LBB59_3
; %bb.51:                               ;   in Loop: Header=BB59_4 Depth=1
	v_lshlrev_b64 v[13:14], 3, v[2:3]
	v_add_co_u32 v13, s3, v5, v13
	v_add_co_ci_u32_e64 v14, null, v9, v14, s3
	global_load_dwordx2 v[15:16], v[13:14], off
	s_waitcnt vmcnt(0)
	v_fma_f64 v[15:16], s[34:35], v[36:37], v[15:16]
	global_store_dwordx2 v[13:14], v[15:16], off
	s_branch .LBB59_3
.LBB59_52:
	s_endpgm
	.section	.rodata,"a",@progbits
	.p2align	6, 0x0
	.amdhsa_kernel _ZL30rocblas_trmm_outofplace_kernelIdLi32ELi2ELb0ELb1ELb1ELb1EdKddEv17rocblas_diagonal_iiT6_lPT7_lllS4_lllPT8_llli
		.amdhsa_group_segment_fixed_size 16384
		.amdhsa_private_segment_fixed_size 0
		.amdhsa_kernarg_size 392
		.amdhsa_user_sgpr_count 6
		.amdhsa_user_sgpr_private_segment_buffer 1
		.amdhsa_user_sgpr_dispatch_ptr 0
		.amdhsa_user_sgpr_queue_ptr 0
		.amdhsa_user_sgpr_kernarg_segment_ptr 1
		.amdhsa_user_sgpr_dispatch_id 0
		.amdhsa_user_sgpr_flat_scratch_init 0
		.amdhsa_user_sgpr_private_segment_size 0
		.amdhsa_wavefront_size32 1
		.amdhsa_uses_dynamic_stack 0
		.amdhsa_system_sgpr_private_segment_wavefront_offset 0
		.amdhsa_system_sgpr_workgroup_id_x 1
		.amdhsa_system_sgpr_workgroup_id_y 1
		.amdhsa_system_sgpr_workgroup_id_z 1
		.amdhsa_system_sgpr_workgroup_info 0
		.amdhsa_system_vgpr_workitem_id 1
		.amdhsa_next_free_vgpr 74
		.amdhsa_next_free_sgpr 49
		.amdhsa_reserve_vcc 1
		.amdhsa_reserve_flat_scratch 0
		.amdhsa_float_round_mode_32 0
		.amdhsa_float_round_mode_16_64 0
		.amdhsa_float_denorm_mode_32 3
		.amdhsa_float_denorm_mode_16_64 3
		.amdhsa_dx10_clamp 1
		.amdhsa_ieee_mode 1
		.amdhsa_fp16_overflow 0
		.amdhsa_workgroup_processor_mode 1
		.amdhsa_memory_ordered 1
		.amdhsa_forward_progress 1
		.amdhsa_shared_vgpr_count 0
		.amdhsa_exception_fp_ieee_invalid_op 0
		.amdhsa_exception_fp_denorm_src 0
		.amdhsa_exception_fp_ieee_div_zero 0
		.amdhsa_exception_fp_ieee_overflow 0
		.amdhsa_exception_fp_ieee_underflow 0
		.amdhsa_exception_fp_ieee_inexact 0
		.amdhsa_exception_int_div_zero 0
	.end_amdhsa_kernel
	.section	.text._ZL30rocblas_trmm_outofplace_kernelIdLi32ELi2ELb0ELb1ELb1ELb1EdKddEv17rocblas_diagonal_iiT6_lPT7_lllS4_lllPT8_llli,"axG",@progbits,_ZL30rocblas_trmm_outofplace_kernelIdLi32ELi2ELb0ELb1ELb1ELb1EdKddEv17rocblas_diagonal_iiT6_lPT7_lllS4_lllPT8_llli,comdat
.Lfunc_end59:
	.size	_ZL30rocblas_trmm_outofplace_kernelIdLi32ELi2ELb0ELb1ELb1ELb1EdKddEv17rocblas_diagonal_iiT6_lPT7_lllS4_lllPT8_llli, .Lfunc_end59-_ZL30rocblas_trmm_outofplace_kernelIdLi32ELi2ELb0ELb1ELb1ELb1EdKddEv17rocblas_diagonal_iiT6_lPT7_lllS4_lllPT8_llli
                                        ; -- End function
	.set _ZL30rocblas_trmm_outofplace_kernelIdLi32ELi2ELb0ELb1ELb1ELb1EdKddEv17rocblas_diagonal_iiT6_lPT7_lllS4_lllPT8_llli.num_vgpr, 74
	.set _ZL30rocblas_trmm_outofplace_kernelIdLi32ELi2ELb0ELb1ELb1ELb1EdKddEv17rocblas_diagonal_iiT6_lPT7_lllS4_lllPT8_llli.num_agpr, 0
	.set _ZL30rocblas_trmm_outofplace_kernelIdLi32ELi2ELb0ELb1ELb1ELb1EdKddEv17rocblas_diagonal_iiT6_lPT7_lllS4_lllPT8_llli.numbered_sgpr, 49
	.set _ZL30rocblas_trmm_outofplace_kernelIdLi32ELi2ELb0ELb1ELb1ELb1EdKddEv17rocblas_diagonal_iiT6_lPT7_lllS4_lllPT8_llli.num_named_barrier, 0
	.set _ZL30rocblas_trmm_outofplace_kernelIdLi32ELi2ELb0ELb1ELb1ELb1EdKddEv17rocblas_diagonal_iiT6_lPT7_lllS4_lllPT8_llli.private_seg_size, 0
	.set _ZL30rocblas_trmm_outofplace_kernelIdLi32ELi2ELb0ELb1ELb1ELb1EdKddEv17rocblas_diagonal_iiT6_lPT7_lllS4_lllPT8_llli.uses_vcc, 1
	.set _ZL30rocblas_trmm_outofplace_kernelIdLi32ELi2ELb0ELb1ELb1ELb1EdKddEv17rocblas_diagonal_iiT6_lPT7_lllS4_lllPT8_llli.uses_flat_scratch, 0
	.set _ZL30rocblas_trmm_outofplace_kernelIdLi32ELi2ELb0ELb1ELb1ELb1EdKddEv17rocblas_diagonal_iiT6_lPT7_lllS4_lllPT8_llli.has_dyn_sized_stack, 0
	.set _ZL30rocblas_trmm_outofplace_kernelIdLi32ELi2ELb0ELb1ELb1ELb1EdKddEv17rocblas_diagonal_iiT6_lPT7_lllS4_lllPT8_llli.has_recursion, 0
	.set _ZL30rocblas_trmm_outofplace_kernelIdLi32ELi2ELb0ELb1ELb1ELb1EdKddEv17rocblas_diagonal_iiT6_lPT7_lllS4_lllPT8_llli.has_indirect_call, 0
	.section	.AMDGPU.csdata,"",@progbits
; Kernel info:
; codeLenInByte = 3800
; TotalNumSgprs: 51
; NumVgprs: 74
; ScratchSize: 0
; MemoryBound: 0
; FloatMode: 240
; IeeeMode: 1
; LDSByteSize: 16384 bytes/workgroup (compile time only)
; SGPRBlocks: 0
; VGPRBlocks: 9
; NumSGPRsForWavesPerEU: 51
; NumVGPRsForWavesPerEU: 74
; Occupancy: 12
; WaveLimiterHint : 0
; COMPUTE_PGM_RSRC2:SCRATCH_EN: 0
; COMPUTE_PGM_RSRC2:USER_SGPR: 6
; COMPUTE_PGM_RSRC2:TRAP_HANDLER: 0
; COMPUTE_PGM_RSRC2:TGID_X_EN: 1
; COMPUTE_PGM_RSRC2:TGID_Y_EN: 1
; COMPUTE_PGM_RSRC2:TGID_Z_EN: 1
; COMPUTE_PGM_RSRC2:TIDIG_COMP_CNT: 1
	.section	.text._ZL23rocblas_trmm_lNx_kernelILi32EdPKdS0_dEv13rocblas_fill_17rocblas_diagonal_iiT1_lPT2_llS6_llPT3_lli,"axG",@progbits,_ZL23rocblas_trmm_lNx_kernelILi32EdPKdS0_dEv13rocblas_fill_17rocblas_diagonal_iiT1_lPT2_llS6_llPT3_lli,comdat
	.globl	_ZL23rocblas_trmm_lNx_kernelILi32EdPKdS0_dEv13rocblas_fill_17rocblas_diagonal_iiT1_lPT2_llS6_llPT3_lli ; -- Begin function _ZL23rocblas_trmm_lNx_kernelILi32EdPKdS0_dEv13rocblas_fill_17rocblas_diagonal_iiT1_lPT2_llS6_llPT3_lli
	.p2align	8
	.type	_ZL23rocblas_trmm_lNx_kernelILi32EdPKdS0_dEv13rocblas_fill_17rocblas_diagonal_iiT1_lPT2_llS6_llPT3_lli,@function
_ZL23rocblas_trmm_lNx_kernelILi32EdPKdS0_dEv13rocblas_fill_17rocblas_diagonal_iiT1_lPT2_llS6_llPT3_lli: ; @_ZL23rocblas_trmm_lNx_kernelILi32EdPKdS0_dEv13rocblas_fill_17rocblas_diagonal_iiT1_lPT2_llS6_llPT3_lli
; %bb.0:
	s_load_dwordx16 s[8:23], s[4:5], 0x10
	s_waitcnt lgkmcnt(0)
	s_mul_i32 s0, s11, s7
	s_mul_hi_u32 s1, s10, s7
	s_add_i32 s1, s1, s0
	s_mul_i32 s0, s10, s7
	s_lshl_b64 s[0:1], s[0:1], 3
	s_add_u32 s0, s8, s0
	s_addc_u32 s1, s9, s1
	s_load_dwordx2 s[2:3], s[0:1], 0x0
	s_waitcnt lgkmcnt(0)
	v_cmp_eq_f64_e64 s0, s[2:3], 0
	s_and_b32 vcc_lo, exec_lo, s0
	s_cbranch_vccnz .LBB60_15
; %bb.1:
	s_load_dwordx4 s[8:11], s[4:5], 0x0
	v_lshlrev_b32_e32 v3, 5, v1
	s_mov_b32 s24, 0
	v_lshlrev_b32_e32 v2, 3, v0
	s_mov_b32 s25, s24
	v_mov_b32_e32 v5, s24
	v_add_lshl_u32 v4, v3, v0, 3
	v_mov_b32_e32 v6, s25
	ds_write2st64_b64 v4, v[5:6], v[5:6] offset1:16
	s_waitcnt lgkmcnt(0)
	v_cmp_gt_i32_e64 s0, s10, v1
	v_cmp_gt_i32_e32 vcc_lo, s10, v0
	s_and_b32 s0, s0, vcc_lo
	s_and_saveexec_b32 s1, s0
	s_cbranch_execz .LBB60_3
; %bb.2:
	v_mad_u64_u32 v[5:6], null, s14, v1, 0
	s_mul_i32 s0, s17, s7
	s_mul_hi_u32 s10, s16, s7
	s_mul_i32 s14, s16, s7
	v_mad_u64_u32 v[6:7], null, s15, v1, v[6:7]
	s_add_i32 s15, s10, s0
	s_lshl_b64 s[14:15], s[14:15], 3
	s_add_u32 s0, s12, s14
	s_addc_u32 s10, s13, s15
	v_lshlrev_b64 v[5:6], 3, v[5:6]
	v_add_co_u32 v5, s0, s0, v5
	v_add_co_ci_u32_e64 v6, null, s10, v6, s0
	v_add_co_u32 v5, s0, v5, v2
	v_add_co_ci_u32_e64 v6, null, 0, v6, s0
	global_load_dwordx2 v[5:6], v[5:6], off
	s_waitcnt vmcnt(0)
	ds_write_b64 v4, v[5:6]
.LBB60_3:
	s_or_b32 exec_lo, exec_lo, s1
	s_add_i32 s0, s11, -1
	s_ashr_i32 s1, s0, 31
	s_lshr_b32 s1, s1, 27
	s_add_i32 s0, s0, s1
	s_and_b32 s1, s0, 0xffffffe0
	s_ashr_i32 s0, s0, 5
	s_sub_i32 s1, s11, s1
	s_cmp_ge_i32 s6, s0
	s_cselect_b32 s0, s1, 32
	s_lshl_b32 s1, s6, 5
	v_cmp_gt_i32_e64 s0, s0, v1
	s_ashr_i32 s6, s1, 31
	s_and_b32 s0, vcc_lo, s0
	s_and_saveexec_b32 s10, s0
	s_cbranch_execz .LBB60_5
; %bb.4:
	v_mad_u64_u32 v[5:6], null, s20, v1, 0
	s_mul_i32 s11, s23, s7
	s_mul_hi_u32 s13, s22, s7
	s_mul_i32 s12, s22, s7
	s_add_i32 s13, s13, s11
	s_mul_i32 s14, s20, s6
	s_lshl_b64 s[12:13], s[12:13], 3
	v_mad_u64_u32 v[6:7], null, s21, v1, v[6:7]
	s_mul_hi_u32 s11, s20, s1
	s_add_u32 s16, s18, s12
	s_mul_i32 s15, s21, s1
	s_addc_u32 s17, s19, s13
	s_add_i32 s11, s11, s14
	s_mul_i32 s12, s20, s1
	s_add_i32 s13, s11, s15
	v_lshlrev_b64 v[5:6], 3, v[5:6]
	s_lshl_b64 s[12:13], s[12:13], 3
	v_add_nc_u32_e32 v7, 0x2000, v4
	s_add_u32 s11, s16, s12
	s_addc_u32 s12, s17, s13
	v_add_co_u32 v5, vcc_lo, s11, v5
	v_add_co_ci_u32_e64 v6, null, s12, v6, vcc_lo
	v_add_co_u32 v5, vcc_lo, v5, v2
	v_add_co_ci_u32_e64 v6, null, 0, v6, vcc_lo
	global_load_dwordx2 v[5:6], v[5:6], off
	s_waitcnt vmcnt(0)
	ds_write_b64 v7, v[5:6]
.LBB60_5:
	s_or_b32 exec_lo, exec_lo, s10
	v_cmp_eq_u32_e32 vcc_lo, v1, v0
	s_cmpk_eq_i32 s9, 0x84
	s_cselect_b32 s9, -1, 0
	s_and_b32 s10, vcc_lo, s9
	s_and_saveexec_b32 s9, s10
; %bb.6:
	v_mov_b32_e32 v5, 0
	v_mov_b32_e32 v6, 0x3ff00000
	ds_write_b64 v4, v[5:6]
; %bb.7:
	s_or_b32 exec_lo, exec_lo, s9
	s_cmpk_lg_i32 s8, 0x79
	s_cbranch_scc0 .LBB60_9
; %bb.8:
	v_cmp_lt_u32_e32 vcc_lo, v0, v1
	s_and_b32 s8, vcc_lo, exec_lo
	s_cbranch_execz .LBB60_10
	s_branch .LBB60_11
.LBB60_9:
	s_mov_b32 s8, 0
.LBB60_10:
	v_cmp_gt_u32_e32 vcc_lo, v0, v1
	s_andn2_b32 s8, s8, exec_lo
	s_and_b32 s9, vcc_lo, exec_lo
	s_or_b32 s8, s8, s9
.LBB60_11:
	s_and_saveexec_b32 s9, s8
; %bb.12:
	v_mov_b32_e32 v5, 0
	v_mov_b32_e32 v6, v5
	ds_write_b64 v4, v[5:6]
; %bb.13:
	s_or_b32 exec_lo, exec_lo, s9
	s_waitcnt lgkmcnt(0)
	s_barrier
	buffer_gl0_inv
	s_and_saveexec_b32 s8, s0
	s_cbranch_execz .LBB60_15
; %bb.14:
	v_lshlrev_b32_e32 v0, 3, v3
	v_add_nc_u32_e32 v17, 0x800, v2
	ds_read2_b64 v[3:6], v2 offset1:32
	ds_read_b128 v[7:10], v0 offset:8192
	ds_read_b128 v[11:14], v0 offset:8208
	s_waitcnt lgkmcnt(1)
	v_fma_f64 v[3:4], v[3:4], v[7:8], 0
	v_fma_f64 v[7:8], v[5:6], v[9:10], v[3:4]
	ds_read2_b64 v[3:6], v2 offset0:64 offset1:96
	s_waitcnt lgkmcnt(0)
	v_fma_f64 v[3:4], v[3:4], v[11:12], v[7:8]
	v_fma_f64 v[15:16], v[5:6], v[13:14], v[3:4]
	ds_read2_b64 v[3:6], v2 offset0:128 offset1:160
	ds_read_b128 v[7:10], v0 offset:8224
	ds_read_b128 v[11:14], v0 offset:8240
	s_waitcnt lgkmcnt(1)
	v_fma_f64 v[3:4], v[3:4], v[7:8], v[15:16]
	v_fma_f64 v[7:8], v[5:6], v[9:10], v[3:4]
	ds_read2_b64 v[3:6], v2 offset0:192 offset1:224
	s_waitcnt lgkmcnt(0)
	v_fma_f64 v[3:4], v[3:4], v[11:12], v[7:8]
	v_fma_f64 v[15:16], v[5:6], v[13:14], v[3:4]
	ds_read2_b64 v[3:6], v17 offset1:32
	ds_read_b128 v[7:10], v0 offset:8256
	ds_read_b128 v[11:14], v0 offset:8272
	s_waitcnt lgkmcnt(1)
	v_fma_f64 v[3:4], v[3:4], v[7:8], v[15:16]
	v_fma_f64 v[7:8], v[5:6], v[9:10], v[3:4]
	ds_read2_b64 v[3:6], v17 offset0:64 offset1:96
	s_waitcnt lgkmcnt(0)
	v_fma_f64 v[3:4], v[3:4], v[11:12], v[7:8]
	v_fma_f64 v[15:16], v[5:6], v[13:14], v[3:4]
	ds_read2_b64 v[3:6], v17 offset0:128 offset1:160
	ds_read_b128 v[7:10], v0 offset:8288
	ds_read_b128 v[11:14], v0 offset:8304
	s_waitcnt lgkmcnt(1)
	v_fma_f64 v[3:4], v[3:4], v[7:8], v[15:16]
	v_fma_f64 v[7:8], v[5:6], v[9:10], v[3:4]
	ds_read2_b64 v[3:6], v17 offset0:192 offset1:224
	v_add_nc_u32_e32 v17, 0x1000, v2
	s_waitcnt lgkmcnt(0)
	v_fma_f64 v[3:4], v[3:4], v[11:12], v[7:8]
	v_fma_f64 v[15:16], v[5:6], v[13:14], v[3:4]
	ds_read2_b64 v[3:6], v17 offset1:32
	ds_read_b128 v[7:10], v0 offset:8320
	ds_read_b128 v[11:14], v0 offset:8336
	s_waitcnt lgkmcnt(1)
	v_fma_f64 v[3:4], v[3:4], v[7:8], v[15:16]
	v_fma_f64 v[7:8], v[5:6], v[9:10], v[3:4]
	ds_read2_b64 v[3:6], v17 offset0:64 offset1:96
	s_waitcnt lgkmcnt(0)
	v_fma_f64 v[3:4], v[3:4], v[11:12], v[7:8]
	v_fma_f64 v[15:16], v[5:6], v[13:14], v[3:4]
	ds_read2_b64 v[3:6], v17 offset0:128 offset1:160
	ds_read_b128 v[7:10], v0 offset:8352
	ds_read_b128 v[11:14], v0 offset:8368
	s_waitcnt lgkmcnt(1)
	v_fma_f64 v[3:4], v[3:4], v[7:8], v[15:16]
	v_fma_f64 v[7:8], v[5:6], v[9:10], v[3:4]
	ds_read2_b64 v[3:6], v17 offset0:192 offset1:224
	v_add_nc_u32_e32 v17, 0x1800, v2
	s_waitcnt lgkmcnt(0)
	v_fma_f64 v[3:4], v[3:4], v[11:12], v[7:8]
	v_fma_f64 v[15:16], v[5:6], v[13:14], v[3:4]
	ds_read2_b64 v[3:6], v17 offset1:32
	ds_read_b128 v[7:10], v0 offset:8384
	ds_read_b128 v[11:14], v0 offset:8400
	s_waitcnt lgkmcnt(1)
	v_fma_f64 v[3:4], v[3:4], v[7:8], v[15:16]
	v_fma_f64 v[7:8], v[5:6], v[9:10], v[3:4]
	ds_read2_b64 v[3:6], v17 offset0:64 offset1:96
	s_waitcnt lgkmcnt(0)
	v_fma_f64 v[3:4], v[3:4], v[11:12], v[7:8]
	v_fma_f64 v[15:16], v[5:6], v[13:14], v[3:4]
	ds_read2_b64 v[3:6], v17 offset0:128 offset1:160
	ds_read_b128 v[7:10], v0 offset:8416
	ds_read_b128 v[11:14], v0 offset:8432
	s_waitcnt lgkmcnt(1)
	v_fma_f64 v[3:4], v[3:4], v[7:8], v[15:16]
	v_fma_f64 v[7:8], v[5:6], v[9:10], v[3:4]
	ds_read2_b64 v[3:6], v17 offset0:192 offset1:224
	s_clause 0x1
	s_load_dwordx4 s[8:11], s[4:5], 0x50
	s_load_dwordx2 s[4:5], s[4:5], 0x60
	s_waitcnt lgkmcnt(0)
	s_mul_i32 s0, s5, s7
	v_fma_f64 v[3:4], v[3:4], v[11:12], v[7:8]
	s_mul_hi_u32 s5, s4, s7
	s_mul_i32 s4, s4, s7
	s_add_i32 s5, s5, s0
	s_mul_i32 s0, s10, s6
	s_lshl_b64 s[4:5], s[4:5], 3
	s_mul_hi_u32 s6, s10, s1
	s_add_u32 s4, s8, s4
	s_addc_u32 s5, s9, s5
	s_add_i32 s0, s6, s0
	s_mul_i32 s6, s11, s1
	v_fma_f64 v[3:4], v[5:6], v[13:14], v[3:4]
	v_mad_u64_u32 v[5:6], null, s10, v1, 0
	v_mov_b32_e32 v0, v6
	v_mad_u64_u32 v[0:1], null, s11, v1, v[0:1]
	v_mov_b32_e32 v6, v0
	v_mul_f64 v[0:1], s[2:3], v[3:4]
	s_add_i32 s3, s0, s6
	s_mul_i32 s2, s10, s1
	v_lshlrev_b64 v[3:4], 3, v[5:6]
	s_lshl_b64 s[0:1], s[2:3], 3
	s_add_u32 s0, s4, s0
	s_addc_u32 s1, s5, s1
	v_add_co_u32 v3, vcc_lo, s0, v3
	v_add_co_ci_u32_e64 v4, null, s1, v4, vcc_lo
	v_add_co_u32 v2, vcc_lo, v3, v2
	v_add_co_ci_u32_e64 v3, null, 0, v4, vcc_lo
	global_store_dwordx2 v[2:3], v[0:1], off
.LBB60_15:
	s_endpgm
	.section	.rodata,"a",@progbits
	.p2align	6, 0x0
	.amdhsa_kernel _ZL23rocblas_trmm_lNx_kernelILi32EdPKdS0_dEv13rocblas_fill_17rocblas_diagonal_iiT1_lPT2_llS6_llPT3_lli
		.amdhsa_group_segment_fixed_size 16384
		.amdhsa_private_segment_fixed_size 0
		.amdhsa_kernarg_size 108
		.amdhsa_user_sgpr_count 6
		.amdhsa_user_sgpr_private_segment_buffer 1
		.amdhsa_user_sgpr_dispatch_ptr 0
		.amdhsa_user_sgpr_queue_ptr 0
		.amdhsa_user_sgpr_kernarg_segment_ptr 1
		.amdhsa_user_sgpr_dispatch_id 0
		.amdhsa_user_sgpr_flat_scratch_init 0
		.amdhsa_user_sgpr_private_segment_size 0
		.amdhsa_wavefront_size32 1
		.amdhsa_uses_dynamic_stack 0
		.amdhsa_system_sgpr_private_segment_wavefront_offset 0
		.amdhsa_system_sgpr_workgroup_id_x 1
		.amdhsa_system_sgpr_workgroup_id_y 0
		.amdhsa_system_sgpr_workgroup_id_z 1
		.amdhsa_system_sgpr_workgroup_info 0
		.amdhsa_system_vgpr_workitem_id 1
		.amdhsa_next_free_vgpr 18
		.amdhsa_next_free_sgpr 26
		.amdhsa_reserve_vcc 1
		.amdhsa_reserve_flat_scratch 0
		.amdhsa_float_round_mode_32 0
		.amdhsa_float_round_mode_16_64 0
		.amdhsa_float_denorm_mode_32 3
		.amdhsa_float_denorm_mode_16_64 3
		.amdhsa_dx10_clamp 1
		.amdhsa_ieee_mode 1
		.amdhsa_fp16_overflow 0
		.amdhsa_workgroup_processor_mode 1
		.amdhsa_memory_ordered 1
		.amdhsa_forward_progress 1
		.amdhsa_shared_vgpr_count 0
		.amdhsa_exception_fp_ieee_invalid_op 0
		.amdhsa_exception_fp_denorm_src 0
		.amdhsa_exception_fp_ieee_div_zero 0
		.amdhsa_exception_fp_ieee_overflow 0
		.amdhsa_exception_fp_ieee_underflow 0
		.amdhsa_exception_fp_ieee_inexact 0
		.amdhsa_exception_int_div_zero 0
	.end_amdhsa_kernel
	.section	.text._ZL23rocblas_trmm_lNx_kernelILi32EdPKdS0_dEv13rocblas_fill_17rocblas_diagonal_iiT1_lPT2_llS6_llPT3_lli,"axG",@progbits,_ZL23rocblas_trmm_lNx_kernelILi32EdPKdS0_dEv13rocblas_fill_17rocblas_diagonal_iiT1_lPT2_llS6_llPT3_lli,comdat
.Lfunc_end60:
	.size	_ZL23rocblas_trmm_lNx_kernelILi32EdPKdS0_dEv13rocblas_fill_17rocblas_diagonal_iiT1_lPT2_llS6_llPT3_lli, .Lfunc_end60-_ZL23rocblas_trmm_lNx_kernelILi32EdPKdS0_dEv13rocblas_fill_17rocblas_diagonal_iiT1_lPT2_llS6_llPT3_lli
                                        ; -- End function
	.set _ZL23rocblas_trmm_lNx_kernelILi32EdPKdS0_dEv13rocblas_fill_17rocblas_diagonal_iiT1_lPT2_llS6_llPT3_lli.num_vgpr, 18
	.set _ZL23rocblas_trmm_lNx_kernelILi32EdPKdS0_dEv13rocblas_fill_17rocblas_diagonal_iiT1_lPT2_llS6_llPT3_lli.num_agpr, 0
	.set _ZL23rocblas_trmm_lNx_kernelILi32EdPKdS0_dEv13rocblas_fill_17rocblas_diagonal_iiT1_lPT2_llS6_llPT3_lli.numbered_sgpr, 26
	.set _ZL23rocblas_trmm_lNx_kernelILi32EdPKdS0_dEv13rocblas_fill_17rocblas_diagonal_iiT1_lPT2_llS6_llPT3_lli.num_named_barrier, 0
	.set _ZL23rocblas_trmm_lNx_kernelILi32EdPKdS0_dEv13rocblas_fill_17rocblas_diagonal_iiT1_lPT2_llS6_llPT3_lli.private_seg_size, 0
	.set _ZL23rocblas_trmm_lNx_kernelILi32EdPKdS0_dEv13rocblas_fill_17rocblas_diagonal_iiT1_lPT2_llS6_llPT3_lli.uses_vcc, 1
	.set _ZL23rocblas_trmm_lNx_kernelILi32EdPKdS0_dEv13rocblas_fill_17rocblas_diagonal_iiT1_lPT2_llS6_llPT3_lli.uses_flat_scratch, 0
	.set _ZL23rocblas_trmm_lNx_kernelILi32EdPKdS0_dEv13rocblas_fill_17rocblas_diagonal_iiT1_lPT2_llS6_llPT3_lli.has_dyn_sized_stack, 0
	.set _ZL23rocblas_trmm_lNx_kernelILi32EdPKdS0_dEv13rocblas_fill_17rocblas_diagonal_iiT1_lPT2_llS6_llPT3_lli.has_recursion, 0
	.set _ZL23rocblas_trmm_lNx_kernelILi32EdPKdS0_dEv13rocblas_fill_17rocblas_diagonal_iiT1_lPT2_llS6_llPT3_lli.has_indirect_call, 0
	.section	.AMDGPU.csdata,"",@progbits
; Kernel info:
; codeLenInByte = 1380
; TotalNumSgprs: 28
; NumVgprs: 18
; ScratchSize: 0
; MemoryBound: 0
; FloatMode: 240
; IeeeMode: 1
; LDSByteSize: 16384 bytes/workgroup (compile time only)
; SGPRBlocks: 0
; VGPRBlocks: 2
; NumSGPRsForWavesPerEU: 28
; NumVGPRsForWavesPerEU: 18
; Occupancy: 16
; WaveLimiterHint : 0
; COMPUTE_PGM_RSRC2:SCRATCH_EN: 0
; COMPUTE_PGM_RSRC2:USER_SGPR: 6
; COMPUTE_PGM_RSRC2:TRAP_HANDLER: 0
; COMPUTE_PGM_RSRC2:TGID_X_EN: 1
; COMPUTE_PGM_RSRC2:TGID_Y_EN: 0
; COMPUTE_PGM_RSRC2:TGID_Z_EN: 1
; COMPUTE_PGM_RSRC2:TIDIG_COMP_CNT: 1
	.section	.text._ZL23rocblas_trmm_lNx_kernelILi32EddKddEv13rocblas_fill_17rocblas_diagonal_iiT1_lPT2_llS5_llPT3_lli,"axG",@progbits,_ZL23rocblas_trmm_lNx_kernelILi32EddKddEv13rocblas_fill_17rocblas_diagonal_iiT1_lPT2_llS5_llPT3_lli,comdat
	.globl	_ZL23rocblas_trmm_lNx_kernelILi32EddKddEv13rocblas_fill_17rocblas_diagonal_iiT1_lPT2_llS5_llPT3_lli ; -- Begin function _ZL23rocblas_trmm_lNx_kernelILi32EddKddEv13rocblas_fill_17rocblas_diagonal_iiT1_lPT2_llS5_llPT3_lli
	.p2align	8
	.type	_ZL23rocblas_trmm_lNx_kernelILi32EddKddEv13rocblas_fill_17rocblas_diagonal_iiT1_lPT2_llS5_llPT3_lli,@function
_ZL23rocblas_trmm_lNx_kernelILi32EddKddEv13rocblas_fill_17rocblas_diagonal_iiT1_lPT2_llS5_llPT3_lli: ; @_ZL23rocblas_trmm_lNx_kernelILi32EddKddEv13rocblas_fill_17rocblas_diagonal_iiT1_lPT2_llS5_llPT3_lli
; %bb.0:
	s_load_dwordx2 s[2:3], s[4:5], 0x10
	s_waitcnt lgkmcnt(0)
	v_cmp_eq_f64_e64 s0, s[2:3], 0
	s_and_b32 vcc_lo, exec_lo, s0
	s_cbranch_vccnz .LBB61_15
; %bb.1:
	s_clause 0x1
	s_load_dwordx4 s[24:27], s[4:5], 0x0
	s_load_dwordx16 s[8:23], s[4:5], 0x20
	v_lshlrev_b32_e32 v3, 5, v1
	s_mov_b32 s28, 0
	v_lshlrev_b32_e32 v2, 3, v0
	s_mov_b32 s29, s28
	v_mov_b32_e32 v5, s28
	v_add_lshl_u32 v4, v3, v0, 3
	v_mov_b32_e32 v6, s29
	ds_write2st64_b64 v4, v[5:6], v[5:6] offset1:16
	s_waitcnt lgkmcnt(0)
	v_cmp_gt_i32_e64 s0, s26, v1
	v_cmp_gt_i32_e32 vcc_lo, s26, v0
	s_and_b32 s0, s0, vcc_lo
	s_and_saveexec_b32 s1, s0
	s_cbranch_execz .LBB61_3
; %bb.2:
	v_mad_u64_u32 v[5:6], null, s10, v1, 0
	s_mul_i32 s0, s13, s7
	s_mul_i32 s10, s12, s7
	v_mad_u64_u32 v[6:7], null, s11, v1, v[6:7]
	s_mul_hi_u32 s11, s12, s7
	s_add_i32 s11, s11, s0
	s_lshl_b64 s[10:11], s[10:11], 3
	s_add_u32 s0, s8, s10
	v_lshlrev_b64 v[5:6], 3, v[5:6]
	s_addc_u32 s8, s9, s11
	v_add_co_u32 v5, s0, s0, v5
	v_add_co_ci_u32_e64 v6, null, s8, v6, s0
	v_add_co_u32 v5, s0, v5, v2
	v_add_co_ci_u32_e64 v6, null, 0, v6, s0
	global_load_dwordx2 v[5:6], v[5:6], off
	s_waitcnt vmcnt(0)
	ds_write_b64 v4, v[5:6]
.LBB61_3:
	s_or_b32 exec_lo, exec_lo, s1
	s_add_i32 s0, s27, -1
	s_ashr_i32 s1, s0, 31
	s_lshr_b32 s1, s1, 27
	s_add_i32 s0, s0, s1
	s_and_b32 s1, s0, 0xffffffe0
	s_ashr_i32 s0, s0, 5
	s_sub_i32 s1, s27, s1
	s_cmp_ge_i32 s6, s0
	s_cselect_b32 s0, s1, 32
	s_lshl_b32 s1, s6, 5
	v_cmp_gt_i32_e64 s0, s0, v1
	s_ashr_i32 s6, s1, 31
	s_and_b32 s0, vcc_lo, s0
	s_and_saveexec_b32 s8, s0
	s_cbranch_execz .LBB61_5
; %bb.4:
	v_mad_u64_u32 v[5:6], null, s16, v1, 0
	s_mul_i32 s9, s19, s7
	s_mul_hi_u32 s11, s18, s7
	s_mul_i32 s10, s18, s7
	s_add_i32 s11, s11, s9
	s_mul_i32 s12, s16, s6
	s_lshl_b64 s[10:11], s[10:11], 3
	v_mad_u64_u32 v[6:7], null, s17, v1, v[6:7]
	s_mul_hi_u32 s9, s16, s1
	s_add_u32 s14, s14, s10
	s_mul_i32 s13, s17, s1
	s_addc_u32 s15, s15, s11
	s_add_i32 s9, s9, s12
	s_mul_i32 s10, s16, s1
	s_add_i32 s11, s9, s13
	v_lshlrev_b64 v[5:6], 3, v[5:6]
	s_lshl_b64 s[10:11], s[10:11], 3
	v_add_nc_u32_e32 v7, 0x2000, v4
	s_add_u32 s9, s14, s10
	s_addc_u32 s10, s15, s11
	v_add_co_u32 v5, vcc_lo, s9, v5
	v_add_co_ci_u32_e64 v6, null, s10, v6, vcc_lo
	v_add_co_u32 v5, vcc_lo, v5, v2
	v_add_co_ci_u32_e64 v6, null, 0, v6, vcc_lo
	global_load_dwordx2 v[5:6], v[5:6], off
	s_waitcnt vmcnt(0)
	ds_write_b64 v7, v[5:6]
.LBB61_5:
	s_or_b32 exec_lo, exec_lo, s8
	v_cmp_eq_u32_e32 vcc_lo, v1, v0
	s_cmpk_eq_i32 s25, 0x84
	s_cselect_b32 s8, -1, 0
	s_and_b32 s9, vcc_lo, s8
	s_and_saveexec_b32 s8, s9
; %bb.6:
	v_mov_b32_e32 v5, 0
	v_mov_b32_e32 v6, 0x3ff00000
	ds_write_b64 v4, v[5:6]
; %bb.7:
	s_or_b32 exec_lo, exec_lo, s8
	s_cmpk_lg_i32 s24, 0x79
	s_cbranch_scc0 .LBB61_9
; %bb.8:
	v_cmp_lt_u32_e32 vcc_lo, v0, v1
	s_and_b32 s8, vcc_lo, exec_lo
	s_cbranch_execz .LBB61_10
	s_branch .LBB61_11
.LBB61_9:
	s_mov_b32 s8, 0
.LBB61_10:
	v_cmp_gt_u32_e32 vcc_lo, v0, v1
	s_andn2_b32 s8, s8, exec_lo
	s_and_b32 s9, vcc_lo, exec_lo
	s_or_b32 s8, s8, s9
.LBB61_11:
	s_and_saveexec_b32 s9, s8
; %bb.12:
	v_mov_b32_e32 v5, 0
	v_mov_b32_e32 v6, v5
	ds_write_b64 v4, v[5:6]
; %bb.13:
	s_or_b32 exec_lo, exec_lo, s9
	s_waitcnt lgkmcnt(0)
	s_barrier
	buffer_gl0_inv
	s_and_saveexec_b32 s8, s0
	s_cbranch_execz .LBB61_15
; %bb.14:
	v_lshlrev_b32_e32 v0, 3, v3
	v_add_nc_u32_e32 v17, 0x800, v2
	s_load_dwordx2 s[4:5], s[4:5], 0x60
	ds_read2_b64 v[3:6], v2 offset1:32
	ds_read_b128 v[7:10], v0 offset:8192
	ds_read_b128 v[11:14], v0 offset:8208
	s_waitcnt lgkmcnt(0)
	s_mul_i32 s0, s5, s7
	v_fma_f64 v[3:4], v[3:4], v[7:8], 0
	s_mul_hi_u32 s5, s4, s7
	s_mul_i32 s4, s4, s7
	s_add_i32 s5, s5, s0
	s_mul_i32 s0, s22, s6
	s_lshl_b64 s[4:5], s[4:5], 3
	s_mul_hi_u32 s6, s22, s1
	s_add_u32 s4, s20, s4
	s_addc_u32 s5, s21, s5
	s_add_i32 s0, s6, s0
	s_mul_i32 s6, s23, s1
	v_fma_f64 v[7:8], v[5:6], v[9:10], v[3:4]
	ds_read2_b64 v[3:6], v2 offset0:64 offset1:96
	s_waitcnt lgkmcnt(0)
	v_fma_f64 v[3:4], v[3:4], v[11:12], v[7:8]
	v_fma_f64 v[15:16], v[5:6], v[13:14], v[3:4]
	ds_read2_b64 v[3:6], v2 offset0:128 offset1:160
	ds_read_b128 v[7:10], v0 offset:8224
	ds_read_b128 v[11:14], v0 offset:8240
	s_waitcnt lgkmcnt(1)
	v_fma_f64 v[3:4], v[3:4], v[7:8], v[15:16]
	v_fma_f64 v[7:8], v[5:6], v[9:10], v[3:4]
	ds_read2_b64 v[3:6], v2 offset0:192 offset1:224
	s_waitcnt lgkmcnt(0)
	v_fma_f64 v[3:4], v[3:4], v[11:12], v[7:8]
	v_fma_f64 v[15:16], v[5:6], v[13:14], v[3:4]
	ds_read2_b64 v[3:6], v17 offset1:32
	ds_read_b128 v[7:10], v0 offset:8256
	ds_read_b128 v[11:14], v0 offset:8272
	s_waitcnt lgkmcnt(1)
	v_fma_f64 v[3:4], v[3:4], v[7:8], v[15:16]
	v_fma_f64 v[7:8], v[5:6], v[9:10], v[3:4]
	ds_read2_b64 v[3:6], v17 offset0:64 offset1:96
	s_waitcnt lgkmcnt(0)
	v_fma_f64 v[3:4], v[3:4], v[11:12], v[7:8]
	v_fma_f64 v[15:16], v[5:6], v[13:14], v[3:4]
	ds_read2_b64 v[3:6], v17 offset0:128 offset1:160
	ds_read_b128 v[7:10], v0 offset:8288
	ds_read_b128 v[11:14], v0 offset:8304
	s_waitcnt lgkmcnt(1)
	v_fma_f64 v[3:4], v[3:4], v[7:8], v[15:16]
	v_fma_f64 v[7:8], v[5:6], v[9:10], v[3:4]
	ds_read2_b64 v[3:6], v17 offset0:192 offset1:224
	v_add_nc_u32_e32 v17, 0x1000, v2
	s_waitcnt lgkmcnt(0)
	v_fma_f64 v[3:4], v[3:4], v[11:12], v[7:8]
	v_fma_f64 v[15:16], v[5:6], v[13:14], v[3:4]
	ds_read2_b64 v[3:6], v17 offset1:32
	ds_read_b128 v[7:10], v0 offset:8320
	ds_read_b128 v[11:14], v0 offset:8336
	s_waitcnt lgkmcnt(1)
	v_fma_f64 v[3:4], v[3:4], v[7:8], v[15:16]
	v_fma_f64 v[7:8], v[5:6], v[9:10], v[3:4]
	ds_read2_b64 v[3:6], v17 offset0:64 offset1:96
	s_waitcnt lgkmcnt(0)
	v_fma_f64 v[3:4], v[3:4], v[11:12], v[7:8]
	v_fma_f64 v[15:16], v[5:6], v[13:14], v[3:4]
	ds_read2_b64 v[3:6], v17 offset0:128 offset1:160
	ds_read_b128 v[7:10], v0 offset:8352
	ds_read_b128 v[11:14], v0 offset:8368
	s_waitcnt lgkmcnt(1)
	v_fma_f64 v[3:4], v[3:4], v[7:8], v[15:16]
	v_fma_f64 v[7:8], v[5:6], v[9:10], v[3:4]
	ds_read2_b64 v[3:6], v17 offset0:192 offset1:224
	v_add_nc_u32_e32 v17, 0x1800, v2
	s_waitcnt lgkmcnt(0)
	v_fma_f64 v[3:4], v[3:4], v[11:12], v[7:8]
	v_fma_f64 v[15:16], v[5:6], v[13:14], v[3:4]
	ds_read2_b64 v[3:6], v17 offset1:32
	ds_read_b128 v[7:10], v0 offset:8384
	ds_read_b128 v[11:14], v0 offset:8400
	s_waitcnt lgkmcnt(1)
	v_fma_f64 v[3:4], v[3:4], v[7:8], v[15:16]
	v_fma_f64 v[7:8], v[5:6], v[9:10], v[3:4]
	ds_read2_b64 v[3:6], v17 offset0:64 offset1:96
	s_waitcnt lgkmcnt(0)
	v_fma_f64 v[3:4], v[3:4], v[11:12], v[7:8]
	v_fma_f64 v[15:16], v[5:6], v[13:14], v[3:4]
	ds_read2_b64 v[3:6], v17 offset0:128 offset1:160
	ds_read_b128 v[7:10], v0 offset:8416
	ds_read_b128 v[11:14], v0 offset:8432
	s_waitcnt lgkmcnt(1)
	v_fma_f64 v[3:4], v[3:4], v[7:8], v[15:16]
	v_fma_f64 v[7:8], v[5:6], v[9:10], v[3:4]
	ds_read2_b64 v[3:6], v17 offset0:192 offset1:224
	s_waitcnt lgkmcnt(0)
	v_fma_f64 v[3:4], v[3:4], v[11:12], v[7:8]
	v_fma_f64 v[3:4], v[5:6], v[13:14], v[3:4]
	v_mad_u64_u32 v[5:6], null, s22, v1, 0
	v_mov_b32_e32 v0, v6
	v_mad_u64_u32 v[0:1], null, s23, v1, v[0:1]
	v_mov_b32_e32 v6, v0
	v_mul_f64 v[0:1], s[2:3], v[3:4]
	s_add_i32 s3, s0, s6
	s_mul_i32 s2, s22, s1
	v_lshlrev_b64 v[3:4], 3, v[5:6]
	s_lshl_b64 s[0:1], s[2:3], 3
	s_add_u32 s0, s4, s0
	s_addc_u32 s1, s5, s1
	v_add_co_u32 v3, vcc_lo, s0, v3
	v_add_co_ci_u32_e64 v4, null, s1, v4, vcc_lo
	v_add_co_u32 v2, vcc_lo, v3, v2
	v_add_co_ci_u32_e64 v3, null, 0, v4, vcc_lo
	global_store_dwordx2 v[2:3], v[0:1], off
.LBB61_15:
	s_endpgm
	.section	.rodata,"a",@progbits
	.p2align	6, 0x0
	.amdhsa_kernel _ZL23rocblas_trmm_lNx_kernelILi32EddKddEv13rocblas_fill_17rocblas_diagonal_iiT1_lPT2_llS5_llPT3_lli
		.amdhsa_group_segment_fixed_size 16384
		.amdhsa_private_segment_fixed_size 0
		.amdhsa_kernarg_size 108
		.amdhsa_user_sgpr_count 6
		.amdhsa_user_sgpr_private_segment_buffer 1
		.amdhsa_user_sgpr_dispatch_ptr 0
		.amdhsa_user_sgpr_queue_ptr 0
		.amdhsa_user_sgpr_kernarg_segment_ptr 1
		.amdhsa_user_sgpr_dispatch_id 0
		.amdhsa_user_sgpr_flat_scratch_init 0
		.amdhsa_user_sgpr_private_segment_size 0
		.amdhsa_wavefront_size32 1
		.amdhsa_uses_dynamic_stack 0
		.amdhsa_system_sgpr_private_segment_wavefront_offset 0
		.amdhsa_system_sgpr_workgroup_id_x 1
		.amdhsa_system_sgpr_workgroup_id_y 0
		.amdhsa_system_sgpr_workgroup_id_z 1
		.amdhsa_system_sgpr_workgroup_info 0
		.amdhsa_system_vgpr_workitem_id 1
		.amdhsa_next_free_vgpr 18
		.amdhsa_next_free_sgpr 30
		.amdhsa_reserve_vcc 1
		.amdhsa_reserve_flat_scratch 0
		.amdhsa_float_round_mode_32 0
		.amdhsa_float_round_mode_16_64 0
		.amdhsa_float_denorm_mode_32 3
		.amdhsa_float_denorm_mode_16_64 3
		.amdhsa_dx10_clamp 1
		.amdhsa_ieee_mode 1
		.amdhsa_fp16_overflow 0
		.amdhsa_workgroup_processor_mode 1
		.amdhsa_memory_ordered 1
		.amdhsa_forward_progress 1
		.amdhsa_shared_vgpr_count 0
		.amdhsa_exception_fp_ieee_invalid_op 0
		.amdhsa_exception_fp_denorm_src 0
		.amdhsa_exception_fp_ieee_div_zero 0
		.amdhsa_exception_fp_ieee_overflow 0
		.amdhsa_exception_fp_ieee_underflow 0
		.amdhsa_exception_fp_ieee_inexact 0
		.amdhsa_exception_int_div_zero 0
	.end_amdhsa_kernel
	.section	.text._ZL23rocblas_trmm_lNx_kernelILi32EddKddEv13rocblas_fill_17rocblas_diagonal_iiT1_lPT2_llS5_llPT3_lli,"axG",@progbits,_ZL23rocblas_trmm_lNx_kernelILi32EddKddEv13rocblas_fill_17rocblas_diagonal_iiT1_lPT2_llS5_llPT3_lli,comdat
.Lfunc_end61:
	.size	_ZL23rocblas_trmm_lNx_kernelILi32EddKddEv13rocblas_fill_17rocblas_diagonal_iiT1_lPT2_llS5_llPT3_lli, .Lfunc_end61-_ZL23rocblas_trmm_lNx_kernelILi32EddKddEv13rocblas_fill_17rocblas_diagonal_iiT1_lPT2_llS5_llPT3_lli
                                        ; -- End function
	.set _ZL23rocblas_trmm_lNx_kernelILi32EddKddEv13rocblas_fill_17rocblas_diagonal_iiT1_lPT2_llS5_llPT3_lli.num_vgpr, 18
	.set _ZL23rocblas_trmm_lNx_kernelILi32EddKddEv13rocblas_fill_17rocblas_diagonal_iiT1_lPT2_llS5_llPT3_lli.num_agpr, 0
	.set _ZL23rocblas_trmm_lNx_kernelILi32EddKddEv13rocblas_fill_17rocblas_diagonal_iiT1_lPT2_llS5_llPT3_lli.numbered_sgpr, 30
	.set _ZL23rocblas_trmm_lNx_kernelILi32EddKddEv13rocblas_fill_17rocblas_diagonal_iiT1_lPT2_llS5_llPT3_lli.num_named_barrier, 0
	.set _ZL23rocblas_trmm_lNx_kernelILi32EddKddEv13rocblas_fill_17rocblas_diagonal_iiT1_lPT2_llS5_llPT3_lli.private_seg_size, 0
	.set _ZL23rocblas_trmm_lNx_kernelILi32EddKddEv13rocblas_fill_17rocblas_diagonal_iiT1_lPT2_llS5_llPT3_lli.uses_vcc, 1
	.set _ZL23rocblas_trmm_lNx_kernelILi32EddKddEv13rocblas_fill_17rocblas_diagonal_iiT1_lPT2_llS5_llPT3_lli.uses_flat_scratch, 0
	.set _ZL23rocblas_trmm_lNx_kernelILi32EddKddEv13rocblas_fill_17rocblas_diagonal_iiT1_lPT2_llS5_llPT3_lli.has_dyn_sized_stack, 0
	.set _ZL23rocblas_trmm_lNx_kernelILi32EddKddEv13rocblas_fill_17rocblas_diagonal_iiT1_lPT2_llS5_llPT3_lli.has_recursion, 0
	.set _ZL23rocblas_trmm_lNx_kernelILi32EddKddEv13rocblas_fill_17rocblas_diagonal_iiT1_lPT2_llS5_llPT3_lli.has_indirect_call, 0
	.section	.AMDGPU.csdata,"",@progbits
; Kernel info:
; codeLenInByte = 1340
; TotalNumSgprs: 32
; NumVgprs: 18
; ScratchSize: 0
; MemoryBound: 0
; FloatMode: 240
; IeeeMode: 1
; LDSByteSize: 16384 bytes/workgroup (compile time only)
; SGPRBlocks: 0
; VGPRBlocks: 2
; NumSGPRsForWavesPerEU: 32
; NumVGPRsForWavesPerEU: 18
; Occupancy: 16
; WaveLimiterHint : 0
; COMPUTE_PGM_RSRC2:SCRATCH_EN: 0
; COMPUTE_PGM_RSRC2:USER_SGPR: 6
; COMPUTE_PGM_RSRC2:TRAP_HANDLER: 0
; COMPUTE_PGM_RSRC2:TGID_X_EN: 1
; COMPUTE_PGM_RSRC2:TGID_Y_EN: 0
; COMPUTE_PGM_RSRC2:TGID_Z_EN: 1
; COMPUTE_PGM_RSRC2:TIDIG_COMP_CNT: 1
	.section	.text._ZL23rocblas_trmm_lTx_kernelILi32ELb0EdPKdS0_dEv13rocblas_fill_17rocblas_diagonal_iiT2_lPT3_llS6_llPT4_lli,"axG",@progbits,_ZL23rocblas_trmm_lTx_kernelILi32ELb0EdPKdS0_dEv13rocblas_fill_17rocblas_diagonal_iiT2_lPT3_llS6_llPT4_lli,comdat
	.globl	_ZL23rocblas_trmm_lTx_kernelILi32ELb0EdPKdS0_dEv13rocblas_fill_17rocblas_diagonal_iiT2_lPT3_llS6_llPT4_lli ; -- Begin function _ZL23rocblas_trmm_lTx_kernelILi32ELb0EdPKdS0_dEv13rocblas_fill_17rocblas_diagonal_iiT2_lPT3_llS6_llPT4_lli
	.p2align	8
	.type	_ZL23rocblas_trmm_lTx_kernelILi32ELb0EdPKdS0_dEv13rocblas_fill_17rocblas_diagonal_iiT2_lPT3_llS6_llPT4_lli,@function
_ZL23rocblas_trmm_lTx_kernelILi32ELb0EdPKdS0_dEv13rocblas_fill_17rocblas_diagonal_iiT2_lPT3_llS6_llPT4_lli: ; @_ZL23rocblas_trmm_lTx_kernelILi32ELb0EdPKdS0_dEv13rocblas_fill_17rocblas_diagonal_iiT2_lPT3_llS6_llPT4_lli
; %bb.0:
	s_load_dwordx16 s[8:23], s[4:5], 0x10
	s_waitcnt lgkmcnt(0)
	s_mul_i32 s0, s11, s7
	s_mul_hi_u32 s1, s10, s7
	s_add_i32 s1, s1, s0
	s_mul_i32 s0, s10, s7
	s_lshl_b64 s[0:1], s[0:1], 3
	s_add_u32 s0, s8, s0
	s_addc_u32 s1, s9, s1
	s_load_dwordx2 s[2:3], s[0:1], 0x0
	s_waitcnt lgkmcnt(0)
	v_cmp_eq_f64_e64 s0, s[2:3], 0
	s_and_b32 vcc_lo, exec_lo, s0
	s_cbranch_vccnz .LBB62_15
; %bb.1:
	s_load_dwordx4 s[8:11], s[4:5], 0x0
	s_mov_b32 s0, 0
	v_lshlrev_b32_e32 v3, 5, v1
	s_mov_b32 s1, s0
	v_lshlrev_b32_e32 v2, 3, v0
	v_mov_b32_e32 v6, s1
	v_mov_b32_e32 v5, s0
	v_add_lshl_u32 v4, v3, v0, 3
	ds_write2st64_b64 v4, v[5:6], v[5:6] offset1:16
	s_waitcnt lgkmcnt(0)
	s_barrier
	buffer_gl0_inv
	v_cmp_gt_i32_e64 s0, s10, v1
	v_cmp_gt_i32_e32 vcc_lo, s10, v0
	s_and_b32 s0, s0, vcc_lo
	s_and_saveexec_b32 s1, s0
	s_cbranch_execz .LBB62_3
; %bb.2:
	v_mad_u64_u32 v[5:6], null, s14, v1, 0
	s_mul_i32 s0, s17, s7
	s_mul_hi_u32 s10, s16, s7
	s_mul_i32 s14, s16, s7
	v_mad_u64_u32 v[6:7], null, s15, v1, v[6:7]
	s_add_i32 s15, s10, s0
	v_lshlrev_b32_e32 v7, 3, v1
	s_lshl_b64 s[14:15], s[14:15], 3
	s_add_u32 s0, s12, s14
	s_addc_u32 s10, s13, s15
	v_lshlrev_b64 v[5:6], 3, v[5:6]
	v_lshl_add_u32 v7, v0, 8, v7
	v_add_co_u32 v5, s0, s0, v5
	v_add_co_ci_u32_e64 v6, null, s10, v6, s0
	v_add_co_u32 v5, s0, v5, v2
	v_add_co_ci_u32_e64 v6, null, 0, v6, s0
	global_load_dwordx2 v[5:6], v[5:6], off
	s_waitcnt vmcnt(0)
	ds_write_b64 v7, v[5:6]
.LBB62_3:
	s_or_b32 exec_lo, exec_lo, s1
	s_add_i32 s0, s11, -1
	s_ashr_i32 s1, s0, 31
	s_lshr_b32 s1, s1, 27
	s_add_i32 s0, s0, s1
	s_and_b32 s1, s0, 0xffffffe0
	s_ashr_i32 s0, s0, 5
	s_sub_i32 s1, s11, s1
	s_cmp_ge_i32 s6, s0
	s_cselect_b32 s0, s1, 32
	s_lshl_b32 s1, s6, 5
	v_cmp_gt_i32_e64 s0, s0, v1
	s_ashr_i32 s6, s1, 31
	s_and_b32 s0, vcc_lo, s0
	s_and_saveexec_b32 s10, s0
	s_cbranch_execz .LBB62_5
; %bb.4:
	v_mad_u64_u32 v[5:6], null, s20, v1, 0
	s_mul_i32 s11, s23, s7
	s_mul_hi_u32 s13, s22, s7
	s_mul_i32 s12, s22, s7
	s_add_i32 s13, s13, s11
	s_mul_i32 s14, s20, s6
	s_lshl_b64 s[12:13], s[12:13], 3
	v_mad_u64_u32 v[6:7], null, s21, v1, v[6:7]
	s_mul_hi_u32 s11, s20, s1
	s_add_u32 s16, s18, s12
	s_mul_i32 s15, s21, s1
	s_addc_u32 s17, s19, s13
	s_add_i32 s11, s11, s14
	s_mul_i32 s12, s20, s1
	s_add_i32 s13, s11, s15
	v_lshlrev_b64 v[5:6], 3, v[5:6]
	s_lshl_b64 s[12:13], s[12:13], 3
	v_add_nc_u32_e32 v7, 0x2000, v4
	s_add_u32 s11, s16, s12
	s_addc_u32 s12, s17, s13
	v_add_co_u32 v5, vcc_lo, s11, v5
	v_add_co_ci_u32_e64 v6, null, s12, v6, vcc_lo
	v_add_co_u32 v5, vcc_lo, v5, v2
	v_add_co_ci_u32_e64 v6, null, 0, v6, vcc_lo
	global_load_dwordx2 v[5:6], v[5:6], off
	s_waitcnt vmcnt(0)
	ds_write_b64 v7, v[5:6]
.LBB62_5:
	s_or_b32 exec_lo, exec_lo, s10
	v_cmp_eq_u32_e32 vcc_lo, v1, v0
	s_cmpk_eq_i32 s9, 0x84
	s_cselect_b32 s9, -1, 0
	s_and_b32 s10, vcc_lo, s9
	s_and_saveexec_b32 s9, s10
; %bb.6:
	v_mov_b32_e32 v5, 0
	v_mov_b32_e32 v6, 0x3ff00000
	ds_write_b64 v4, v[5:6]
; %bb.7:
	s_or_b32 exec_lo, exec_lo, s9
	s_cmpk_lg_i32 s8, 0x7a
	s_waitcnt lgkmcnt(0)
	s_barrier
	buffer_gl0_inv
	s_cbranch_scc0 .LBB62_9
; %bb.8:
	v_cmp_lt_u32_e32 vcc_lo, v0, v1
	s_and_b32 s8, vcc_lo, exec_lo
	s_cbranch_execz .LBB62_10
	s_branch .LBB62_11
.LBB62_9:
	s_mov_b32 s8, 0
.LBB62_10:
	v_cmp_gt_u32_e32 vcc_lo, v0, v1
	s_andn2_b32 s8, s8, exec_lo
	s_and_b32 s9, vcc_lo, exec_lo
	s_or_b32 s8, s8, s9
.LBB62_11:
	s_and_saveexec_b32 s9, s8
; %bb.12:
	v_mov_b32_e32 v5, 0
	v_mov_b32_e32 v6, v5
	ds_write_b64 v4, v[5:6]
; %bb.13:
	s_or_b32 exec_lo, exec_lo, s9
	s_waitcnt lgkmcnt(0)
	s_barrier
	buffer_gl0_inv
	s_and_saveexec_b32 s8, s0
	s_cbranch_execz .LBB62_15
; %bb.14:
	v_lshlrev_b32_e32 v0, 3, v3
	v_add_nc_u32_e32 v17, 0x800, v2
	ds_read2_b64 v[3:6], v2 offset1:32
	ds_read_b128 v[7:10], v0 offset:8192
	ds_read_b128 v[11:14], v0 offset:8208
	s_waitcnt lgkmcnt(1)
	v_fma_f64 v[3:4], v[3:4], v[7:8], 0
	v_fma_f64 v[7:8], v[5:6], v[9:10], v[3:4]
	ds_read2_b64 v[3:6], v2 offset0:64 offset1:96
	s_waitcnt lgkmcnt(0)
	v_fma_f64 v[3:4], v[3:4], v[11:12], v[7:8]
	v_fma_f64 v[15:16], v[5:6], v[13:14], v[3:4]
	ds_read2_b64 v[3:6], v2 offset0:128 offset1:160
	ds_read_b128 v[7:10], v0 offset:8224
	ds_read_b128 v[11:14], v0 offset:8240
	s_waitcnt lgkmcnt(1)
	v_fma_f64 v[3:4], v[3:4], v[7:8], v[15:16]
	v_fma_f64 v[7:8], v[5:6], v[9:10], v[3:4]
	ds_read2_b64 v[3:6], v2 offset0:192 offset1:224
	s_waitcnt lgkmcnt(0)
	v_fma_f64 v[3:4], v[3:4], v[11:12], v[7:8]
	v_fma_f64 v[15:16], v[5:6], v[13:14], v[3:4]
	ds_read2_b64 v[3:6], v17 offset1:32
	ds_read_b128 v[7:10], v0 offset:8256
	ds_read_b128 v[11:14], v0 offset:8272
	s_waitcnt lgkmcnt(1)
	v_fma_f64 v[3:4], v[3:4], v[7:8], v[15:16]
	v_fma_f64 v[7:8], v[5:6], v[9:10], v[3:4]
	ds_read2_b64 v[3:6], v17 offset0:64 offset1:96
	s_waitcnt lgkmcnt(0)
	v_fma_f64 v[3:4], v[3:4], v[11:12], v[7:8]
	v_fma_f64 v[15:16], v[5:6], v[13:14], v[3:4]
	ds_read2_b64 v[3:6], v17 offset0:128 offset1:160
	ds_read_b128 v[7:10], v0 offset:8288
	ds_read_b128 v[11:14], v0 offset:8304
	s_waitcnt lgkmcnt(1)
	v_fma_f64 v[3:4], v[3:4], v[7:8], v[15:16]
	v_fma_f64 v[7:8], v[5:6], v[9:10], v[3:4]
	ds_read2_b64 v[3:6], v17 offset0:192 offset1:224
	v_add_nc_u32_e32 v17, 0x1000, v2
	s_waitcnt lgkmcnt(0)
	v_fma_f64 v[3:4], v[3:4], v[11:12], v[7:8]
	v_fma_f64 v[15:16], v[5:6], v[13:14], v[3:4]
	ds_read2_b64 v[3:6], v17 offset1:32
	ds_read_b128 v[7:10], v0 offset:8320
	ds_read_b128 v[11:14], v0 offset:8336
	s_waitcnt lgkmcnt(1)
	v_fma_f64 v[3:4], v[3:4], v[7:8], v[15:16]
	v_fma_f64 v[7:8], v[5:6], v[9:10], v[3:4]
	ds_read2_b64 v[3:6], v17 offset0:64 offset1:96
	s_waitcnt lgkmcnt(0)
	v_fma_f64 v[3:4], v[3:4], v[11:12], v[7:8]
	v_fma_f64 v[15:16], v[5:6], v[13:14], v[3:4]
	ds_read2_b64 v[3:6], v17 offset0:128 offset1:160
	ds_read_b128 v[7:10], v0 offset:8352
	ds_read_b128 v[11:14], v0 offset:8368
	s_waitcnt lgkmcnt(1)
	v_fma_f64 v[3:4], v[3:4], v[7:8], v[15:16]
	v_fma_f64 v[7:8], v[5:6], v[9:10], v[3:4]
	ds_read2_b64 v[3:6], v17 offset0:192 offset1:224
	v_add_nc_u32_e32 v17, 0x1800, v2
	s_waitcnt lgkmcnt(0)
	v_fma_f64 v[3:4], v[3:4], v[11:12], v[7:8]
	v_fma_f64 v[15:16], v[5:6], v[13:14], v[3:4]
	ds_read2_b64 v[3:6], v17 offset1:32
	ds_read_b128 v[7:10], v0 offset:8384
	ds_read_b128 v[11:14], v0 offset:8400
	s_waitcnt lgkmcnt(1)
	v_fma_f64 v[3:4], v[3:4], v[7:8], v[15:16]
	v_fma_f64 v[7:8], v[5:6], v[9:10], v[3:4]
	ds_read2_b64 v[3:6], v17 offset0:64 offset1:96
	s_waitcnt lgkmcnt(0)
	v_fma_f64 v[3:4], v[3:4], v[11:12], v[7:8]
	v_fma_f64 v[15:16], v[5:6], v[13:14], v[3:4]
	ds_read2_b64 v[3:6], v17 offset0:128 offset1:160
	ds_read_b128 v[7:10], v0 offset:8416
	ds_read_b128 v[11:14], v0 offset:8432
	s_waitcnt lgkmcnt(1)
	v_fma_f64 v[3:4], v[3:4], v[7:8], v[15:16]
	v_fma_f64 v[7:8], v[5:6], v[9:10], v[3:4]
	ds_read2_b64 v[3:6], v17 offset0:192 offset1:224
	s_clause 0x1
	s_load_dwordx4 s[8:11], s[4:5], 0x50
	s_load_dwordx2 s[4:5], s[4:5], 0x60
	s_waitcnt lgkmcnt(0)
	s_mul_i32 s0, s5, s7
	v_fma_f64 v[3:4], v[3:4], v[11:12], v[7:8]
	s_mul_hi_u32 s5, s4, s7
	s_mul_i32 s4, s4, s7
	s_add_i32 s5, s5, s0
	s_mul_i32 s0, s10, s6
	s_lshl_b64 s[4:5], s[4:5], 3
	s_mul_hi_u32 s6, s10, s1
	s_add_u32 s4, s8, s4
	s_addc_u32 s5, s9, s5
	s_add_i32 s0, s6, s0
	s_mul_i32 s6, s11, s1
	v_fma_f64 v[3:4], v[5:6], v[13:14], v[3:4]
	v_mad_u64_u32 v[5:6], null, s10, v1, 0
	v_mov_b32_e32 v0, v6
	v_mad_u64_u32 v[0:1], null, s11, v1, v[0:1]
	v_mov_b32_e32 v6, v0
	v_mul_f64 v[0:1], s[2:3], v[3:4]
	s_add_i32 s3, s0, s6
	s_mul_i32 s2, s10, s1
	v_lshlrev_b64 v[3:4], 3, v[5:6]
	s_lshl_b64 s[0:1], s[2:3], 3
	s_add_u32 s0, s4, s0
	s_addc_u32 s1, s5, s1
	v_add_co_u32 v3, vcc_lo, s0, v3
	v_add_co_ci_u32_e64 v4, null, s1, v4, vcc_lo
	v_add_co_u32 v2, vcc_lo, v3, v2
	v_add_co_ci_u32_e64 v3, null, 0, v4, vcc_lo
	global_store_dwordx2 v[2:3], v[0:1], off
.LBB62_15:
	s_endpgm
	.section	.rodata,"a",@progbits
	.p2align	6, 0x0
	.amdhsa_kernel _ZL23rocblas_trmm_lTx_kernelILi32ELb0EdPKdS0_dEv13rocblas_fill_17rocblas_diagonal_iiT2_lPT3_llS6_llPT4_lli
		.amdhsa_group_segment_fixed_size 16384
		.amdhsa_private_segment_fixed_size 0
		.amdhsa_kernarg_size 108
		.amdhsa_user_sgpr_count 6
		.amdhsa_user_sgpr_private_segment_buffer 1
		.amdhsa_user_sgpr_dispatch_ptr 0
		.amdhsa_user_sgpr_queue_ptr 0
		.amdhsa_user_sgpr_kernarg_segment_ptr 1
		.amdhsa_user_sgpr_dispatch_id 0
		.amdhsa_user_sgpr_flat_scratch_init 0
		.amdhsa_user_sgpr_private_segment_size 0
		.amdhsa_wavefront_size32 1
		.amdhsa_uses_dynamic_stack 0
		.amdhsa_system_sgpr_private_segment_wavefront_offset 0
		.amdhsa_system_sgpr_workgroup_id_x 1
		.amdhsa_system_sgpr_workgroup_id_y 0
		.amdhsa_system_sgpr_workgroup_id_z 1
		.amdhsa_system_sgpr_workgroup_info 0
		.amdhsa_system_vgpr_workitem_id 1
		.amdhsa_next_free_vgpr 18
		.amdhsa_next_free_sgpr 24
		.amdhsa_reserve_vcc 1
		.amdhsa_reserve_flat_scratch 0
		.amdhsa_float_round_mode_32 0
		.amdhsa_float_round_mode_16_64 0
		.amdhsa_float_denorm_mode_32 3
		.amdhsa_float_denorm_mode_16_64 3
		.amdhsa_dx10_clamp 1
		.amdhsa_ieee_mode 1
		.amdhsa_fp16_overflow 0
		.amdhsa_workgroup_processor_mode 1
		.amdhsa_memory_ordered 1
		.amdhsa_forward_progress 1
		.amdhsa_shared_vgpr_count 0
		.amdhsa_exception_fp_ieee_invalid_op 0
		.amdhsa_exception_fp_denorm_src 0
		.amdhsa_exception_fp_ieee_div_zero 0
		.amdhsa_exception_fp_ieee_overflow 0
		.amdhsa_exception_fp_ieee_underflow 0
		.amdhsa_exception_fp_ieee_inexact 0
		.amdhsa_exception_int_div_zero 0
	.end_amdhsa_kernel
	.section	.text._ZL23rocblas_trmm_lTx_kernelILi32ELb0EdPKdS0_dEv13rocblas_fill_17rocblas_diagonal_iiT2_lPT3_llS6_llPT4_lli,"axG",@progbits,_ZL23rocblas_trmm_lTx_kernelILi32ELb0EdPKdS0_dEv13rocblas_fill_17rocblas_diagonal_iiT2_lPT3_llS6_llPT4_lli,comdat
.Lfunc_end62:
	.size	_ZL23rocblas_trmm_lTx_kernelILi32ELb0EdPKdS0_dEv13rocblas_fill_17rocblas_diagonal_iiT2_lPT3_llS6_llPT4_lli, .Lfunc_end62-_ZL23rocblas_trmm_lTx_kernelILi32ELb0EdPKdS0_dEv13rocblas_fill_17rocblas_diagonal_iiT2_lPT3_llS6_llPT4_lli
                                        ; -- End function
	.set _ZL23rocblas_trmm_lTx_kernelILi32ELb0EdPKdS0_dEv13rocblas_fill_17rocblas_diagonal_iiT2_lPT3_llS6_llPT4_lli.num_vgpr, 18
	.set _ZL23rocblas_trmm_lTx_kernelILi32ELb0EdPKdS0_dEv13rocblas_fill_17rocblas_diagonal_iiT2_lPT3_llS6_llPT4_lli.num_agpr, 0
	.set _ZL23rocblas_trmm_lTx_kernelILi32ELb0EdPKdS0_dEv13rocblas_fill_17rocblas_diagonal_iiT2_lPT3_llS6_llPT4_lli.numbered_sgpr, 24
	.set _ZL23rocblas_trmm_lTx_kernelILi32ELb0EdPKdS0_dEv13rocblas_fill_17rocblas_diagonal_iiT2_lPT3_llS6_llPT4_lli.num_named_barrier, 0
	.set _ZL23rocblas_trmm_lTx_kernelILi32ELb0EdPKdS0_dEv13rocblas_fill_17rocblas_diagonal_iiT2_lPT3_llS6_llPT4_lli.private_seg_size, 0
	.set _ZL23rocblas_trmm_lTx_kernelILi32ELb0EdPKdS0_dEv13rocblas_fill_17rocblas_diagonal_iiT2_lPT3_llS6_llPT4_lli.uses_vcc, 1
	.set _ZL23rocblas_trmm_lTx_kernelILi32ELb0EdPKdS0_dEv13rocblas_fill_17rocblas_diagonal_iiT2_lPT3_llS6_llPT4_lli.uses_flat_scratch, 0
	.set _ZL23rocblas_trmm_lTx_kernelILi32ELb0EdPKdS0_dEv13rocblas_fill_17rocblas_diagonal_iiT2_lPT3_llS6_llPT4_lli.has_dyn_sized_stack, 0
	.set _ZL23rocblas_trmm_lTx_kernelILi32ELb0EdPKdS0_dEv13rocblas_fill_17rocblas_diagonal_iiT2_lPT3_llS6_llPT4_lli.has_recursion, 0
	.set _ZL23rocblas_trmm_lTx_kernelILi32ELb0EdPKdS0_dEv13rocblas_fill_17rocblas_diagonal_iiT2_lPT3_llS6_llPT4_lli.has_indirect_call, 0
	.section	.AMDGPU.csdata,"",@progbits
; Kernel info:
; codeLenInByte = 1420
; TotalNumSgprs: 26
; NumVgprs: 18
; ScratchSize: 0
; MemoryBound: 0
; FloatMode: 240
; IeeeMode: 1
; LDSByteSize: 16384 bytes/workgroup (compile time only)
; SGPRBlocks: 0
; VGPRBlocks: 2
; NumSGPRsForWavesPerEU: 26
; NumVGPRsForWavesPerEU: 18
; Occupancy: 16
; WaveLimiterHint : 0
; COMPUTE_PGM_RSRC2:SCRATCH_EN: 0
; COMPUTE_PGM_RSRC2:USER_SGPR: 6
; COMPUTE_PGM_RSRC2:TRAP_HANDLER: 0
; COMPUTE_PGM_RSRC2:TGID_X_EN: 1
; COMPUTE_PGM_RSRC2:TGID_Y_EN: 0
; COMPUTE_PGM_RSRC2:TGID_Z_EN: 1
; COMPUTE_PGM_RSRC2:TIDIG_COMP_CNT: 1
	.section	.text._ZL23rocblas_trmm_lTx_kernelILi32ELb0EddKddEv13rocblas_fill_17rocblas_diagonal_iiT2_lPT3_llS5_llPT4_lli,"axG",@progbits,_ZL23rocblas_trmm_lTx_kernelILi32ELb0EddKddEv13rocblas_fill_17rocblas_diagonal_iiT2_lPT3_llS5_llPT4_lli,comdat
	.globl	_ZL23rocblas_trmm_lTx_kernelILi32ELb0EddKddEv13rocblas_fill_17rocblas_diagonal_iiT2_lPT3_llS5_llPT4_lli ; -- Begin function _ZL23rocblas_trmm_lTx_kernelILi32ELb0EddKddEv13rocblas_fill_17rocblas_diagonal_iiT2_lPT3_llS5_llPT4_lli
	.p2align	8
	.type	_ZL23rocblas_trmm_lTx_kernelILi32ELb0EddKddEv13rocblas_fill_17rocblas_diagonal_iiT2_lPT3_llS5_llPT4_lli,@function
_ZL23rocblas_trmm_lTx_kernelILi32ELb0EddKddEv13rocblas_fill_17rocblas_diagonal_iiT2_lPT3_llS5_llPT4_lli: ; @_ZL23rocblas_trmm_lTx_kernelILi32ELb0EddKddEv13rocblas_fill_17rocblas_diagonal_iiT2_lPT3_llS5_llPT4_lli
; %bb.0:
	s_load_dwordx2 s[2:3], s[4:5], 0x10
	s_waitcnt lgkmcnt(0)
	v_cmp_eq_f64_e64 s0, s[2:3], 0
	s_and_b32 vcc_lo, exec_lo, s0
	s_cbranch_vccnz .LBB63_15
; %bb.1:
	s_clause 0x1
	s_load_dwordx4 s[24:27], s[4:5], 0x0
	s_load_dwordx16 s[8:23], s[4:5], 0x20
	s_mov_b32 s0, 0
	v_lshlrev_b32_e32 v3, 5, v1
	s_mov_b32 s1, s0
	v_lshlrev_b32_e32 v2, 3, v0
	v_mov_b32_e32 v6, s1
	v_mov_b32_e32 v5, s0
	v_add_lshl_u32 v4, v3, v0, 3
	ds_write2st64_b64 v4, v[5:6], v[5:6] offset1:16
	s_waitcnt lgkmcnt(0)
	s_barrier
	buffer_gl0_inv
	v_cmp_gt_i32_e64 s0, s26, v1
	v_cmp_gt_i32_e32 vcc_lo, s26, v0
	s_and_b32 s0, s0, vcc_lo
	s_and_saveexec_b32 s1, s0
	s_cbranch_execz .LBB63_3
; %bb.2:
	v_mad_u64_u32 v[5:6], null, s10, v1, 0
	s_mul_i32 s0, s13, s7
	s_mul_i32 s10, s12, s7
	v_mad_u64_u32 v[6:7], null, s11, v1, v[6:7]
	s_mul_hi_u32 s11, s12, s7
	v_lshlrev_b32_e32 v7, 3, v1
	s_add_i32 s11, s11, s0
	s_lshl_b64 s[10:11], s[10:11], 3
	s_add_u32 s0, s8, s10
	v_lshlrev_b64 v[5:6], 3, v[5:6]
	s_addc_u32 s8, s9, s11
	v_lshl_add_u32 v7, v0, 8, v7
	v_add_co_u32 v5, s0, s0, v5
	v_add_co_ci_u32_e64 v6, null, s8, v6, s0
	v_add_co_u32 v5, s0, v5, v2
	v_add_co_ci_u32_e64 v6, null, 0, v6, s0
	global_load_dwordx2 v[5:6], v[5:6], off
	s_waitcnt vmcnt(0)
	ds_write_b64 v7, v[5:6]
.LBB63_3:
	s_or_b32 exec_lo, exec_lo, s1
	s_add_i32 s0, s27, -1
	s_ashr_i32 s1, s0, 31
	s_lshr_b32 s1, s1, 27
	s_add_i32 s0, s0, s1
	s_and_b32 s1, s0, 0xffffffe0
	s_ashr_i32 s0, s0, 5
	s_sub_i32 s1, s27, s1
	s_cmp_ge_i32 s6, s0
	s_cselect_b32 s0, s1, 32
	s_lshl_b32 s1, s6, 5
	v_cmp_gt_i32_e64 s0, s0, v1
	s_ashr_i32 s6, s1, 31
	s_and_b32 s0, vcc_lo, s0
	s_and_saveexec_b32 s8, s0
	s_cbranch_execz .LBB63_5
; %bb.4:
	v_mad_u64_u32 v[5:6], null, s16, v1, 0
	s_mul_i32 s9, s19, s7
	s_mul_hi_u32 s11, s18, s7
	s_mul_i32 s10, s18, s7
	s_add_i32 s11, s11, s9
	s_mul_i32 s12, s16, s6
	s_lshl_b64 s[10:11], s[10:11], 3
	v_mad_u64_u32 v[6:7], null, s17, v1, v[6:7]
	s_mul_hi_u32 s9, s16, s1
	s_add_u32 s14, s14, s10
	s_mul_i32 s13, s17, s1
	s_addc_u32 s15, s15, s11
	s_add_i32 s9, s9, s12
	s_mul_i32 s10, s16, s1
	s_add_i32 s11, s9, s13
	v_lshlrev_b64 v[5:6], 3, v[5:6]
	s_lshl_b64 s[10:11], s[10:11], 3
	v_add_nc_u32_e32 v7, 0x2000, v4
	s_add_u32 s9, s14, s10
	s_addc_u32 s10, s15, s11
	v_add_co_u32 v5, vcc_lo, s9, v5
	v_add_co_ci_u32_e64 v6, null, s10, v6, vcc_lo
	v_add_co_u32 v5, vcc_lo, v5, v2
	v_add_co_ci_u32_e64 v6, null, 0, v6, vcc_lo
	global_load_dwordx2 v[5:6], v[5:6], off
	s_waitcnt vmcnt(0)
	ds_write_b64 v7, v[5:6]
.LBB63_5:
	s_or_b32 exec_lo, exec_lo, s8
	v_cmp_eq_u32_e32 vcc_lo, v1, v0
	s_cmpk_eq_i32 s25, 0x84
	s_cselect_b32 s8, -1, 0
	s_and_b32 s9, vcc_lo, s8
	s_and_saveexec_b32 s8, s9
; %bb.6:
	v_mov_b32_e32 v5, 0
	v_mov_b32_e32 v6, 0x3ff00000
	ds_write_b64 v4, v[5:6]
; %bb.7:
	s_or_b32 exec_lo, exec_lo, s8
	s_cmpk_lg_i32 s24, 0x7a
	s_waitcnt lgkmcnt(0)
	s_barrier
	buffer_gl0_inv
	s_cbranch_scc0 .LBB63_9
; %bb.8:
	v_cmp_lt_u32_e32 vcc_lo, v0, v1
	s_and_b32 s8, vcc_lo, exec_lo
	s_cbranch_execz .LBB63_10
	s_branch .LBB63_11
.LBB63_9:
	s_mov_b32 s8, 0
.LBB63_10:
	v_cmp_gt_u32_e32 vcc_lo, v0, v1
	s_andn2_b32 s8, s8, exec_lo
	s_and_b32 s9, vcc_lo, exec_lo
	s_or_b32 s8, s8, s9
.LBB63_11:
	s_and_saveexec_b32 s9, s8
; %bb.12:
	v_mov_b32_e32 v5, 0
	v_mov_b32_e32 v6, v5
	ds_write_b64 v4, v[5:6]
; %bb.13:
	s_or_b32 exec_lo, exec_lo, s9
	s_waitcnt lgkmcnt(0)
	s_barrier
	buffer_gl0_inv
	s_and_saveexec_b32 s8, s0
	s_cbranch_execz .LBB63_15
; %bb.14:
	v_lshlrev_b32_e32 v0, 3, v3
	v_add_nc_u32_e32 v17, 0x800, v2
	s_load_dwordx2 s[4:5], s[4:5], 0x60
	ds_read2_b64 v[3:6], v2 offset1:32
	ds_read_b128 v[7:10], v0 offset:8192
	ds_read_b128 v[11:14], v0 offset:8208
	s_waitcnt lgkmcnt(0)
	s_mul_i32 s0, s5, s7
	v_fma_f64 v[3:4], v[3:4], v[7:8], 0
	s_mul_hi_u32 s5, s4, s7
	s_mul_i32 s4, s4, s7
	s_add_i32 s5, s5, s0
	s_mul_i32 s0, s22, s6
	s_lshl_b64 s[4:5], s[4:5], 3
	s_mul_hi_u32 s6, s22, s1
	s_add_u32 s4, s20, s4
	s_addc_u32 s5, s21, s5
	s_add_i32 s0, s6, s0
	s_mul_i32 s6, s23, s1
	v_fma_f64 v[7:8], v[5:6], v[9:10], v[3:4]
	ds_read2_b64 v[3:6], v2 offset0:64 offset1:96
	s_waitcnt lgkmcnt(0)
	v_fma_f64 v[3:4], v[3:4], v[11:12], v[7:8]
	v_fma_f64 v[15:16], v[5:6], v[13:14], v[3:4]
	ds_read2_b64 v[3:6], v2 offset0:128 offset1:160
	ds_read_b128 v[7:10], v0 offset:8224
	ds_read_b128 v[11:14], v0 offset:8240
	s_waitcnt lgkmcnt(1)
	v_fma_f64 v[3:4], v[3:4], v[7:8], v[15:16]
	v_fma_f64 v[7:8], v[5:6], v[9:10], v[3:4]
	ds_read2_b64 v[3:6], v2 offset0:192 offset1:224
	s_waitcnt lgkmcnt(0)
	v_fma_f64 v[3:4], v[3:4], v[11:12], v[7:8]
	v_fma_f64 v[15:16], v[5:6], v[13:14], v[3:4]
	ds_read2_b64 v[3:6], v17 offset1:32
	ds_read_b128 v[7:10], v0 offset:8256
	ds_read_b128 v[11:14], v0 offset:8272
	s_waitcnt lgkmcnt(1)
	v_fma_f64 v[3:4], v[3:4], v[7:8], v[15:16]
	v_fma_f64 v[7:8], v[5:6], v[9:10], v[3:4]
	ds_read2_b64 v[3:6], v17 offset0:64 offset1:96
	s_waitcnt lgkmcnt(0)
	v_fma_f64 v[3:4], v[3:4], v[11:12], v[7:8]
	v_fma_f64 v[15:16], v[5:6], v[13:14], v[3:4]
	ds_read2_b64 v[3:6], v17 offset0:128 offset1:160
	ds_read_b128 v[7:10], v0 offset:8288
	ds_read_b128 v[11:14], v0 offset:8304
	s_waitcnt lgkmcnt(1)
	v_fma_f64 v[3:4], v[3:4], v[7:8], v[15:16]
	v_fma_f64 v[7:8], v[5:6], v[9:10], v[3:4]
	ds_read2_b64 v[3:6], v17 offset0:192 offset1:224
	v_add_nc_u32_e32 v17, 0x1000, v2
	s_waitcnt lgkmcnt(0)
	v_fma_f64 v[3:4], v[3:4], v[11:12], v[7:8]
	v_fma_f64 v[15:16], v[5:6], v[13:14], v[3:4]
	ds_read2_b64 v[3:6], v17 offset1:32
	ds_read_b128 v[7:10], v0 offset:8320
	ds_read_b128 v[11:14], v0 offset:8336
	s_waitcnt lgkmcnt(1)
	v_fma_f64 v[3:4], v[3:4], v[7:8], v[15:16]
	v_fma_f64 v[7:8], v[5:6], v[9:10], v[3:4]
	ds_read2_b64 v[3:6], v17 offset0:64 offset1:96
	s_waitcnt lgkmcnt(0)
	v_fma_f64 v[3:4], v[3:4], v[11:12], v[7:8]
	v_fma_f64 v[15:16], v[5:6], v[13:14], v[3:4]
	ds_read2_b64 v[3:6], v17 offset0:128 offset1:160
	ds_read_b128 v[7:10], v0 offset:8352
	ds_read_b128 v[11:14], v0 offset:8368
	s_waitcnt lgkmcnt(1)
	v_fma_f64 v[3:4], v[3:4], v[7:8], v[15:16]
	v_fma_f64 v[7:8], v[5:6], v[9:10], v[3:4]
	ds_read2_b64 v[3:6], v17 offset0:192 offset1:224
	v_add_nc_u32_e32 v17, 0x1800, v2
	s_waitcnt lgkmcnt(0)
	v_fma_f64 v[3:4], v[3:4], v[11:12], v[7:8]
	v_fma_f64 v[15:16], v[5:6], v[13:14], v[3:4]
	ds_read2_b64 v[3:6], v17 offset1:32
	ds_read_b128 v[7:10], v0 offset:8384
	ds_read_b128 v[11:14], v0 offset:8400
	s_waitcnt lgkmcnt(1)
	v_fma_f64 v[3:4], v[3:4], v[7:8], v[15:16]
	v_fma_f64 v[7:8], v[5:6], v[9:10], v[3:4]
	ds_read2_b64 v[3:6], v17 offset0:64 offset1:96
	s_waitcnt lgkmcnt(0)
	v_fma_f64 v[3:4], v[3:4], v[11:12], v[7:8]
	v_fma_f64 v[15:16], v[5:6], v[13:14], v[3:4]
	ds_read2_b64 v[3:6], v17 offset0:128 offset1:160
	ds_read_b128 v[7:10], v0 offset:8416
	ds_read_b128 v[11:14], v0 offset:8432
	s_waitcnt lgkmcnt(1)
	v_fma_f64 v[3:4], v[3:4], v[7:8], v[15:16]
	v_fma_f64 v[7:8], v[5:6], v[9:10], v[3:4]
	ds_read2_b64 v[3:6], v17 offset0:192 offset1:224
	s_waitcnt lgkmcnt(0)
	v_fma_f64 v[3:4], v[3:4], v[11:12], v[7:8]
	v_fma_f64 v[3:4], v[5:6], v[13:14], v[3:4]
	v_mad_u64_u32 v[5:6], null, s22, v1, 0
	v_mov_b32_e32 v0, v6
	v_mad_u64_u32 v[0:1], null, s23, v1, v[0:1]
	v_mov_b32_e32 v6, v0
	v_mul_f64 v[0:1], s[2:3], v[3:4]
	s_add_i32 s3, s0, s6
	s_mul_i32 s2, s22, s1
	v_lshlrev_b64 v[3:4], 3, v[5:6]
	s_lshl_b64 s[0:1], s[2:3], 3
	s_add_u32 s0, s4, s0
	s_addc_u32 s1, s5, s1
	v_add_co_u32 v3, vcc_lo, s0, v3
	v_add_co_ci_u32_e64 v4, null, s1, v4, vcc_lo
	v_add_co_u32 v2, vcc_lo, v3, v2
	v_add_co_ci_u32_e64 v3, null, 0, v4, vcc_lo
	global_store_dwordx2 v[2:3], v[0:1], off
.LBB63_15:
	s_endpgm
	.section	.rodata,"a",@progbits
	.p2align	6, 0x0
	.amdhsa_kernel _ZL23rocblas_trmm_lTx_kernelILi32ELb0EddKddEv13rocblas_fill_17rocblas_diagonal_iiT2_lPT3_llS5_llPT4_lli
		.amdhsa_group_segment_fixed_size 16384
		.amdhsa_private_segment_fixed_size 0
		.amdhsa_kernarg_size 108
		.amdhsa_user_sgpr_count 6
		.amdhsa_user_sgpr_private_segment_buffer 1
		.amdhsa_user_sgpr_dispatch_ptr 0
		.amdhsa_user_sgpr_queue_ptr 0
		.amdhsa_user_sgpr_kernarg_segment_ptr 1
		.amdhsa_user_sgpr_dispatch_id 0
		.amdhsa_user_sgpr_flat_scratch_init 0
		.amdhsa_user_sgpr_private_segment_size 0
		.amdhsa_wavefront_size32 1
		.amdhsa_uses_dynamic_stack 0
		.amdhsa_system_sgpr_private_segment_wavefront_offset 0
		.amdhsa_system_sgpr_workgroup_id_x 1
		.amdhsa_system_sgpr_workgroup_id_y 0
		.amdhsa_system_sgpr_workgroup_id_z 1
		.amdhsa_system_sgpr_workgroup_info 0
		.amdhsa_system_vgpr_workitem_id 1
		.amdhsa_next_free_vgpr 18
		.amdhsa_next_free_sgpr 28
		.amdhsa_reserve_vcc 1
		.amdhsa_reserve_flat_scratch 0
		.amdhsa_float_round_mode_32 0
		.amdhsa_float_round_mode_16_64 0
		.amdhsa_float_denorm_mode_32 3
		.amdhsa_float_denorm_mode_16_64 3
		.amdhsa_dx10_clamp 1
		.amdhsa_ieee_mode 1
		.amdhsa_fp16_overflow 0
		.amdhsa_workgroup_processor_mode 1
		.amdhsa_memory_ordered 1
		.amdhsa_forward_progress 1
		.amdhsa_shared_vgpr_count 0
		.amdhsa_exception_fp_ieee_invalid_op 0
		.amdhsa_exception_fp_denorm_src 0
		.amdhsa_exception_fp_ieee_div_zero 0
		.amdhsa_exception_fp_ieee_overflow 0
		.amdhsa_exception_fp_ieee_underflow 0
		.amdhsa_exception_fp_ieee_inexact 0
		.amdhsa_exception_int_div_zero 0
	.end_amdhsa_kernel
	.section	.text._ZL23rocblas_trmm_lTx_kernelILi32ELb0EddKddEv13rocblas_fill_17rocblas_diagonal_iiT2_lPT3_llS5_llPT4_lli,"axG",@progbits,_ZL23rocblas_trmm_lTx_kernelILi32ELb0EddKddEv13rocblas_fill_17rocblas_diagonal_iiT2_lPT3_llS5_llPT4_lli,comdat
.Lfunc_end63:
	.size	_ZL23rocblas_trmm_lTx_kernelILi32ELb0EddKddEv13rocblas_fill_17rocblas_diagonal_iiT2_lPT3_llS5_llPT4_lli, .Lfunc_end63-_ZL23rocblas_trmm_lTx_kernelILi32ELb0EddKddEv13rocblas_fill_17rocblas_diagonal_iiT2_lPT3_llS5_llPT4_lli
                                        ; -- End function
	.set _ZL23rocblas_trmm_lTx_kernelILi32ELb0EddKddEv13rocblas_fill_17rocblas_diagonal_iiT2_lPT3_llS5_llPT4_lli.num_vgpr, 18
	.set _ZL23rocblas_trmm_lTx_kernelILi32ELb0EddKddEv13rocblas_fill_17rocblas_diagonal_iiT2_lPT3_llS5_llPT4_lli.num_agpr, 0
	.set _ZL23rocblas_trmm_lTx_kernelILi32ELb0EddKddEv13rocblas_fill_17rocblas_diagonal_iiT2_lPT3_llS5_llPT4_lli.numbered_sgpr, 28
	.set _ZL23rocblas_trmm_lTx_kernelILi32ELb0EddKddEv13rocblas_fill_17rocblas_diagonal_iiT2_lPT3_llS5_llPT4_lli.num_named_barrier, 0
	.set _ZL23rocblas_trmm_lTx_kernelILi32ELb0EddKddEv13rocblas_fill_17rocblas_diagonal_iiT2_lPT3_llS5_llPT4_lli.private_seg_size, 0
	.set _ZL23rocblas_trmm_lTx_kernelILi32ELb0EddKddEv13rocblas_fill_17rocblas_diagonal_iiT2_lPT3_llS5_llPT4_lli.uses_vcc, 1
	.set _ZL23rocblas_trmm_lTx_kernelILi32ELb0EddKddEv13rocblas_fill_17rocblas_diagonal_iiT2_lPT3_llS5_llPT4_lli.uses_flat_scratch, 0
	.set _ZL23rocblas_trmm_lTx_kernelILi32ELb0EddKddEv13rocblas_fill_17rocblas_diagonal_iiT2_lPT3_llS5_llPT4_lli.has_dyn_sized_stack, 0
	.set _ZL23rocblas_trmm_lTx_kernelILi32ELb0EddKddEv13rocblas_fill_17rocblas_diagonal_iiT2_lPT3_llS5_llPT4_lli.has_recursion, 0
	.set _ZL23rocblas_trmm_lTx_kernelILi32ELb0EddKddEv13rocblas_fill_17rocblas_diagonal_iiT2_lPT3_llS5_llPT4_lli.has_indirect_call, 0
	.section	.AMDGPU.csdata,"",@progbits
; Kernel info:
; codeLenInByte = 1380
; TotalNumSgprs: 30
; NumVgprs: 18
; ScratchSize: 0
; MemoryBound: 0
; FloatMode: 240
; IeeeMode: 1
; LDSByteSize: 16384 bytes/workgroup (compile time only)
; SGPRBlocks: 0
; VGPRBlocks: 2
; NumSGPRsForWavesPerEU: 30
; NumVGPRsForWavesPerEU: 18
; Occupancy: 16
; WaveLimiterHint : 0
; COMPUTE_PGM_RSRC2:SCRATCH_EN: 0
; COMPUTE_PGM_RSRC2:USER_SGPR: 6
; COMPUTE_PGM_RSRC2:TRAP_HANDLER: 0
; COMPUTE_PGM_RSRC2:TGID_X_EN: 1
; COMPUTE_PGM_RSRC2:TGID_Y_EN: 0
; COMPUTE_PGM_RSRC2:TGID_Z_EN: 1
; COMPUTE_PGM_RSRC2:TIDIG_COMP_CNT: 1
	.section	.text._ZL23rocblas_trmm_lTx_kernelILi32ELb1EdPKdS0_dEv13rocblas_fill_17rocblas_diagonal_iiT2_lPT3_llS6_llPT4_lli,"axG",@progbits,_ZL23rocblas_trmm_lTx_kernelILi32ELb1EdPKdS0_dEv13rocblas_fill_17rocblas_diagonal_iiT2_lPT3_llS6_llPT4_lli,comdat
	.globl	_ZL23rocblas_trmm_lTx_kernelILi32ELb1EdPKdS0_dEv13rocblas_fill_17rocblas_diagonal_iiT2_lPT3_llS6_llPT4_lli ; -- Begin function _ZL23rocblas_trmm_lTx_kernelILi32ELb1EdPKdS0_dEv13rocblas_fill_17rocblas_diagonal_iiT2_lPT3_llS6_llPT4_lli
	.p2align	8
	.type	_ZL23rocblas_trmm_lTx_kernelILi32ELb1EdPKdS0_dEv13rocblas_fill_17rocblas_diagonal_iiT2_lPT3_llS6_llPT4_lli,@function
_ZL23rocblas_trmm_lTx_kernelILi32ELb1EdPKdS0_dEv13rocblas_fill_17rocblas_diagonal_iiT2_lPT3_llS6_llPT4_lli: ; @_ZL23rocblas_trmm_lTx_kernelILi32ELb1EdPKdS0_dEv13rocblas_fill_17rocblas_diagonal_iiT2_lPT3_llS6_llPT4_lli
; %bb.0:
	s_load_dwordx16 s[8:23], s[4:5], 0x10
	s_waitcnt lgkmcnt(0)
	s_mul_i32 s0, s11, s7
	s_mul_hi_u32 s1, s10, s7
	s_add_i32 s1, s1, s0
	s_mul_i32 s0, s10, s7
	s_lshl_b64 s[0:1], s[0:1], 3
	s_add_u32 s0, s8, s0
	s_addc_u32 s1, s9, s1
	s_load_dwordx2 s[2:3], s[0:1], 0x0
	s_waitcnt lgkmcnt(0)
	v_cmp_eq_f64_e64 s0, s[2:3], 0
	s_and_b32 vcc_lo, exec_lo, s0
	s_cbranch_vccnz .LBB64_15
; %bb.1:
	s_load_dwordx4 s[8:11], s[4:5], 0x0
	s_mov_b32 s0, 0
	v_lshlrev_b32_e32 v3, 5, v1
	s_mov_b32 s1, s0
	v_lshlrev_b32_e32 v2, 3, v0
	v_mov_b32_e32 v6, s1
	v_mov_b32_e32 v5, s0
	v_add_lshl_u32 v4, v3, v0, 3
	ds_write2st64_b64 v4, v[5:6], v[5:6] offset1:16
	s_waitcnt lgkmcnt(0)
	s_barrier
	buffer_gl0_inv
	v_cmp_gt_i32_e64 s0, s10, v1
	v_cmp_gt_i32_e32 vcc_lo, s10, v0
	s_and_b32 s0, s0, vcc_lo
	s_and_saveexec_b32 s1, s0
	s_cbranch_execz .LBB64_3
; %bb.2:
	v_mad_u64_u32 v[5:6], null, s14, v1, 0
	s_mul_i32 s0, s17, s7
	s_mul_hi_u32 s10, s16, s7
	s_mul_i32 s14, s16, s7
	v_mad_u64_u32 v[6:7], null, s15, v1, v[6:7]
	s_add_i32 s15, s10, s0
	v_lshlrev_b32_e32 v7, 3, v1
	s_lshl_b64 s[14:15], s[14:15], 3
	s_add_u32 s0, s12, s14
	s_addc_u32 s10, s13, s15
	v_lshlrev_b64 v[5:6], 3, v[5:6]
	v_lshl_add_u32 v7, v0, 8, v7
	v_add_co_u32 v5, s0, s0, v5
	v_add_co_ci_u32_e64 v6, null, s10, v6, s0
	v_add_co_u32 v5, s0, v5, v2
	v_add_co_ci_u32_e64 v6, null, 0, v6, s0
	global_load_dwordx2 v[5:6], v[5:6], off
	s_waitcnt vmcnt(0)
	ds_write_b64 v7, v[5:6]
.LBB64_3:
	s_or_b32 exec_lo, exec_lo, s1
	s_add_i32 s0, s11, -1
	s_ashr_i32 s1, s0, 31
	s_lshr_b32 s1, s1, 27
	s_add_i32 s0, s0, s1
	s_and_b32 s1, s0, 0xffffffe0
	s_ashr_i32 s0, s0, 5
	s_sub_i32 s1, s11, s1
	s_cmp_ge_i32 s6, s0
	s_cselect_b32 s0, s1, 32
	s_lshl_b32 s1, s6, 5
	v_cmp_gt_i32_e64 s0, s0, v1
	s_ashr_i32 s6, s1, 31
	s_and_b32 s0, vcc_lo, s0
	s_and_saveexec_b32 s10, s0
	s_cbranch_execz .LBB64_5
; %bb.4:
	v_mad_u64_u32 v[5:6], null, s20, v1, 0
	s_mul_i32 s11, s23, s7
	s_mul_hi_u32 s13, s22, s7
	s_mul_i32 s12, s22, s7
	s_add_i32 s13, s13, s11
	s_mul_i32 s14, s20, s6
	s_lshl_b64 s[12:13], s[12:13], 3
	v_mad_u64_u32 v[6:7], null, s21, v1, v[6:7]
	s_mul_hi_u32 s11, s20, s1
	s_add_u32 s16, s18, s12
	s_mul_i32 s15, s21, s1
	s_addc_u32 s17, s19, s13
	s_add_i32 s11, s11, s14
	s_mul_i32 s12, s20, s1
	s_add_i32 s13, s11, s15
	v_lshlrev_b64 v[5:6], 3, v[5:6]
	s_lshl_b64 s[12:13], s[12:13], 3
	v_add_nc_u32_e32 v7, 0x2000, v4
	s_add_u32 s11, s16, s12
	s_addc_u32 s12, s17, s13
	v_add_co_u32 v5, vcc_lo, s11, v5
	v_add_co_ci_u32_e64 v6, null, s12, v6, vcc_lo
	v_add_co_u32 v5, vcc_lo, v5, v2
	v_add_co_ci_u32_e64 v6, null, 0, v6, vcc_lo
	global_load_dwordx2 v[5:6], v[5:6], off
	s_waitcnt vmcnt(0)
	ds_write_b64 v7, v[5:6]
.LBB64_5:
	s_or_b32 exec_lo, exec_lo, s10
	v_cmp_eq_u32_e32 vcc_lo, v1, v0
	s_cmpk_eq_i32 s9, 0x84
	s_cselect_b32 s9, -1, 0
	s_and_b32 s10, vcc_lo, s9
	s_and_saveexec_b32 s9, s10
; %bb.6:
	v_mov_b32_e32 v5, 0
	v_mov_b32_e32 v6, 0x3ff00000
	ds_write_b64 v4, v[5:6]
; %bb.7:
	s_or_b32 exec_lo, exec_lo, s9
	s_cmpk_lg_i32 s8, 0x7a
	s_waitcnt lgkmcnt(0)
	s_barrier
	buffer_gl0_inv
	s_cbranch_scc0 .LBB64_9
; %bb.8:
	v_cmp_lt_u32_e32 vcc_lo, v0, v1
	s_and_b32 s8, vcc_lo, exec_lo
	s_cbranch_execz .LBB64_10
	s_branch .LBB64_11
.LBB64_9:
	s_mov_b32 s8, 0
.LBB64_10:
	v_cmp_gt_u32_e32 vcc_lo, v0, v1
	s_andn2_b32 s8, s8, exec_lo
	s_and_b32 s9, vcc_lo, exec_lo
	s_or_b32 s8, s8, s9
.LBB64_11:
	s_and_saveexec_b32 s9, s8
; %bb.12:
	v_mov_b32_e32 v5, 0
	v_mov_b32_e32 v6, v5
	ds_write_b64 v4, v[5:6]
; %bb.13:
	s_or_b32 exec_lo, exec_lo, s9
	s_waitcnt lgkmcnt(0)
	s_barrier
	buffer_gl0_inv
	s_and_saveexec_b32 s8, s0
	s_cbranch_execz .LBB64_15
; %bb.14:
	v_lshlrev_b32_e32 v0, 3, v3
	v_add_nc_u32_e32 v17, 0x800, v2
	ds_read2_b64 v[3:6], v2 offset1:32
	ds_read_b128 v[7:10], v0 offset:8192
	ds_read_b128 v[11:14], v0 offset:8208
	s_waitcnt lgkmcnt(1)
	v_fma_f64 v[3:4], v[3:4], v[7:8], 0
	v_fma_f64 v[7:8], v[5:6], v[9:10], v[3:4]
	ds_read2_b64 v[3:6], v2 offset0:64 offset1:96
	s_waitcnt lgkmcnt(0)
	v_fma_f64 v[3:4], v[3:4], v[11:12], v[7:8]
	v_fma_f64 v[15:16], v[5:6], v[13:14], v[3:4]
	ds_read2_b64 v[3:6], v2 offset0:128 offset1:160
	ds_read_b128 v[7:10], v0 offset:8224
	ds_read_b128 v[11:14], v0 offset:8240
	s_waitcnt lgkmcnt(1)
	v_fma_f64 v[3:4], v[3:4], v[7:8], v[15:16]
	v_fma_f64 v[7:8], v[5:6], v[9:10], v[3:4]
	ds_read2_b64 v[3:6], v2 offset0:192 offset1:224
	s_waitcnt lgkmcnt(0)
	v_fma_f64 v[3:4], v[3:4], v[11:12], v[7:8]
	v_fma_f64 v[15:16], v[5:6], v[13:14], v[3:4]
	ds_read2_b64 v[3:6], v17 offset1:32
	ds_read_b128 v[7:10], v0 offset:8256
	ds_read_b128 v[11:14], v0 offset:8272
	s_waitcnt lgkmcnt(1)
	v_fma_f64 v[3:4], v[3:4], v[7:8], v[15:16]
	v_fma_f64 v[7:8], v[5:6], v[9:10], v[3:4]
	ds_read2_b64 v[3:6], v17 offset0:64 offset1:96
	s_waitcnt lgkmcnt(0)
	v_fma_f64 v[3:4], v[3:4], v[11:12], v[7:8]
	v_fma_f64 v[15:16], v[5:6], v[13:14], v[3:4]
	ds_read2_b64 v[3:6], v17 offset0:128 offset1:160
	ds_read_b128 v[7:10], v0 offset:8288
	ds_read_b128 v[11:14], v0 offset:8304
	s_waitcnt lgkmcnt(1)
	v_fma_f64 v[3:4], v[3:4], v[7:8], v[15:16]
	v_fma_f64 v[7:8], v[5:6], v[9:10], v[3:4]
	ds_read2_b64 v[3:6], v17 offset0:192 offset1:224
	v_add_nc_u32_e32 v17, 0x1000, v2
	s_waitcnt lgkmcnt(0)
	v_fma_f64 v[3:4], v[3:4], v[11:12], v[7:8]
	v_fma_f64 v[15:16], v[5:6], v[13:14], v[3:4]
	ds_read2_b64 v[3:6], v17 offset1:32
	ds_read_b128 v[7:10], v0 offset:8320
	ds_read_b128 v[11:14], v0 offset:8336
	s_waitcnt lgkmcnt(1)
	v_fma_f64 v[3:4], v[3:4], v[7:8], v[15:16]
	v_fma_f64 v[7:8], v[5:6], v[9:10], v[3:4]
	ds_read2_b64 v[3:6], v17 offset0:64 offset1:96
	s_waitcnt lgkmcnt(0)
	v_fma_f64 v[3:4], v[3:4], v[11:12], v[7:8]
	v_fma_f64 v[15:16], v[5:6], v[13:14], v[3:4]
	ds_read2_b64 v[3:6], v17 offset0:128 offset1:160
	ds_read_b128 v[7:10], v0 offset:8352
	ds_read_b128 v[11:14], v0 offset:8368
	s_waitcnt lgkmcnt(1)
	v_fma_f64 v[3:4], v[3:4], v[7:8], v[15:16]
	v_fma_f64 v[7:8], v[5:6], v[9:10], v[3:4]
	ds_read2_b64 v[3:6], v17 offset0:192 offset1:224
	v_add_nc_u32_e32 v17, 0x1800, v2
	s_waitcnt lgkmcnt(0)
	v_fma_f64 v[3:4], v[3:4], v[11:12], v[7:8]
	v_fma_f64 v[15:16], v[5:6], v[13:14], v[3:4]
	ds_read2_b64 v[3:6], v17 offset1:32
	ds_read_b128 v[7:10], v0 offset:8384
	ds_read_b128 v[11:14], v0 offset:8400
	s_waitcnt lgkmcnt(1)
	v_fma_f64 v[3:4], v[3:4], v[7:8], v[15:16]
	v_fma_f64 v[7:8], v[5:6], v[9:10], v[3:4]
	ds_read2_b64 v[3:6], v17 offset0:64 offset1:96
	s_waitcnt lgkmcnt(0)
	v_fma_f64 v[3:4], v[3:4], v[11:12], v[7:8]
	v_fma_f64 v[15:16], v[5:6], v[13:14], v[3:4]
	ds_read2_b64 v[3:6], v17 offset0:128 offset1:160
	ds_read_b128 v[7:10], v0 offset:8416
	ds_read_b128 v[11:14], v0 offset:8432
	s_waitcnt lgkmcnt(1)
	v_fma_f64 v[3:4], v[3:4], v[7:8], v[15:16]
	v_fma_f64 v[7:8], v[5:6], v[9:10], v[3:4]
	ds_read2_b64 v[3:6], v17 offset0:192 offset1:224
	s_clause 0x1
	s_load_dwordx4 s[8:11], s[4:5], 0x50
	s_load_dwordx2 s[4:5], s[4:5], 0x60
	s_waitcnt lgkmcnt(0)
	s_mul_i32 s0, s5, s7
	v_fma_f64 v[3:4], v[3:4], v[11:12], v[7:8]
	s_mul_hi_u32 s5, s4, s7
	s_mul_i32 s4, s4, s7
	s_add_i32 s5, s5, s0
	s_mul_i32 s0, s10, s6
	s_lshl_b64 s[4:5], s[4:5], 3
	s_mul_hi_u32 s6, s10, s1
	s_add_u32 s4, s8, s4
	s_addc_u32 s5, s9, s5
	s_add_i32 s0, s6, s0
	s_mul_i32 s6, s11, s1
	v_fma_f64 v[3:4], v[5:6], v[13:14], v[3:4]
	v_mad_u64_u32 v[5:6], null, s10, v1, 0
	v_mov_b32_e32 v0, v6
	v_mad_u64_u32 v[0:1], null, s11, v1, v[0:1]
	v_mov_b32_e32 v6, v0
	v_mul_f64 v[0:1], s[2:3], v[3:4]
	s_add_i32 s3, s0, s6
	s_mul_i32 s2, s10, s1
	v_lshlrev_b64 v[3:4], 3, v[5:6]
	s_lshl_b64 s[0:1], s[2:3], 3
	s_add_u32 s0, s4, s0
	s_addc_u32 s1, s5, s1
	v_add_co_u32 v3, vcc_lo, s0, v3
	v_add_co_ci_u32_e64 v4, null, s1, v4, vcc_lo
	v_add_co_u32 v2, vcc_lo, v3, v2
	v_add_co_ci_u32_e64 v3, null, 0, v4, vcc_lo
	global_store_dwordx2 v[2:3], v[0:1], off
.LBB64_15:
	s_endpgm
	.section	.rodata,"a",@progbits
	.p2align	6, 0x0
	.amdhsa_kernel _ZL23rocblas_trmm_lTx_kernelILi32ELb1EdPKdS0_dEv13rocblas_fill_17rocblas_diagonal_iiT2_lPT3_llS6_llPT4_lli
		.amdhsa_group_segment_fixed_size 16384
		.amdhsa_private_segment_fixed_size 0
		.amdhsa_kernarg_size 108
		.amdhsa_user_sgpr_count 6
		.amdhsa_user_sgpr_private_segment_buffer 1
		.amdhsa_user_sgpr_dispatch_ptr 0
		.amdhsa_user_sgpr_queue_ptr 0
		.amdhsa_user_sgpr_kernarg_segment_ptr 1
		.amdhsa_user_sgpr_dispatch_id 0
		.amdhsa_user_sgpr_flat_scratch_init 0
		.amdhsa_user_sgpr_private_segment_size 0
		.amdhsa_wavefront_size32 1
		.amdhsa_uses_dynamic_stack 0
		.amdhsa_system_sgpr_private_segment_wavefront_offset 0
		.amdhsa_system_sgpr_workgroup_id_x 1
		.amdhsa_system_sgpr_workgroup_id_y 0
		.amdhsa_system_sgpr_workgroup_id_z 1
		.amdhsa_system_sgpr_workgroup_info 0
		.amdhsa_system_vgpr_workitem_id 1
		.amdhsa_next_free_vgpr 18
		.amdhsa_next_free_sgpr 24
		.amdhsa_reserve_vcc 1
		.amdhsa_reserve_flat_scratch 0
		.amdhsa_float_round_mode_32 0
		.amdhsa_float_round_mode_16_64 0
		.amdhsa_float_denorm_mode_32 3
		.amdhsa_float_denorm_mode_16_64 3
		.amdhsa_dx10_clamp 1
		.amdhsa_ieee_mode 1
		.amdhsa_fp16_overflow 0
		.amdhsa_workgroup_processor_mode 1
		.amdhsa_memory_ordered 1
		.amdhsa_forward_progress 1
		.amdhsa_shared_vgpr_count 0
		.amdhsa_exception_fp_ieee_invalid_op 0
		.amdhsa_exception_fp_denorm_src 0
		.amdhsa_exception_fp_ieee_div_zero 0
		.amdhsa_exception_fp_ieee_overflow 0
		.amdhsa_exception_fp_ieee_underflow 0
		.amdhsa_exception_fp_ieee_inexact 0
		.amdhsa_exception_int_div_zero 0
	.end_amdhsa_kernel
	.section	.text._ZL23rocblas_trmm_lTx_kernelILi32ELb1EdPKdS0_dEv13rocblas_fill_17rocblas_diagonal_iiT2_lPT3_llS6_llPT4_lli,"axG",@progbits,_ZL23rocblas_trmm_lTx_kernelILi32ELb1EdPKdS0_dEv13rocblas_fill_17rocblas_diagonal_iiT2_lPT3_llS6_llPT4_lli,comdat
.Lfunc_end64:
	.size	_ZL23rocblas_trmm_lTx_kernelILi32ELb1EdPKdS0_dEv13rocblas_fill_17rocblas_diagonal_iiT2_lPT3_llS6_llPT4_lli, .Lfunc_end64-_ZL23rocblas_trmm_lTx_kernelILi32ELb1EdPKdS0_dEv13rocblas_fill_17rocblas_diagonal_iiT2_lPT3_llS6_llPT4_lli
                                        ; -- End function
	.set _ZL23rocblas_trmm_lTx_kernelILi32ELb1EdPKdS0_dEv13rocblas_fill_17rocblas_diagonal_iiT2_lPT3_llS6_llPT4_lli.num_vgpr, 18
	.set _ZL23rocblas_trmm_lTx_kernelILi32ELb1EdPKdS0_dEv13rocblas_fill_17rocblas_diagonal_iiT2_lPT3_llS6_llPT4_lli.num_agpr, 0
	.set _ZL23rocblas_trmm_lTx_kernelILi32ELb1EdPKdS0_dEv13rocblas_fill_17rocblas_diagonal_iiT2_lPT3_llS6_llPT4_lli.numbered_sgpr, 24
	.set _ZL23rocblas_trmm_lTx_kernelILi32ELb1EdPKdS0_dEv13rocblas_fill_17rocblas_diagonal_iiT2_lPT3_llS6_llPT4_lli.num_named_barrier, 0
	.set _ZL23rocblas_trmm_lTx_kernelILi32ELb1EdPKdS0_dEv13rocblas_fill_17rocblas_diagonal_iiT2_lPT3_llS6_llPT4_lli.private_seg_size, 0
	.set _ZL23rocblas_trmm_lTx_kernelILi32ELb1EdPKdS0_dEv13rocblas_fill_17rocblas_diagonal_iiT2_lPT3_llS6_llPT4_lli.uses_vcc, 1
	.set _ZL23rocblas_trmm_lTx_kernelILi32ELb1EdPKdS0_dEv13rocblas_fill_17rocblas_diagonal_iiT2_lPT3_llS6_llPT4_lli.uses_flat_scratch, 0
	.set _ZL23rocblas_trmm_lTx_kernelILi32ELb1EdPKdS0_dEv13rocblas_fill_17rocblas_diagonal_iiT2_lPT3_llS6_llPT4_lli.has_dyn_sized_stack, 0
	.set _ZL23rocblas_trmm_lTx_kernelILi32ELb1EdPKdS0_dEv13rocblas_fill_17rocblas_diagonal_iiT2_lPT3_llS6_llPT4_lli.has_recursion, 0
	.set _ZL23rocblas_trmm_lTx_kernelILi32ELb1EdPKdS0_dEv13rocblas_fill_17rocblas_diagonal_iiT2_lPT3_llS6_llPT4_lli.has_indirect_call, 0
	.section	.AMDGPU.csdata,"",@progbits
; Kernel info:
; codeLenInByte = 1420
; TotalNumSgprs: 26
; NumVgprs: 18
; ScratchSize: 0
; MemoryBound: 0
; FloatMode: 240
; IeeeMode: 1
; LDSByteSize: 16384 bytes/workgroup (compile time only)
; SGPRBlocks: 0
; VGPRBlocks: 2
; NumSGPRsForWavesPerEU: 26
; NumVGPRsForWavesPerEU: 18
; Occupancy: 16
; WaveLimiterHint : 0
; COMPUTE_PGM_RSRC2:SCRATCH_EN: 0
; COMPUTE_PGM_RSRC2:USER_SGPR: 6
; COMPUTE_PGM_RSRC2:TRAP_HANDLER: 0
; COMPUTE_PGM_RSRC2:TGID_X_EN: 1
; COMPUTE_PGM_RSRC2:TGID_Y_EN: 0
; COMPUTE_PGM_RSRC2:TGID_Z_EN: 1
; COMPUTE_PGM_RSRC2:TIDIG_COMP_CNT: 1
	.section	.text._ZL23rocblas_trmm_lTx_kernelILi32ELb1EddKddEv13rocblas_fill_17rocblas_diagonal_iiT2_lPT3_llS5_llPT4_lli,"axG",@progbits,_ZL23rocblas_trmm_lTx_kernelILi32ELb1EddKddEv13rocblas_fill_17rocblas_diagonal_iiT2_lPT3_llS5_llPT4_lli,comdat
	.globl	_ZL23rocblas_trmm_lTx_kernelILi32ELb1EddKddEv13rocblas_fill_17rocblas_diagonal_iiT2_lPT3_llS5_llPT4_lli ; -- Begin function _ZL23rocblas_trmm_lTx_kernelILi32ELb1EddKddEv13rocblas_fill_17rocblas_diagonal_iiT2_lPT3_llS5_llPT4_lli
	.p2align	8
	.type	_ZL23rocblas_trmm_lTx_kernelILi32ELb1EddKddEv13rocblas_fill_17rocblas_diagonal_iiT2_lPT3_llS5_llPT4_lli,@function
_ZL23rocblas_trmm_lTx_kernelILi32ELb1EddKddEv13rocblas_fill_17rocblas_diagonal_iiT2_lPT3_llS5_llPT4_lli: ; @_ZL23rocblas_trmm_lTx_kernelILi32ELb1EddKddEv13rocblas_fill_17rocblas_diagonal_iiT2_lPT3_llS5_llPT4_lli
; %bb.0:
	s_load_dwordx2 s[2:3], s[4:5], 0x10
	s_waitcnt lgkmcnt(0)
	v_cmp_eq_f64_e64 s0, s[2:3], 0
	s_and_b32 vcc_lo, exec_lo, s0
	s_cbranch_vccnz .LBB65_15
; %bb.1:
	s_clause 0x1
	s_load_dwordx4 s[24:27], s[4:5], 0x0
	s_load_dwordx16 s[8:23], s[4:5], 0x20
	s_mov_b32 s0, 0
	v_lshlrev_b32_e32 v3, 5, v1
	s_mov_b32 s1, s0
	v_lshlrev_b32_e32 v2, 3, v0
	v_mov_b32_e32 v6, s1
	v_mov_b32_e32 v5, s0
	v_add_lshl_u32 v4, v3, v0, 3
	ds_write2st64_b64 v4, v[5:6], v[5:6] offset1:16
	s_waitcnt lgkmcnt(0)
	s_barrier
	buffer_gl0_inv
	v_cmp_gt_i32_e64 s0, s26, v1
	v_cmp_gt_i32_e32 vcc_lo, s26, v0
	s_and_b32 s0, s0, vcc_lo
	s_and_saveexec_b32 s1, s0
	s_cbranch_execz .LBB65_3
; %bb.2:
	v_mad_u64_u32 v[5:6], null, s10, v1, 0
	s_mul_i32 s0, s13, s7
	s_mul_i32 s10, s12, s7
	v_mad_u64_u32 v[6:7], null, s11, v1, v[6:7]
	s_mul_hi_u32 s11, s12, s7
	v_lshlrev_b32_e32 v7, 3, v1
	s_add_i32 s11, s11, s0
	s_lshl_b64 s[10:11], s[10:11], 3
	s_add_u32 s0, s8, s10
	v_lshlrev_b64 v[5:6], 3, v[5:6]
	s_addc_u32 s8, s9, s11
	v_lshl_add_u32 v7, v0, 8, v7
	v_add_co_u32 v5, s0, s0, v5
	v_add_co_ci_u32_e64 v6, null, s8, v6, s0
	v_add_co_u32 v5, s0, v5, v2
	v_add_co_ci_u32_e64 v6, null, 0, v6, s0
	global_load_dwordx2 v[5:6], v[5:6], off
	s_waitcnt vmcnt(0)
	ds_write_b64 v7, v[5:6]
.LBB65_3:
	s_or_b32 exec_lo, exec_lo, s1
	s_add_i32 s0, s27, -1
	s_ashr_i32 s1, s0, 31
	s_lshr_b32 s1, s1, 27
	s_add_i32 s0, s0, s1
	s_and_b32 s1, s0, 0xffffffe0
	s_ashr_i32 s0, s0, 5
	s_sub_i32 s1, s27, s1
	s_cmp_ge_i32 s6, s0
	s_cselect_b32 s0, s1, 32
	s_lshl_b32 s1, s6, 5
	v_cmp_gt_i32_e64 s0, s0, v1
	s_ashr_i32 s6, s1, 31
	s_and_b32 s0, vcc_lo, s0
	s_and_saveexec_b32 s8, s0
	s_cbranch_execz .LBB65_5
; %bb.4:
	v_mad_u64_u32 v[5:6], null, s16, v1, 0
	s_mul_i32 s9, s19, s7
	s_mul_hi_u32 s11, s18, s7
	s_mul_i32 s10, s18, s7
	s_add_i32 s11, s11, s9
	s_mul_i32 s12, s16, s6
	s_lshl_b64 s[10:11], s[10:11], 3
	v_mad_u64_u32 v[6:7], null, s17, v1, v[6:7]
	s_mul_hi_u32 s9, s16, s1
	s_add_u32 s14, s14, s10
	s_mul_i32 s13, s17, s1
	s_addc_u32 s15, s15, s11
	s_add_i32 s9, s9, s12
	s_mul_i32 s10, s16, s1
	s_add_i32 s11, s9, s13
	v_lshlrev_b64 v[5:6], 3, v[5:6]
	s_lshl_b64 s[10:11], s[10:11], 3
	v_add_nc_u32_e32 v7, 0x2000, v4
	s_add_u32 s9, s14, s10
	s_addc_u32 s10, s15, s11
	v_add_co_u32 v5, vcc_lo, s9, v5
	v_add_co_ci_u32_e64 v6, null, s10, v6, vcc_lo
	v_add_co_u32 v5, vcc_lo, v5, v2
	v_add_co_ci_u32_e64 v6, null, 0, v6, vcc_lo
	global_load_dwordx2 v[5:6], v[5:6], off
	s_waitcnt vmcnt(0)
	ds_write_b64 v7, v[5:6]
.LBB65_5:
	s_or_b32 exec_lo, exec_lo, s8
	v_cmp_eq_u32_e32 vcc_lo, v1, v0
	s_cmpk_eq_i32 s25, 0x84
	s_cselect_b32 s8, -1, 0
	s_and_b32 s9, vcc_lo, s8
	s_and_saveexec_b32 s8, s9
; %bb.6:
	v_mov_b32_e32 v5, 0
	v_mov_b32_e32 v6, 0x3ff00000
	ds_write_b64 v4, v[5:6]
; %bb.7:
	s_or_b32 exec_lo, exec_lo, s8
	s_cmpk_lg_i32 s24, 0x7a
	s_waitcnt lgkmcnt(0)
	s_barrier
	buffer_gl0_inv
	s_cbranch_scc0 .LBB65_9
; %bb.8:
	v_cmp_lt_u32_e32 vcc_lo, v0, v1
	s_and_b32 s8, vcc_lo, exec_lo
	s_cbranch_execz .LBB65_10
	s_branch .LBB65_11
.LBB65_9:
	s_mov_b32 s8, 0
.LBB65_10:
	v_cmp_gt_u32_e32 vcc_lo, v0, v1
	s_andn2_b32 s8, s8, exec_lo
	s_and_b32 s9, vcc_lo, exec_lo
	s_or_b32 s8, s8, s9
.LBB65_11:
	s_and_saveexec_b32 s9, s8
; %bb.12:
	v_mov_b32_e32 v5, 0
	v_mov_b32_e32 v6, v5
	ds_write_b64 v4, v[5:6]
; %bb.13:
	s_or_b32 exec_lo, exec_lo, s9
	s_waitcnt lgkmcnt(0)
	s_barrier
	buffer_gl0_inv
	s_and_saveexec_b32 s8, s0
	s_cbranch_execz .LBB65_15
; %bb.14:
	v_lshlrev_b32_e32 v0, 3, v3
	v_add_nc_u32_e32 v17, 0x800, v2
	s_load_dwordx2 s[4:5], s[4:5], 0x60
	ds_read2_b64 v[3:6], v2 offset1:32
	ds_read_b128 v[7:10], v0 offset:8192
	ds_read_b128 v[11:14], v0 offset:8208
	s_waitcnt lgkmcnt(0)
	s_mul_i32 s0, s5, s7
	v_fma_f64 v[3:4], v[3:4], v[7:8], 0
	s_mul_hi_u32 s5, s4, s7
	s_mul_i32 s4, s4, s7
	s_add_i32 s5, s5, s0
	s_mul_i32 s0, s22, s6
	s_lshl_b64 s[4:5], s[4:5], 3
	s_mul_hi_u32 s6, s22, s1
	s_add_u32 s4, s20, s4
	s_addc_u32 s5, s21, s5
	s_add_i32 s0, s6, s0
	s_mul_i32 s6, s23, s1
	v_fma_f64 v[7:8], v[5:6], v[9:10], v[3:4]
	ds_read2_b64 v[3:6], v2 offset0:64 offset1:96
	s_waitcnt lgkmcnt(0)
	v_fma_f64 v[3:4], v[3:4], v[11:12], v[7:8]
	v_fma_f64 v[15:16], v[5:6], v[13:14], v[3:4]
	ds_read2_b64 v[3:6], v2 offset0:128 offset1:160
	ds_read_b128 v[7:10], v0 offset:8224
	ds_read_b128 v[11:14], v0 offset:8240
	s_waitcnt lgkmcnt(1)
	v_fma_f64 v[3:4], v[3:4], v[7:8], v[15:16]
	v_fma_f64 v[7:8], v[5:6], v[9:10], v[3:4]
	ds_read2_b64 v[3:6], v2 offset0:192 offset1:224
	s_waitcnt lgkmcnt(0)
	v_fma_f64 v[3:4], v[3:4], v[11:12], v[7:8]
	v_fma_f64 v[15:16], v[5:6], v[13:14], v[3:4]
	ds_read2_b64 v[3:6], v17 offset1:32
	ds_read_b128 v[7:10], v0 offset:8256
	ds_read_b128 v[11:14], v0 offset:8272
	s_waitcnt lgkmcnt(1)
	v_fma_f64 v[3:4], v[3:4], v[7:8], v[15:16]
	v_fma_f64 v[7:8], v[5:6], v[9:10], v[3:4]
	ds_read2_b64 v[3:6], v17 offset0:64 offset1:96
	s_waitcnt lgkmcnt(0)
	v_fma_f64 v[3:4], v[3:4], v[11:12], v[7:8]
	v_fma_f64 v[15:16], v[5:6], v[13:14], v[3:4]
	ds_read2_b64 v[3:6], v17 offset0:128 offset1:160
	ds_read_b128 v[7:10], v0 offset:8288
	ds_read_b128 v[11:14], v0 offset:8304
	s_waitcnt lgkmcnt(1)
	v_fma_f64 v[3:4], v[3:4], v[7:8], v[15:16]
	v_fma_f64 v[7:8], v[5:6], v[9:10], v[3:4]
	ds_read2_b64 v[3:6], v17 offset0:192 offset1:224
	v_add_nc_u32_e32 v17, 0x1000, v2
	s_waitcnt lgkmcnt(0)
	v_fma_f64 v[3:4], v[3:4], v[11:12], v[7:8]
	v_fma_f64 v[15:16], v[5:6], v[13:14], v[3:4]
	ds_read2_b64 v[3:6], v17 offset1:32
	ds_read_b128 v[7:10], v0 offset:8320
	ds_read_b128 v[11:14], v0 offset:8336
	s_waitcnt lgkmcnt(1)
	v_fma_f64 v[3:4], v[3:4], v[7:8], v[15:16]
	v_fma_f64 v[7:8], v[5:6], v[9:10], v[3:4]
	ds_read2_b64 v[3:6], v17 offset0:64 offset1:96
	s_waitcnt lgkmcnt(0)
	v_fma_f64 v[3:4], v[3:4], v[11:12], v[7:8]
	v_fma_f64 v[15:16], v[5:6], v[13:14], v[3:4]
	ds_read2_b64 v[3:6], v17 offset0:128 offset1:160
	ds_read_b128 v[7:10], v0 offset:8352
	ds_read_b128 v[11:14], v0 offset:8368
	s_waitcnt lgkmcnt(1)
	v_fma_f64 v[3:4], v[3:4], v[7:8], v[15:16]
	v_fma_f64 v[7:8], v[5:6], v[9:10], v[3:4]
	ds_read2_b64 v[3:6], v17 offset0:192 offset1:224
	v_add_nc_u32_e32 v17, 0x1800, v2
	s_waitcnt lgkmcnt(0)
	v_fma_f64 v[3:4], v[3:4], v[11:12], v[7:8]
	v_fma_f64 v[15:16], v[5:6], v[13:14], v[3:4]
	ds_read2_b64 v[3:6], v17 offset1:32
	ds_read_b128 v[7:10], v0 offset:8384
	ds_read_b128 v[11:14], v0 offset:8400
	s_waitcnt lgkmcnt(1)
	v_fma_f64 v[3:4], v[3:4], v[7:8], v[15:16]
	v_fma_f64 v[7:8], v[5:6], v[9:10], v[3:4]
	ds_read2_b64 v[3:6], v17 offset0:64 offset1:96
	s_waitcnt lgkmcnt(0)
	v_fma_f64 v[3:4], v[3:4], v[11:12], v[7:8]
	v_fma_f64 v[15:16], v[5:6], v[13:14], v[3:4]
	ds_read2_b64 v[3:6], v17 offset0:128 offset1:160
	ds_read_b128 v[7:10], v0 offset:8416
	ds_read_b128 v[11:14], v0 offset:8432
	s_waitcnt lgkmcnt(1)
	v_fma_f64 v[3:4], v[3:4], v[7:8], v[15:16]
	v_fma_f64 v[7:8], v[5:6], v[9:10], v[3:4]
	ds_read2_b64 v[3:6], v17 offset0:192 offset1:224
	s_waitcnt lgkmcnt(0)
	v_fma_f64 v[3:4], v[3:4], v[11:12], v[7:8]
	v_fma_f64 v[3:4], v[5:6], v[13:14], v[3:4]
	v_mad_u64_u32 v[5:6], null, s22, v1, 0
	v_mov_b32_e32 v0, v6
	v_mad_u64_u32 v[0:1], null, s23, v1, v[0:1]
	v_mov_b32_e32 v6, v0
	v_mul_f64 v[0:1], s[2:3], v[3:4]
	s_add_i32 s3, s0, s6
	s_mul_i32 s2, s22, s1
	v_lshlrev_b64 v[3:4], 3, v[5:6]
	s_lshl_b64 s[0:1], s[2:3], 3
	s_add_u32 s0, s4, s0
	s_addc_u32 s1, s5, s1
	v_add_co_u32 v3, vcc_lo, s0, v3
	v_add_co_ci_u32_e64 v4, null, s1, v4, vcc_lo
	v_add_co_u32 v2, vcc_lo, v3, v2
	v_add_co_ci_u32_e64 v3, null, 0, v4, vcc_lo
	global_store_dwordx2 v[2:3], v[0:1], off
.LBB65_15:
	s_endpgm
	.section	.rodata,"a",@progbits
	.p2align	6, 0x0
	.amdhsa_kernel _ZL23rocblas_trmm_lTx_kernelILi32ELb1EddKddEv13rocblas_fill_17rocblas_diagonal_iiT2_lPT3_llS5_llPT4_lli
		.amdhsa_group_segment_fixed_size 16384
		.amdhsa_private_segment_fixed_size 0
		.amdhsa_kernarg_size 108
		.amdhsa_user_sgpr_count 6
		.amdhsa_user_sgpr_private_segment_buffer 1
		.amdhsa_user_sgpr_dispatch_ptr 0
		.amdhsa_user_sgpr_queue_ptr 0
		.amdhsa_user_sgpr_kernarg_segment_ptr 1
		.amdhsa_user_sgpr_dispatch_id 0
		.amdhsa_user_sgpr_flat_scratch_init 0
		.amdhsa_user_sgpr_private_segment_size 0
		.amdhsa_wavefront_size32 1
		.amdhsa_uses_dynamic_stack 0
		.amdhsa_system_sgpr_private_segment_wavefront_offset 0
		.amdhsa_system_sgpr_workgroup_id_x 1
		.amdhsa_system_sgpr_workgroup_id_y 0
		.amdhsa_system_sgpr_workgroup_id_z 1
		.amdhsa_system_sgpr_workgroup_info 0
		.amdhsa_system_vgpr_workitem_id 1
		.amdhsa_next_free_vgpr 18
		.amdhsa_next_free_sgpr 28
		.amdhsa_reserve_vcc 1
		.amdhsa_reserve_flat_scratch 0
		.amdhsa_float_round_mode_32 0
		.amdhsa_float_round_mode_16_64 0
		.amdhsa_float_denorm_mode_32 3
		.amdhsa_float_denorm_mode_16_64 3
		.amdhsa_dx10_clamp 1
		.amdhsa_ieee_mode 1
		.amdhsa_fp16_overflow 0
		.amdhsa_workgroup_processor_mode 1
		.amdhsa_memory_ordered 1
		.amdhsa_forward_progress 1
		.amdhsa_shared_vgpr_count 0
		.amdhsa_exception_fp_ieee_invalid_op 0
		.amdhsa_exception_fp_denorm_src 0
		.amdhsa_exception_fp_ieee_div_zero 0
		.amdhsa_exception_fp_ieee_overflow 0
		.amdhsa_exception_fp_ieee_underflow 0
		.amdhsa_exception_fp_ieee_inexact 0
		.amdhsa_exception_int_div_zero 0
	.end_amdhsa_kernel
	.section	.text._ZL23rocblas_trmm_lTx_kernelILi32ELb1EddKddEv13rocblas_fill_17rocblas_diagonal_iiT2_lPT3_llS5_llPT4_lli,"axG",@progbits,_ZL23rocblas_trmm_lTx_kernelILi32ELb1EddKddEv13rocblas_fill_17rocblas_diagonal_iiT2_lPT3_llS5_llPT4_lli,comdat
.Lfunc_end65:
	.size	_ZL23rocblas_trmm_lTx_kernelILi32ELb1EddKddEv13rocblas_fill_17rocblas_diagonal_iiT2_lPT3_llS5_llPT4_lli, .Lfunc_end65-_ZL23rocblas_trmm_lTx_kernelILi32ELb1EddKddEv13rocblas_fill_17rocblas_diagonal_iiT2_lPT3_llS5_llPT4_lli
                                        ; -- End function
	.set _ZL23rocblas_trmm_lTx_kernelILi32ELb1EddKddEv13rocblas_fill_17rocblas_diagonal_iiT2_lPT3_llS5_llPT4_lli.num_vgpr, 18
	.set _ZL23rocblas_trmm_lTx_kernelILi32ELb1EddKddEv13rocblas_fill_17rocblas_diagonal_iiT2_lPT3_llS5_llPT4_lli.num_agpr, 0
	.set _ZL23rocblas_trmm_lTx_kernelILi32ELb1EddKddEv13rocblas_fill_17rocblas_diagonal_iiT2_lPT3_llS5_llPT4_lli.numbered_sgpr, 28
	.set _ZL23rocblas_trmm_lTx_kernelILi32ELb1EddKddEv13rocblas_fill_17rocblas_diagonal_iiT2_lPT3_llS5_llPT4_lli.num_named_barrier, 0
	.set _ZL23rocblas_trmm_lTx_kernelILi32ELb1EddKddEv13rocblas_fill_17rocblas_diagonal_iiT2_lPT3_llS5_llPT4_lli.private_seg_size, 0
	.set _ZL23rocblas_trmm_lTx_kernelILi32ELb1EddKddEv13rocblas_fill_17rocblas_diagonal_iiT2_lPT3_llS5_llPT4_lli.uses_vcc, 1
	.set _ZL23rocblas_trmm_lTx_kernelILi32ELb1EddKddEv13rocblas_fill_17rocblas_diagonal_iiT2_lPT3_llS5_llPT4_lli.uses_flat_scratch, 0
	.set _ZL23rocblas_trmm_lTx_kernelILi32ELb1EddKddEv13rocblas_fill_17rocblas_diagonal_iiT2_lPT3_llS5_llPT4_lli.has_dyn_sized_stack, 0
	.set _ZL23rocblas_trmm_lTx_kernelILi32ELb1EddKddEv13rocblas_fill_17rocblas_diagonal_iiT2_lPT3_llS5_llPT4_lli.has_recursion, 0
	.set _ZL23rocblas_trmm_lTx_kernelILi32ELb1EddKddEv13rocblas_fill_17rocblas_diagonal_iiT2_lPT3_llS5_llPT4_lli.has_indirect_call, 0
	.section	.AMDGPU.csdata,"",@progbits
; Kernel info:
; codeLenInByte = 1380
; TotalNumSgprs: 30
; NumVgprs: 18
; ScratchSize: 0
; MemoryBound: 0
; FloatMode: 240
; IeeeMode: 1
; LDSByteSize: 16384 bytes/workgroup (compile time only)
; SGPRBlocks: 0
; VGPRBlocks: 2
; NumSGPRsForWavesPerEU: 30
; NumVGPRsForWavesPerEU: 18
; Occupancy: 16
; WaveLimiterHint : 0
; COMPUTE_PGM_RSRC2:SCRATCH_EN: 0
; COMPUTE_PGM_RSRC2:USER_SGPR: 6
; COMPUTE_PGM_RSRC2:TRAP_HANDLER: 0
; COMPUTE_PGM_RSRC2:TGID_X_EN: 1
; COMPUTE_PGM_RSRC2:TGID_Y_EN: 0
; COMPUTE_PGM_RSRC2:TGID_Z_EN: 1
; COMPUTE_PGM_RSRC2:TIDIG_COMP_CNT: 1
	.section	.text._ZL23rocblas_trmm_rNx_kernelILi32EdPKdS0_dEv13rocblas_fill_17rocblas_diagonal_iiT1_lPT2_llS6_llPT3_lli,"axG",@progbits,_ZL23rocblas_trmm_rNx_kernelILi32EdPKdS0_dEv13rocblas_fill_17rocblas_diagonal_iiT1_lPT2_llS6_llPT3_lli,comdat
	.globl	_ZL23rocblas_trmm_rNx_kernelILi32EdPKdS0_dEv13rocblas_fill_17rocblas_diagonal_iiT1_lPT2_llS6_llPT3_lli ; -- Begin function _ZL23rocblas_trmm_rNx_kernelILi32EdPKdS0_dEv13rocblas_fill_17rocblas_diagonal_iiT1_lPT2_llS6_llPT3_lli
	.p2align	8
	.type	_ZL23rocblas_trmm_rNx_kernelILi32EdPKdS0_dEv13rocblas_fill_17rocblas_diagonal_iiT1_lPT2_llS6_llPT3_lli,@function
_ZL23rocblas_trmm_rNx_kernelILi32EdPKdS0_dEv13rocblas_fill_17rocblas_diagonal_iiT1_lPT2_llS6_llPT3_lli: ; @_ZL23rocblas_trmm_rNx_kernelILi32EdPKdS0_dEv13rocblas_fill_17rocblas_diagonal_iiT1_lPT2_llS6_llPT3_lli
; %bb.0:
	s_load_dwordx16 s[8:23], s[4:5], 0x10
	s_waitcnt lgkmcnt(0)
	s_mul_i32 s0, s11, s7
	s_mul_hi_u32 s1, s10, s7
	s_add_i32 s1, s1, s0
	s_mul_i32 s0, s10, s7
	s_lshl_b64 s[0:1], s[0:1], 3
	s_add_u32 s0, s8, s0
	s_addc_u32 s1, s9, s1
	s_load_dwordx2 s[2:3], s[0:1], 0x0
	s_waitcnt lgkmcnt(0)
	v_cmp_eq_f64_e64 s0, s[2:3], 0
	s_and_b32 vcc_lo, exec_lo, s0
	s_cbranch_vccnz .LBB66_15
; %bb.1:
	s_load_dwordx4 s[8:11], s[4:5], 0x0
	v_lshlrev_b32_e32 v3, 5, v1
	s_mov_b32 s24, 0
	v_lshlrev_b32_e32 v2, 3, v0
	s_mov_b32 s25, s24
	v_mov_b32_e32 v5, s24
	v_add_lshl_u32 v4, v3, v0, 3
	v_mov_b32_e32 v6, s25
	ds_write2st64_b64 v4, v[5:6], v[5:6] offset1:16
	s_waitcnt lgkmcnt(0)
	v_cmp_gt_i32_e32 vcc_lo, s11, v1
	v_cmp_gt_i32_e64 s0, s11, v0
	s_and_b32 s0, vcc_lo, s0
	s_and_saveexec_b32 s1, s0
	s_cbranch_execz .LBB66_3
; %bb.2:
	v_mad_u64_u32 v[5:6], null, s14, v1, 0
	s_mul_i32 s0, s17, s7
	s_mul_hi_u32 s11, s16, s7
	s_mul_i32 s14, s16, s7
	v_mad_u64_u32 v[6:7], null, s15, v1, v[6:7]
	s_add_i32 s15, s11, s0
	s_lshl_b64 s[14:15], s[14:15], 3
	s_add_u32 s0, s12, s14
	s_addc_u32 s11, s13, s15
	v_lshlrev_b64 v[5:6], 3, v[5:6]
	v_add_co_u32 v5, s0, s0, v5
	v_add_co_ci_u32_e64 v6, null, s11, v6, s0
	v_add_co_u32 v5, s0, v5, v2
	v_add_co_ci_u32_e64 v6, null, 0, v6, s0
	global_load_dwordx2 v[5:6], v[5:6], off
	s_waitcnt vmcnt(0)
	ds_write_b64 v4, v[5:6]
.LBB66_3:
	s_or_b32 exec_lo, exec_lo, s1
	s_add_i32 s0, s10, -1
	s_ashr_i32 s1, s0, 31
	s_lshr_b32 s1, s1, 27
	s_add_i32 s0, s0, s1
	s_and_b32 s1, s0, 0xffffffe0
	s_ashr_i32 s0, s0, 5
	s_sub_i32 s1, s10, s1
	s_cmp_ge_i32 s6, s0
	s_cselect_b32 s0, s1, 32
	s_lshl_b32 s10, s6, 5
	v_cmp_gt_i32_e64 s0, s0, v0
	s_ashr_i32 s11, s10, 31
	s_and_b32 s0, vcc_lo, s0
	s_and_saveexec_b32 s1, s0
	s_cbranch_execz .LBB66_5
; %bb.4:
	v_mad_u64_u32 v[5:6], null, s20, v1, 0
	s_mul_i32 s6, s23, s7
	s_mul_hi_u32 s13, s22, s7
	s_mul_i32 s12, s22, s7
	s_add_i32 s13, s13, s6
	s_lshl_b64 s[12:13], s[12:13], 3
	v_mad_u64_u32 v[6:7], null, s21, v1, v[6:7]
	s_add_u32 s6, s18, s12
	s_addc_u32 s14, s19, s13
	s_lshl_b64 s[12:13], s[10:11], 3
	v_add_nc_u32_e32 v7, 0x2000, v4
	s_add_u32 s6, s6, s12
	s_addc_u32 s12, s14, s13
	v_lshlrev_b64 v[5:6], 3, v[5:6]
	v_add_co_u32 v5, vcc_lo, s6, v5
	v_add_co_ci_u32_e64 v6, null, s12, v6, vcc_lo
	v_add_co_u32 v5, vcc_lo, v5, v2
	v_add_co_ci_u32_e64 v6, null, 0, v6, vcc_lo
	global_load_dwordx2 v[5:6], v[5:6], off
	s_waitcnt vmcnt(0)
	ds_write_b64 v7, v[5:6]
.LBB66_5:
	s_or_b32 exec_lo, exec_lo, s1
	v_cmp_eq_u32_e32 vcc_lo, v1, v0
	s_cmpk_eq_i32 s9, 0x84
	s_cselect_b32 s1, -1, 0
	s_and_b32 s6, vcc_lo, s1
	s_and_saveexec_b32 s1, s6
; %bb.6:
	v_mov_b32_e32 v5, 0
	v_mov_b32_e32 v6, 0x3ff00000
	ds_write_b64 v4, v[5:6]
; %bb.7:
	s_or_b32 exec_lo, exec_lo, s1
	s_cmpk_lg_i32 s8, 0x79
	s_cbranch_scc0 .LBB66_9
; %bb.8:
	v_cmp_lt_u32_e32 vcc_lo, v0, v1
	s_and_b32 s1, vcc_lo, exec_lo
	s_cbranch_execz .LBB66_10
	s_branch .LBB66_11
.LBB66_9:
	s_mov_b32 s1, 0
.LBB66_10:
	v_cmp_gt_u32_e32 vcc_lo, v0, v1
	s_andn2_b32 s1, s1, exec_lo
	s_and_b32 s6, vcc_lo, exec_lo
	s_or_b32 s1, s1, s6
.LBB66_11:
	s_and_saveexec_b32 s6, s1
; %bb.12:
	v_mov_b32_e32 v5, 0
	v_mov_b32_e32 v6, v5
	ds_write_b64 v4, v[5:6]
; %bb.13:
	s_or_b32 exec_lo, exec_lo, s6
	s_waitcnt lgkmcnt(0)
	s_barrier
	buffer_gl0_inv
	s_and_saveexec_b32 s1, s0
	s_cbranch_execz .LBB66_15
; %bb.14:
	v_add_nc_u32_e32 v0, 0x2000, v2
	v_lshlrev_b32_e32 v17, 3, v3
	ds_read2_b64 v[3:6], v0 offset1:32
	ds_read_b128 v[7:10], v17
	ds_read_b128 v[11:14], v17 offset:16
	s_waitcnt lgkmcnt(1)
	v_fma_f64 v[3:4], v[3:4], v[7:8], 0
	v_fma_f64 v[7:8], v[5:6], v[9:10], v[3:4]
	ds_read2_b64 v[3:6], v0 offset0:64 offset1:96
	s_waitcnt lgkmcnt(0)
	v_fma_f64 v[3:4], v[3:4], v[11:12], v[7:8]
	v_fma_f64 v[15:16], v[5:6], v[13:14], v[3:4]
	ds_read2_b64 v[3:6], v0 offset0:128 offset1:160
	ds_read_b128 v[7:10], v17 offset:32
	ds_read_b128 v[11:14], v17 offset:48
	s_waitcnt lgkmcnt(1)
	v_fma_f64 v[3:4], v[3:4], v[7:8], v[15:16]
	v_fma_f64 v[7:8], v[5:6], v[9:10], v[3:4]
	ds_read2_b64 v[3:6], v0 offset0:192 offset1:224
	v_add_nc_u32_e32 v0, 0x2800, v2
	s_waitcnt lgkmcnt(0)
	v_fma_f64 v[3:4], v[3:4], v[11:12], v[7:8]
	v_fma_f64 v[15:16], v[5:6], v[13:14], v[3:4]
	ds_read2_b64 v[3:6], v0 offset1:32
	ds_read_b128 v[7:10], v17 offset:64
	ds_read_b128 v[11:14], v17 offset:80
	s_waitcnt lgkmcnt(1)
	v_fma_f64 v[3:4], v[3:4], v[7:8], v[15:16]
	v_fma_f64 v[7:8], v[5:6], v[9:10], v[3:4]
	ds_read2_b64 v[3:6], v0 offset0:64 offset1:96
	s_waitcnt lgkmcnt(0)
	v_fma_f64 v[3:4], v[3:4], v[11:12], v[7:8]
	v_fma_f64 v[15:16], v[5:6], v[13:14], v[3:4]
	ds_read2_b64 v[3:6], v0 offset0:128 offset1:160
	ds_read_b128 v[7:10], v17 offset:96
	ds_read_b128 v[11:14], v17 offset:112
	s_waitcnt lgkmcnt(1)
	v_fma_f64 v[3:4], v[3:4], v[7:8], v[15:16]
	v_fma_f64 v[7:8], v[5:6], v[9:10], v[3:4]
	ds_read2_b64 v[3:6], v0 offset0:192 offset1:224
	v_add_nc_u32_e32 v0, 0x3000, v2
	s_waitcnt lgkmcnt(0)
	v_fma_f64 v[3:4], v[3:4], v[11:12], v[7:8]
	v_fma_f64 v[15:16], v[5:6], v[13:14], v[3:4]
	ds_read2_b64 v[3:6], v0 offset1:32
	ds_read_b128 v[7:10], v17 offset:128
	;; [unrolled: 21-line block ×3, first 2 shown]
	ds_read_b128 v[11:14], v17 offset:208
	s_waitcnt lgkmcnt(1)
	v_fma_f64 v[3:4], v[3:4], v[7:8], v[15:16]
	v_fma_f64 v[7:8], v[5:6], v[9:10], v[3:4]
	ds_read2_b64 v[3:6], v0 offset0:64 offset1:96
	s_waitcnt lgkmcnt(0)
	v_fma_f64 v[3:4], v[3:4], v[11:12], v[7:8]
	v_fma_f64 v[15:16], v[5:6], v[13:14], v[3:4]
	ds_read2_b64 v[3:6], v0 offset0:128 offset1:160
	ds_read_b128 v[7:10], v17 offset:224
	ds_read_b128 v[11:14], v17 offset:240
	s_waitcnt lgkmcnt(1)
	v_fma_f64 v[3:4], v[3:4], v[7:8], v[15:16]
	v_fma_f64 v[7:8], v[5:6], v[9:10], v[3:4]
	ds_read2_b64 v[3:6], v0 offset0:192 offset1:224
	s_clause 0x1
	s_load_dwordx4 s[12:15], s[4:5], 0x50
	s_load_dwordx2 s[0:1], s[4:5], 0x60
	s_waitcnt lgkmcnt(0)
	s_mul_i32 s1, s1, s7
	v_fma_f64 v[3:4], v[3:4], v[11:12], v[7:8]
	s_mul_hi_u32 s4, s0, s7
	s_mul_i32 s0, s0, s7
	s_add_i32 s1, s4, s1
	s_lshl_b64 s[0:1], s[0:1], 3
	v_fma_f64 v[3:4], v[5:6], v[13:14], v[3:4]
	v_mad_u64_u32 v[5:6], null, s14, v1, 0
	v_mov_b32_e32 v0, v6
	v_mad_u64_u32 v[0:1], null, s15, v1, v[0:1]
	v_mov_b32_e32 v6, v0
	v_mul_f64 v[0:1], s[2:3], v[3:4]
	s_add_u32 s2, s12, s0
	s_addc_u32 s3, s13, s1
	s_lshl_b64 s[0:1], s[10:11], 3
	v_lshlrev_b64 v[3:4], 3, v[5:6]
	s_add_u32 s0, s2, s0
	s_addc_u32 s1, s3, s1
	v_add_co_u32 v3, vcc_lo, s0, v3
	v_add_co_ci_u32_e64 v4, null, s1, v4, vcc_lo
	v_add_co_u32 v2, vcc_lo, v3, v2
	v_add_co_ci_u32_e64 v3, null, 0, v4, vcc_lo
	global_store_dwordx2 v[2:3], v[0:1], off
.LBB66_15:
	s_endpgm
	.section	.rodata,"a",@progbits
	.p2align	6, 0x0
	.amdhsa_kernel _ZL23rocblas_trmm_rNx_kernelILi32EdPKdS0_dEv13rocblas_fill_17rocblas_diagonal_iiT1_lPT2_llS6_llPT3_lli
		.amdhsa_group_segment_fixed_size 16384
		.amdhsa_private_segment_fixed_size 0
		.amdhsa_kernarg_size 108
		.amdhsa_user_sgpr_count 6
		.amdhsa_user_sgpr_private_segment_buffer 1
		.amdhsa_user_sgpr_dispatch_ptr 0
		.amdhsa_user_sgpr_queue_ptr 0
		.amdhsa_user_sgpr_kernarg_segment_ptr 1
		.amdhsa_user_sgpr_dispatch_id 0
		.amdhsa_user_sgpr_flat_scratch_init 0
		.amdhsa_user_sgpr_private_segment_size 0
		.amdhsa_wavefront_size32 1
		.amdhsa_uses_dynamic_stack 0
		.amdhsa_system_sgpr_private_segment_wavefront_offset 0
		.amdhsa_system_sgpr_workgroup_id_x 1
		.amdhsa_system_sgpr_workgroup_id_y 0
		.amdhsa_system_sgpr_workgroup_id_z 1
		.amdhsa_system_sgpr_workgroup_info 0
		.amdhsa_system_vgpr_workitem_id 1
		.amdhsa_next_free_vgpr 18
		.amdhsa_next_free_sgpr 26
		.amdhsa_reserve_vcc 1
		.amdhsa_reserve_flat_scratch 0
		.amdhsa_float_round_mode_32 0
		.amdhsa_float_round_mode_16_64 0
		.amdhsa_float_denorm_mode_32 3
		.amdhsa_float_denorm_mode_16_64 3
		.amdhsa_dx10_clamp 1
		.amdhsa_ieee_mode 1
		.amdhsa_fp16_overflow 0
		.amdhsa_workgroup_processor_mode 1
		.amdhsa_memory_ordered 1
		.amdhsa_forward_progress 1
		.amdhsa_shared_vgpr_count 0
		.amdhsa_exception_fp_ieee_invalid_op 0
		.amdhsa_exception_fp_denorm_src 0
		.amdhsa_exception_fp_ieee_div_zero 0
		.amdhsa_exception_fp_ieee_overflow 0
		.amdhsa_exception_fp_ieee_underflow 0
		.amdhsa_exception_fp_ieee_inexact 0
		.amdhsa_exception_int_div_zero 0
	.end_amdhsa_kernel
	.section	.text._ZL23rocblas_trmm_rNx_kernelILi32EdPKdS0_dEv13rocblas_fill_17rocblas_diagonal_iiT1_lPT2_llS6_llPT3_lli,"axG",@progbits,_ZL23rocblas_trmm_rNx_kernelILi32EdPKdS0_dEv13rocblas_fill_17rocblas_diagonal_iiT1_lPT2_llS6_llPT3_lli,comdat
.Lfunc_end66:
	.size	_ZL23rocblas_trmm_rNx_kernelILi32EdPKdS0_dEv13rocblas_fill_17rocblas_diagonal_iiT1_lPT2_llS6_llPT3_lli, .Lfunc_end66-_ZL23rocblas_trmm_rNx_kernelILi32EdPKdS0_dEv13rocblas_fill_17rocblas_diagonal_iiT1_lPT2_llS6_llPT3_lli
                                        ; -- End function
	.set _ZL23rocblas_trmm_rNx_kernelILi32EdPKdS0_dEv13rocblas_fill_17rocblas_diagonal_iiT1_lPT2_llS6_llPT3_lli.num_vgpr, 18
	.set _ZL23rocblas_trmm_rNx_kernelILi32EdPKdS0_dEv13rocblas_fill_17rocblas_diagonal_iiT1_lPT2_llS6_llPT3_lli.num_agpr, 0
	.set _ZL23rocblas_trmm_rNx_kernelILi32EdPKdS0_dEv13rocblas_fill_17rocblas_diagonal_iiT1_lPT2_llS6_llPT3_lli.numbered_sgpr, 26
	.set _ZL23rocblas_trmm_rNx_kernelILi32EdPKdS0_dEv13rocblas_fill_17rocblas_diagonal_iiT1_lPT2_llS6_llPT3_lli.num_named_barrier, 0
	.set _ZL23rocblas_trmm_rNx_kernelILi32EdPKdS0_dEv13rocblas_fill_17rocblas_diagonal_iiT1_lPT2_llS6_llPT3_lli.private_seg_size, 0
	.set _ZL23rocblas_trmm_rNx_kernelILi32EdPKdS0_dEv13rocblas_fill_17rocblas_diagonal_iiT1_lPT2_llS6_llPT3_lli.uses_vcc, 1
	.set _ZL23rocblas_trmm_rNx_kernelILi32EdPKdS0_dEv13rocblas_fill_17rocblas_diagonal_iiT1_lPT2_llS6_llPT3_lli.uses_flat_scratch, 0
	.set _ZL23rocblas_trmm_rNx_kernelILi32EdPKdS0_dEv13rocblas_fill_17rocblas_diagonal_iiT1_lPT2_llS6_llPT3_lli.has_dyn_sized_stack, 0
	.set _ZL23rocblas_trmm_rNx_kernelILi32EdPKdS0_dEv13rocblas_fill_17rocblas_diagonal_iiT1_lPT2_llS6_llPT3_lli.has_recursion, 0
	.set _ZL23rocblas_trmm_rNx_kernelILi32EdPKdS0_dEv13rocblas_fill_17rocblas_diagonal_iiT1_lPT2_llS6_llPT3_lli.has_indirect_call, 0
	.section	.AMDGPU.csdata,"",@progbits
; Kernel info:
; codeLenInByte = 1340
; TotalNumSgprs: 28
; NumVgprs: 18
; ScratchSize: 0
; MemoryBound: 0
; FloatMode: 240
; IeeeMode: 1
; LDSByteSize: 16384 bytes/workgroup (compile time only)
; SGPRBlocks: 0
; VGPRBlocks: 2
; NumSGPRsForWavesPerEU: 28
; NumVGPRsForWavesPerEU: 18
; Occupancy: 16
; WaveLimiterHint : 0
; COMPUTE_PGM_RSRC2:SCRATCH_EN: 0
; COMPUTE_PGM_RSRC2:USER_SGPR: 6
; COMPUTE_PGM_RSRC2:TRAP_HANDLER: 0
; COMPUTE_PGM_RSRC2:TGID_X_EN: 1
; COMPUTE_PGM_RSRC2:TGID_Y_EN: 0
; COMPUTE_PGM_RSRC2:TGID_Z_EN: 1
; COMPUTE_PGM_RSRC2:TIDIG_COMP_CNT: 1
	.section	.text._ZL23rocblas_trmm_rNx_kernelILi32EddKddEv13rocblas_fill_17rocblas_diagonal_iiT1_lPT2_llS5_llPT3_lli,"axG",@progbits,_ZL23rocblas_trmm_rNx_kernelILi32EddKddEv13rocblas_fill_17rocblas_diagonal_iiT1_lPT2_llS5_llPT3_lli,comdat
	.globl	_ZL23rocblas_trmm_rNx_kernelILi32EddKddEv13rocblas_fill_17rocblas_diagonal_iiT1_lPT2_llS5_llPT3_lli ; -- Begin function _ZL23rocblas_trmm_rNx_kernelILi32EddKddEv13rocblas_fill_17rocblas_diagonal_iiT1_lPT2_llS5_llPT3_lli
	.p2align	8
	.type	_ZL23rocblas_trmm_rNx_kernelILi32EddKddEv13rocblas_fill_17rocblas_diagonal_iiT1_lPT2_llS5_llPT3_lli,@function
_ZL23rocblas_trmm_rNx_kernelILi32EddKddEv13rocblas_fill_17rocblas_diagonal_iiT1_lPT2_llS5_llPT3_lli: ; @_ZL23rocblas_trmm_rNx_kernelILi32EddKddEv13rocblas_fill_17rocblas_diagonal_iiT1_lPT2_llS5_llPT3_lli
; %bb.0:
	s_load_dwordx2 s[2:3], s[4:5], 0x10
	s_waitcnt lgkmcnt(0)
	v_cmp_eq_f64_e64 s0, s[2:3], 0
	s_and_b32 vcc_lo, exec_lo, s0
	s_cbranch_vccnz .LBB67_15
; %bb.1:
	s_clause 0x1
	s_load_dwordx4 s[24:27], s[4:5], 0x0
	s_load_dwordx16 s[8:23], s[4:5], 0x20
	v_lshlrev_b32_e32 v3, 5, v1
	s_mov_b32 s28, 0
	v_lshlrev_b32_e32 v2, 3, v0
	s_mov_b32 s29, s28
	v_mov_b32_e32 v5, s28
	v_add_lshl_u32 v4, v3, v0, 3
	v_mov_b32_e32 v6, s29
	ds_write2st64_b64 v4, v[5:6], v[5:6] offset1:16
	s_waitcnt lgkmcnt(0)
	v_cmp_gt_i32_e32 vcc_lo, s27, v1
	v_cmp_gt_i32_e64 s0, s27, v0
	s_and_b32 s0, vcc_lo, s0
	s_and_saveexec_b32 s1, s0
	s_cbranch_execz .LBB67_3
; %bb.2:
	v_mad_u64_u32 v[5:6], null, s10, v1, 0
	s_mul_i32 s0, s13, s7
	s_mul_i32 s10, s12, s7
	v_mad_u64_u32 v[6:7], null, s11, v1, v[6:7]
	s_mul_hi_u32 s11, s12, s7
	s_add_i32 s11, s11, s0
	s_lshl_b64 s[10:11], s[10:11], 3
	s_add_u32 s0, s8, s10
	v_lshlrev_b64 v[5:6], 3, v[5:6]
	s_addc_u32 s8, s9, s11
	v_add_co_u32 v5, s0, s0, v5
	v_add_co_ci_u32_e64 v6, null, s8, v6, s0
	v_add_co_u32 v5, s0, v5, v2
	v_add_co_ci_u32_e64 v6, null, 0, v6, s0
	global_load_dwordx2 v[5:6], v[5:6], off
	s_waitcnt vmcnt(0)
	ds_write_b64 v4, v[5:6]
.LBB67_3:
	s_or_b32 exec_lo, exec_lo, s1
	s_add_i32 s0, s26, -1
	s_ashr_i32 s1, s0, 31
	s_lshr_b32 s1, s1, 27
	s_add_i32 s0, s0, s1
	s_and_b32 s1, s0, 0xffffffe0
	s_ashr_i32 s0, s0, 5
	s_sub_i32 s1, s26, s1
	s_cmp_ge_i32 s6, s0
	s_cselect_b32 s0, s1, 32
	s_lshl_b32 s8, s6, 5
	v_cmp_gt_i32_e64 s0, s0, v0
	s_ashr_i32 s9, s8, 31
	s_and_b32 s0, vcc_lo, s0
	s_and_saveexec_b32 s1, s0
	s_cbranch_execz .LBB67_5
; %bb.4:
	v_mad_u64_u32 v[5:6], null, s16, v1, 0
	s_mul_i32 s6, s19, s7
	s_mul_hi_u32 s11, s18, s7
	s_mul_i32 s10, s18, s7
	s_add_i32 s11, s11, s6
	s_lshl_b64 s[10:11], s[10:11], 3
	v_mad_u64_u32 v[6:7], null, s17, v1, v[6:7]
	s_add_u32 s6, s14, s10
	s_addc_u32 s12, s15, s11
	s_lshl_b64 s[10:11], s[8:9], 3
	v_add_nc_u32_e32 v7, 0x2000, v4
	s_add_u32 s6, s6, s10
	s_addc_u32 s10, s12, s11
	v_lshlrev_b64 v[5:6], 3, v[5:6]
	v_add_co_u32 v5, vcc_lo, s6, v5
	v_add_co_ci_u32_e64 v6, null, s10, v6, vcc_lo
	v_add_co_u32 v5, vcc_lo, v5, v2
	v_add_co_ci_u32_e64 v6, null, 0, v6, vcc_lo
	global_load_dwordx2 v[5:6], v[5:6], off
	s_waitcnt vmcnt(0)
	ds_write_b64 v7, v[5:6]
.LBB67_5:
	s_or_b32 exec_lo, exec_lo, s1
	v_cmp_eq_u32_e32 vcc_lo, v1, v0
	s_cmpk_eq_i32 s25, 0x84
	s_cselect_b32 s1, -1, 0
	s_and_b32 s6, vcc_lo, s1
	s_and_saveexec_b32 s1, s6
; %bb.6:
	v_mov_b32_e32 v5, 0
	v_mov_b32_e32 v6, 0x3ff00000
	ds_write_b64 v4, v[5:6]
; %bb.7:
	s_or_b32 exec_lo, exec_lo, s1
	s_cmpk_lg_i32 s24, 0x79
	s_cbranch_scc0 .LBB67_9
; %bb.8:
	v_cmp_lt_u32_e32 vcc_lo, v0, v1
	s_and_b32 s1, vcc_lo, exec_lo
	s_cbranch_execz .LBB67_10
	s_branch .LBB67_11
.LBB67_9:
	s_mov_b32 s1, 0
.LBB67_10:
	v_cmp_gt_u32_e32 vcc_lo, v0, v1
	s_andn2_b32 s1, s1, exec_lo
	s_and_b32 s6, vcc_lo, exec_lo
	s_or_b32 s1, s1, s6
.LBB67_11:
	s_and_saveexec_b32 s6, s1
; %bb.12:
	v_mov_b32_e32 v5, 0
	v_mov_b32_e32 v6, v5
	ds_write_b64 v4, v[5:6]
; %bb.13:
	s_or_b32 exec_lo, exec_lo, s6
	s_waitcnt lgkmcnt(0)
	s_barrier
	buffer_gl0_inv
	s_and_saveexec_b32 s1, s0
	s_cbranch_execz .LBB67_15
; %bb.14:
	v_add_nc_u32_e32 v0, 0x2000, v2
	v_lshlrev_b32_e32 v17, 3, v3
	s_load_dwordx2 s[0:1], s[4:5], 0x60
	ds_read2_b64 v[3:6], v0 offset1:32
	ds_read_b128 v[7:10], v17
	ds_read_b128 v[11:14], v17 offset:16
	s_waitcnt lgkmcnt(0)
	s_mul_i32 s1, s1, s7
	s_mul_hi_u32 s4, s0, s7
	v_fma_f64 v[3:4], v[3:4], v[7:8], 0
	s_add_i32 s1, s4, s1
	s_mul_i32 s0, s0, s7
	s_lshl_b64 s[0:1], s[0:1], 3
	v_fma_f64 v[7:8], v[5:6], v[9:10], v[3:4]
	ds_read2_b64 v[3:6], v0 offset0:64 offset1:96
	s_waitcnt lgkmcnt(0)
	v_fma_f64 v[3:4], v[3:4], v[11:12], v[7:8]
	v_fma_f64 v[15:16], v[5:6], v[13:14], v[3:4]
	ds_read2_b64 v[3:6], v0 offset0:128 offset1:160
	ds_read_b128 v[7:10], v17 offset:32
	ds_read_b128 v[11:14], v17 offset:48
	s_waitcnt lgkmcnt(1)
	v_fma_f64 v[3:4], v[3:4], v[7:8], v[15:16]
	v_fma_f64 v[7:8], v[5:6], v[9:10], v[3:4]
	ds_read2_b64 v[3:6], v0 offset0:192 offset1:224
	v_add_nc_u32_e32 v0, 0x2800, v2
	s_waitcnt lgkmcnt(0)
	v_fma_f64 v[3:4], v[3:4], v[11:12], v[7:8]
	v_fma_f64 v[15:16], v[5:6], v[13:14], v[3:4]
	ds_read2_b64 v[3:6], v0 offset1:32
	ds_read_b128 v[7:10], v17 offset:64
	ds_read_b128 v[11:14], v17 offset:80
	s_waitcnt lgkmcnt(1)
	v_fma_f64 v[3:4], v[3:4], v[7:8], v[15:16]
	v_fma_f64 v[7:8], v[5:6], v[9:10], v[3:4]
	ds_read2_b64 v[3:6], v0 offset0:64 offset1:96
	s_waitcnt lgkmcnt(0)
	v_fma_f64 v[3:4], v[3:4], v[11:12], v[7:8]
	v_fma_f64 v[15:16], v[5:6], v[13:14], v[3:4]
	ds_read2_b64 v[3:6], v0 offset0:128 offset1:160
	ds_read_b128 v[7:10], v17 offset:96
	ds_read_b128 v[11:14], v17 offset:112
	s_waitcnt lgkmcnt(1)
	v_fma_f64 v[3:4], v[3:4], v[7:8], v[15:16]
	v_fma_f64 v[7:8], v[5:6], v[9:10], v[3:4]
	ds_read2_b64 v[3:6], v0 offset0:192 offset1:224
	v_add_nc_u32_e32 v0, 0x3000, v2
	s_waitcnt lgkmcnt(0)
	v_fma_f64 v[3:4], v[3:4], v[11:12], v[7:8]
	v_fma_f64 v[15:16], v[5:6], v[13:14], v[3:4]
	ds_read2_b64 v[3:6], v0 offset1:32
	ds_read_b128 v[7:10], v17 offset:128
	ds_read_b128 v[11:14], v17 offset:144
	s_waitcnt lgkmcnt(1)
	v_fma_f64 v[3:4], v[3:4], v[7:8], v[15:16]
	;; [unrolled: 21-line block ×3, first 2 shown]
	v_fma_f64 v[7:8], v[5:6], v[9:10], v[3:4]
	ds_read2_b64 v[3:6], v0 offset0:64 offset1:96
	s_waitcnt lgkmcnt(0)
	v_fma_f64 v[3:4], v[3:4], v[11:12], v[7:8]
	v_fma_f64 v[15:16], v[5:6], v[13:14], v[3:4]
	ds_read2_b64 v[3:6], v0 offset0:128 offset1:160
	ds_read_b128 v[7:10], v17 offset:224
	ds_read_b128 v[11:14], v17 offset:240
	s_waitcnt lgkmcnt(1)
	v_fma_f64 v[3:4], v[3:4], v[7:8], v[15:16]
	v_fma_f64 v[7:8], v[5:6], v[9:10], v[3:4]
	ds_read2_b64 v[3:6], v0 offset0:192 offset1:224
	s_waitcnt lgkmcnt(0)
	v_fma_f64 v[3:4], v[3:4], v[11:12], v[7:8]
	v_fma_f64 v[3:4], v[5:6], v[13:14], v[3:4]
	v_mad_u64_u32 v[5:6], null, s22, v1, 0
	v_mov_b32_e32 v0, v6
	v_mad_u64_u32 v[0:1], null, s23, v1, v[0:1]
	v_mov_b32_e32 v6, v0
	v_mul_f64 v[0:1], s[2:3], v[3:4]
	s_add_u32 s2, s20, s0
	s_addc_u32 s3, s21, s1
	s_lshl_b64 s[0:1], s[8:9], 3
	v_lshlrev_b64 v[3:4], 3, v[5:6]
	s_add_u32 s0, s2, s0
	s_addc_u32 s1, s3, s1
	v_add_co_u32 v3, vcc_lo, s0, v3
	v_add_co_ci_u32_e64 v4, null, s1, v4, vcc_lo
	v_add_co_u32 v2, vcc_lo, v3, v2
	v_add_co_ci_u32_e64 v3, null, 0, v4, vcc_lo
	global_store_dwordx2 v[2:3], v[0:1], off
.LBB67_15:
	s_endpgm
	.section	.rodata,"a",@progbits
	.p2align	6, 0x0
	.amdhsa_kernel _ZL23rocblas_trmm_rNx_kernelILi32EddKddEv13rocblas_fill_17rocblas_diagonal_iiT1_lPT2_llS5_llPT3_lli
		.amdhsa_group_segment_fixed_size 16384
		.amdhsa_private_segment_fixed_size 0
		.amdhsa_kernarg_size 108
		.amdhsa_user_sgpr_count 6
		.amdhsa_user_sgpr_private_segment_buffer 1
		.amdhsa_user_sgpr_dispatch_ptr 0
		.amdhsa_user_sgpr_queue_ptr 0
		.amdhsa_user_sgpr_kernarg_segment_ptr 1
		.amdhsa_user_sgpr_dispatch_id 0
		.amdhsa_user_sgpr_flat_scratch_init 0
		.amdhsa_user_sgpr_private_segment_size 0
		.amdhsa_wavefront_size32 1
		.amdhsa_uses_dynamic_stack 0
		.amdhsa_system_sgpr_private_segment_wavefront_offset 0
		.amdhsa_system_sgpr_workgroup_id_x 1
		.amdhsa_system_sgpr_workgroup_id_y 0
		.amdhsa_system_sgpr_workgroup_id_z 1
		.amdhsa_system_sgpr_workgroup_info 0
		.amdhsa_system_vgpr_workitem_id 1
		.amdhsa_next_free_vgpr 18
		.amdhsa_next_free_sgpr 30
		.amdhsa_reserve_vcc 1
		.amdhsa_reserve_flat_scratch 0
		.amdhsa_float_round_mode_32 0
		.amdhsa_float_round_mode_16_64 0
		.amdhsa_float_denorm_mode_32 3
		.amdhsa_float_denorm_mode_16_64 3
		.amdhsa_dx10_clamp 1
		.amdhsa_ieee_mode 1
		.amdhsa_fp16_overflow 0
		.amdhsa_workgroup_processor_mode 1
		.amdhsa_memory_ordered 1
		.amdhsa_forward_progress 1
		.amdhsa_shared_vgpr_count 0
		.amdhsa_exception_fp_ieee_invalid_op 0
		.amdhsa_exception_fp_denorm_src 0
		.amdhsa_exception_fp_ieee_div_zero 0
		.amdhsa_exception_fp_ieee_overflow 0
		.amdhsa_exception_fp_ieee_underflow 0
		.amdhsa_exception_fp_ieee_inexact 0
		.amdhsa_exception_int_div_zero 0
	.end_amdhsa_kernel
	.section	.text._ZL23rocblas_trmm_rNx_kernelILi32EddKddEv13rocblas_fill_17rocblas_diagonal_iiT1_lPT2_llS5_llPT3_lli,"axG",@progbits,_ZL23rocblas_trmm_rNx_kernelILi32EddKddEv13rocblas_fill_17rocblas_diagonal_iiT1_lPT2_llS5_llPT3_lli,comdat
.Lfunc_end67:
	.size	_ZL23rocblas_trmm_rNx_kernelILi32EddKddEv13rocblas_fill_17rocblas_diagonal_iiT1_lPT2_llS5_llPT3_lli, .Lfunc_end67-_ZL23rocblas_trmm_rNx_kernelILi32EddKddEv13rocblas_fill_17rocblas_diagonal_iiT1_lPT2_llS5_llPT3_lli
                                        ; -- End function
	.set _ZL23rocblas_trmm_rNx_kernelILi32EddKddEv13rocblas_fill_17rocblas_diagonal_iiT1_lPT2_llS5_llPT3_lli.num_vgpr, 18
	.set _ZL23rocblas_trmm_rNx_kernelILi32EddKddEv13rocblas_fill_17rocblas_diagonal_iiT1_lPT2_llS5_llPT3_lli.num_agpr, 0
	.set _ZL23rocblas_trmm_rNx_kernelILi32EddKddEv13rocblas_fill_17rocblas_diagonal_iiT1_lPT2_llS5_llPT3_lli.numbered_sgpr, 30
	.set _ZL23rocblas_trmm_rNx_kernelILi32EddKddEv13rocblas_fill_17rocblas_diagonal_iiT1_lPT2_llS5_llPT3_lli.num_named_barrier, 0
	.set _ZL23rocblas_trmm_rNx_kernelILi32EddKddEv13rocblas_fill_17rocblas_diagonal_iiT1_lPT2_llS5_llPT3_lli.private_seg_size, 0
	.set _ZL23rocblas_trmm_rNx_kernelILi32EddKddEv13rocblas_fill_17rocblas_diagonal_iiT1_lPT2_llS5_llPT3_lli.uses_vcc, 1
	.set _ZL23rocblas_trmm_rNx_kernelILi32EddKddEv13rocblas_fill_17rocblas_diagonal_iiT1_lPT2_llS5_llPT3_lli.uses_flat_scratch, 0
	.set _ZL23rocblas_trmm_rNx_kernelILi32EddKddEv13rocblas_fill_17rocblas_diagonal_iiT1_lPT2_llS5_llPT3_lli.has_dyn_sized_stack, 0
	.set _ZL23rocblas_trmm_rNx_kernelILi32EddKddEv13rocblas_fill_17rocblas_diagonal_iiT1_lPT2_llS5_llPT3_lli.has_recursion, 0
	.set _ZL23rocblas_trmm_rNx_kernelILi32EddKddEv13rocblas_fill_17rocblas_diagonal_iiT1_lPT2_llS5_llPT3_lli.has_indirect_call, 0
	.section	.AMDGPU.csdata,"",@progbits
; Kernel info:
; codeLenInByte = 1300
; TotalNumSgprs: 32
; NumVgprs: 18
; ScratchSize: 0
; MemoryBound: 0
; FloatMode: 240
; IeeeMode: 1
; LDSByteSize: 16384 bytes/workgroup (compile time only)
; SGPRBlocks: 0
; VGPRBlocks: 2
; NumSGPRsForWavesPerEU: 32
; NumVGPRsForWavesPerEU: 18
; Occupancy: 16
; WaveLimiterHint : 0
; COMPUTE_PGM_RSRC2:SCRATCH_EN: 0
; COMPUTE_PGM_RSRC2:USER_SGPR: 6
; COMPUTE_PGM_RSRC2:TRAP_HANDLER: 0
; COMPUTE_PGM_RSRC2:TGID_X_EN: 1
; COMPUTE_PGM_RSRC2:TGID_Y_EN: 0
; COMPUTE_PGM_RSRC2:TGID_Z_EN: 1
; COMPUTE_PGM_RSRC2:TIDIG_COMP_CNT: 1
	.section	.text._ZL23rocblas_trmm_rTx_kernelILi32ELb0EdPKdS0_dEv13rocblas_fill_17rocblas_diagonal_iiT2_lPT3_llS6_llPT4_lli,"axG",@progbits,_ZL23rocblas_trmm_rTx_kernelILi32ELb0EdPKdS0_dEv13rocblas_fill_17rocblas_diagonal_iiT2_lPT3_llS6_llPT4_lli,comdat
	.globl	_ZL23rocblas_trmm_rTx_kernelILi32ELb0EdPKdS0_dEv13rocblas_fill_17rocblas_diagonal_iiT2_lPT3_llS6_llPT4_lli ; -- Begin function _ZL23rocblas_trmm_rTx_kernelILi32ELb0EdPKdS0_dEv13rocblas_fill_17rocblas_diagonal_iiT2_lPT3_llS6_llPT4_lli
	.p2align	8
	.type	_ZL23rocblas_trmm_rTx_kernelILi32ELb0EdPKdS0_dEv13rocblas_fill_17rocblas_diagonal_iiT2_lPT3_llS6_llPT4_lli,@function
_ZL23rocblas_trmm_rTx_kernelILi32ELb0EdPKdS0_dEv13rocblas_fill_17rocblas_diagonal_iiT2_lPT3_llS6_llPT4_lli: ; @_ZL23rocblas_trmm_rTx_kernelILi32ELb0EdPKdS0_dEv13rocblas_fill_17rocblas_diagonal_iiT2_lPT3_llS6_llPT4_lli
; %bb.0:
	s_load_dwordx16 s[8:23], s[4:5], 0x10
	s_waitcnt lgkmcnt(0)
	s_mul_i32 s0, s11, s7
	s_mul_hi_u32 s1, s10, s7
	s_add_i32 s1, s1, s0
	s_mul_i32 s0, s10, s7
	s_lshl_b64 s[0:1], s[0:1], 3
	s_add_u32 s0, s8, s0
	s_addc_u32 s1, s9, s1
	s_load_dwordx2 s[2:3], s[0:1], 0x0
	s_waitcnt lgkmcnt(0)
	v_cmp_eq_f64_e64 s0, s[2:3], 0
	s_and_b32 vcc_lo, exec_lo, s0
	s_cbranch_vccnz .LBB68_15
; %bb.1:
	s_load_dwordx4 s[8:11], s[4:5], 0x0
	v_lshlrev_b32_e32 v2, 5, v1
	s_mov_b32 s24, 0
	s_mov_b32 s25, s24
	v_mov_b32_e32 v4, s24
	v_add_lshl_u32 v3, v2, v0, 3
	v_mov_b32_e32 v5, s25
	v_lshlrev_b32_e32 v2, 3, v0
	ds_write2st64_b64 v3, v[4:5], v[4:5] offset1:16
	s_waitcnt lgkmcnt(0)
	v_cmp_gt_i32_e32 vcc_lo, s11, v1
	v_cmp_gt_i32_e64 s0, s11, v0
	s_and_b32 s0, vcc_lo, s0
	s_and_saveexec_b32 s1, s0
	s_cbranch_execz .LBB68_3
; %bb.2:
	v_mad_u64_u32 v[4:5], null, s14, v1, 0
	s_mul_i32 s0, s17, s7
	s_mul_hi_u32 s11, s16, s7
	s_mul_i32 s14, s16, s7
	v_mad_u64_u32 v[5:6], null, s15, v1, v[5:6]
	s_add_i32 s15, s11, s0
	s_lshl_b64 s[14:15], s[14:15], 3
	s_add_u32 s0, s12, s14
	s_addc_u32 s11, s13, s15
	v_lshlrev_b64 v[4:5], 3, v[4:5]
	v_add_co_u32 v4, s0, s0, v4
	v_add_co_ci_u32_e64 v5, null, s11, v5, s0
	v_add_co_u32 v4, s0, v4, v2
	v_add_co_ci_u32_e64 v5, null, 0, v5, s0
	global_load_dwordx2 v[4:5], v[4:5], off
	s_waitcnt vmcnt(0)
	ds_write_b64 v3, v[4:5]
.LBB68_3:
	s_or_b32 exec_lo, exec_lo, s1
	s_add_i32 s0, s10, -1
	s_ashr_i32 s1, s0, 31
	s_lshr_b32 s1, s1, 27
	s_add_i32 s0, s0, s1
	s_and_b32 s1, s0, 0xffffffe0
	s_ashr_i32 s0, s0, 5
	s_sub_i32 s1, s10, s1
	s_cmp_ge_i32 s6, s0
	s_cselect_b32 s0, s1, 32
	s_lshl_b32 s10, s6, 5
	v_cmp_gt_i32_e64 s0, s0, v0
	s_ashr_i32 s11, s10, 31
	s_and_b32 s0, vcc_lo, s0
	s_and_saveexec_b32 s1, s0
	s_cbranch_execz .LBB68_5
; %bb.4:
	v_mad_u64_u32 v[4:5], null, s20, v1, 0
	s_mul_i32 s6, s23, s7
	s_mul_hi_u32 s13, s22, s7
	s_mul_i32 s12, s22, s7
	s_add_i32 s13, s13, s6
	s_lshl_b64 s[12:13], s[12:13], 3
	v_mad_u64_u32 v[5:6], null, s21, v1, v[5:6]
	s_add_u32 s6, s18, s12
	s_addc_u32 s14, s19, s13
	s_lshl_b64 s[12:13], s[10:11], 3
	v_add_nc_u32_e32 v6, 0x2000, v3
	s_add_u32 s6, s6, s12
	s_addc_u32 s12, s14, s13
	v_lshlrev_b64 v[4:5], 3, v[4:5]
	v_add_co_u32 v4, vcc_lo, s6, v4
	v_add_co_ci_u32_e64 v5, null, s12, v5, vcc_lo
	v_add_co_u32 v4, vcc_lo, v4, v2
	v_add_co_ci_u32_e64 v5, null, 0, v5, vcc_lo
	global_load_dwordx2 v[4:5], v[4:5], off
	s_waitcnt vmcnt(0)
	ds_write_b64 v6, v[4:5]
.LBB68_5:
	s_or_b32 exec_lo, exec_lo, s1
	v_cmp_eq_u32_e32 vcc_lo, v1, v0
	s_cmpk_eq_i32 s9, 0x84
	s_cselect_b32 s1, -1, 0
	s_and_b32 s6, vcc_lo, s1
	s_and_saveexec_b32 s1, s6
; %bb.6:
	v_mov_b32_e32 v4, 0
	v_mov_b32_e32 v5, 0x3ff00000
	ds_write_b64 v3, v[4:5]
; %bb.7:
	s_or_b32 exec_lo, exec_lo, s1
	s_cmpk_lg_i32 s8, 0x79
	s_cbranch_scc0 .LBB68_9
; %bb.8:
	v_cmp_lt_u32_e32 vcc_lo, v0, v1
	s_and_b32 s1, vcc_lo, exec_lo
	s_cbranch_execz .LBB68_10
	s_branch .LBB68_11
.LBB68_9:
	s_mov_b32 s1, 0
.LBB68_10:
	v_cmp_gt_u32_e32 vcc_lo, v0, v1
	s_andn2_b32 s1, s1, exec_lo
	s_and_b32 s6, vcc_lo, exec_lo
	s_or_b32 s1, s1, s6
.LBB68_11:
	s_and_saveexec_b32 s6, s1
; %bb.12:
	v_mov_b32_e32 v4, 0
	v_mov_b32_e32 v5, v4
	ds_write_b64 v3, v[4:5]
; %bb.13:
	s_or_b32 exec_lo, exec_lo, s6
	s_waitcnt lgkmcnt(0)
	s_barrier
	buffer_gl0_inv
	s_and_saveexec_b32 s1, s0
	s_cbranch_execz .LBB68_15
; %bb.14:
	v_add_nc_u32_e32 v0, 0x2000, v2
	v_lshlrev_b32_e32 v13, 3, v1
	ds_read2_b64 v[3:6], v0 offset1:32
	ds_read2_b64 v[7:10], v13 offset1:32
	v_add_nc_u32_e32 v14, 0x800, v13
	s_waitcnt lgkmcnt(0)
	v_fma_f64 v[3:4], v[3:4], v[7:8], 0
	v_fma_f64 v[11:12], v[5:6], v[9:10], v[3:4]
	ds_read2_b64 v[3:6], v0 offset0:64 offset1:96
	ds_read2_b64 v[7:10], v13 offset0:64 offset1:96
	s_waitcnt lgkmcnt(0)
	v_fma_f64 v[3:4], v[3:4], v[7:8], v[11:12]
	v_fma_f64 v[11:12], v[5:6], v[9:10], v[3:4]
	ds_read2_b64 v[3:6], v0 offset0:128 offset1:160
	ds_read2_b64 v[7:10], v13 offset0:128 offset1:160
	;; [unrolled: 5-line block ×3, first 2 shown]
	v_add_nc_u32_e32 v0, 0x2800, v2
	s_waitcnt lgkmcnt(0)
	v_fma_f64 v[3:4], v[3:4], v[7:8], v[11:12]
	v_fma_f64 v[11:12], v[5:6], v[9:10], v[3:4]
	ds_read2_b64 v[3:6], v0 offset1:32
	ds_read2_b64 v[7:10], v14 offset1:32
	s_waitcnt lgkmcnt(0)
	v_fma_f64 v[3:4], v[3:4], v[7:8], v[11:12]
	v_fma_f64 v[11:12], v[5:6], v[9:10], v[3:4]
	ds_read2_b64 v[3:6], v0 offset0:64 offset1:96
	ds_read2_b64 v[7:10], v14 offset0:64 offset1:96
	s_waitcnt lgkmcnt(0)
	v_fma_f64 v[3:4], v[3:4], v[7:8], v[11:12]
	v_fma_f64 v[11:12], v[5:6], v[9:10], v[3:4]
	ds_read2_b64 v[3:6], v0 offset0:128 offset1:160
	ds_read2_b64 v[7:10], v14 offset0:128 offset1:160
	;; [unrolled: 5-line block ×3, first 2 shown]
	v_add_nc_u32_e32 v0, 0x3000, v2
	v_add_nc_u32_e32 v14, 0x1000, v13
	v_add_nc_u32_e32 v13, 0x1800, v13
	s_waitcnt lgkmcnt(0)
	v_fma_f64 v[3:4], v[3:4], v[7:8], v[11:12]
	v_fma_f64 v[11:12], v[5:6], v[9:10], v[3:4]
	ds_read2_b64 v[3:6], v0 offset1:32
	ds_read2_b64 v[7:10], v14 offset1:32
	s_waitcnt lgkmcnt(0)
	v_fma_f64 v[3:4], v[3:4], v[7:8], v[11:12]
	v_fma_f64 v[11:12], v[5:6], v[9:10], v[3:4]
	ds_read2_b64 v[3:6], v0 offset0:64 offset1:96
	ds_read2_b64 v[7:10], v14 offset0:64 offset1:96
	s_waitcnt lgkmcnt(0)
	v_fma_f64 v[3:4], v[3:4], v[7:8], v[11:12]
	v_fma_f64 v[11:12], v[5:6], v[9:10], v[3:4]
	ds_read2_b64 v[3:6], v0 offset0:128 offset1:160
	ds_read2_b64 v[7:10], v14 offset0:128 offset1:160
	s_waitcnt lgkmcnt(0)
	v_fma_f64 v[3:4], v[3:4], v[7:8], v[11:12]
	v_fma_f64 v[11:12], v[5:6], v[9:10], v[3:4]
	ds_read2_b64 v[3:6], v0 offset0:192 offset1:224
	ds_read2_b64 v[7:10], v14 offset0:192 offset1:224
	v_add_nc_u32_e32 v0, 0x3800, v2
	s_waitcnt lgkmcnt(0)
	v_fma_f64 v[3:4], v[3:4], v[7:8], v[11:12]
	v_fma_f64 v[11:12], v[5:6], v[9:10], v[3:4]
	ds_read2_b64 v[3:6], v0 offset1:32
	ds_read2_b64 v[7:10], v13 offset1:32
	s_waitcnt lgkmcnt(0)
	v_fma_f64 v[3:4], v[3:4], v[7:8], v[11:12]
	v_fma_f64 v[11:12], v[5:6], v[9:10], v[3:4]
	ds_read2_b64 v[3:6], v0 offset0:64 offset1:96
	ds_read2_b64 v[7:10], v13 offset0:64 offset1:96
	s_waitcnt lgkmcnt(0)
	v_fma_f64 v[3:4], v[3:4], v[7:8], v[11:12]
	v_fma_f64 v[11:12], v[5:6], v[9:10], v[3:4]
	ds_read2_b64 v[3:6], v0 offset0:128 offset1:160
	ds_read2_b64 v[7:10], v13 offset0:128 offset1:160
	;; [unrolled: 5-line block ×3, first 2 shown]
	s_clause 0x1
	s_load_dwordx4 s[12:15], s[4:5], 0x50
	s_load_dwordx2 s[0:1], s[4:5], 0x60
	s_waitcnt lgkmcnt(0)
	s_mul_i32 s1, s1, s7
	v_fma_f64 v[3:4], v[3:4], v[7:8], v[11:12]
	s_mul_hi_u32 s4, s0, s7
	s_mul_i32 s0, s0, s7
	s_add_i32 s1, s4, s1
	s_lshl_b64 s[0:1], s[0:1], 3
	v_fma_f64 v[3:4], v[5:6], v[9:10], v[3:4]
	v_mad_u64_u32 v[5:6], null, s14, v1, 0
	v_mov_b32_e32 v0, v6
	v_mad_u64_u32 v[0:1], null, s15, v1, v[0:1]
	v_mov_b32_e32 v6, v0
	v_mul_f64 v[0:1], s[2:3], v[3:4]
	s_add_u32 s2, s12, s0
	s_addc_u32 s3, s13, s1
	s_lshl_b64 s[0:1], s[10:11], 3
	v_lshlrev_b64 v[3:4], 3, v[5:6]
	s_add_u32 s0, s2, s0
	s_addc_u32 s1, s3, s1
	v_add_co_u32 v3, vcc_lo, s0, v3
	v_add_co_ci_u32_e64 v4, null, s1, v4, vcc_lo
	v_add_co_u32 v2, vcc_lo, v3, v2
	v_add_co_ci_u32_e64 v3, null, 0, v4, vcc_lo
	global_store_dwordx2 v[2:3], v[0:1], off
.LBB68_15:
	s_endpgm
	.section	.rodata,"a",@progbits
	.p2align	6, 0x0
	.amdhsa_kernel _ZL23rocblas_trmm_rTx_kernelILi32ELb0EdPKdS0_dEv13rocblas_fill_17rocblas_diagonal_iiT2_lPT3_llS6_llPT4_lli
		.amdhsa_group_segment_fixed_size 16384
		.amdhsa_private_segment_fixed_size 0
		.amdhsa_kernarg_size 108
		.amdhsa_user_sgpr_count 6
		.amdhsa_user_sgpr_private_segment_buffer 1
		.amdhsa_user_sgpr_dispatch_ptr 0
		.amdhsa_user_sgpr_queue_ptr 0
		.amdhsa_user_sgpr_kernarg_segment_ptr 1
		.amdhsa_user_sgpr_dispatch_id 0
		.amdhsa_user_sgpr_flat_scratch_init 0
		.amdhsa_user_sgpr_private_segment_size 0
		.amdhsa_wavefront_size32 1
		.amdhsa_uses_dynamic_stack 0
		.amdhsa_system_sgpr_private_segment_wavefront_offset 0
		.amdhsa_system_sgpr_workgroup_id_x 1
		.amdhsa_system_sgpr_workgroup_id_y 0
		.amdhsa_system_sgpr_workgroup_id_z 1
		.amdhsa_system_sgpr_workgroup_info 0
		.amdhsa_system_vgpr_workitem_id 1
		.amdhsa_next_free_vgpr 15
		.amdhsa_next_free_sgpr 26
		.amdhsa_reserve_vcc 1
		.amdhsa_reserve_flat_scratch 0
		.amdhsa_float_round_mode_32 0
		.amdhsa_float_round_mode_16_64 0
		.amdhsa_float_denorm_mode_32 3
		.amdhsa_float_denorm_mode_16_64 3
		.amdhsa_dx10_clamp 1
		.amdhsa_ieee_mode 1
		.amdhsa_fp16_overflow 0
		.amdhsa_workgroup_processor_mode 1
		.amdhsa_memory_ordered 1
		.amdhsa_forward_progress 1
		.amdhsa_shared_vgpr_count 0
		.amdhsa_exception_fp_ieee_invalid_op 0
		.amdhsa_exception_fp_denorm_src 0
		.amdhsa_exception_fp_ieee_div_zero 0
		.amdhsa_exception_fp_ieee_overflow 0
		.amdhsa_exception_fp_ieee_underflow 0
		.amdhsa_exception_fp_ieee_inexact 0
		.amdhsa_exception_int_div_zero 0
	.end_amdhsa_kernel
	.section	.text._ZL23rocblas_trmm_rTx_kernelILi32ELb0EdPKdS0_dEv13rocblas_fill_17rocblas_diagonal_iiT2_lPT3_llS6_llPT4_lli,"axG",@progbits,_ZL23rocblas_trmm_rTx_kernelILi32ELb0EdPKdS0_dEv13rocblas_fill_17rocblas_diagonal_iiT2_lPT3_llS6_llPT4_lli,comdat
.Lfunc_end68:
	.size	_ZL23rocblas_trmm_rTx_kernelILi32ELb0EdPKdS0_dEv13rocblas_fill_17rocblas_diagonal_iiT2_lPT3_llS6_llPT4_lli, .Lfunc_end68-_ZL23rocblas_trmm_rTx_kernelILi32ELb0EdPKdS0_dEv13rocblas_fill_17rocblas_diagonal_iiT2_lPT3_llS6_llPT4_lli
                                        ; -- End function
	.set _ZL23rocblas_trmm_rTx_kernelILi32ELb0EdPKdS0_dEv13rocblas_fill_17rocblas_diagonal_iiT2_lPT3_llS6_llPT4_lli.num_vgpr, 15
	.set _ZL23rocblas_trmm_rTx_kernelILi32ELb0EdPKdS0_dEv13rocblas_fill_17rocblas_diagonal_iiT2_lPT3_llS6_llPT4_lli.num_agpr, 0
	.set _ZL23rocblas_trmm_rTx_kernelILi32ELb0EdPKdS0_dEv13rocblas_fill_17rocblas_diagonal_iiT2_lPT3_llS6_llPT4_lli.numbered_sgpr, 26
	.set _ZL23rocblas_trmm_rTx_kernelILi32ELb0EdPKdS0_dEv13rocblas_fill_17rocblas_diagonal_iiT2_lPT3_llS6_llPT4_lli.num_named_barrier, 0
	.set _ZL23rocblas_trmm_rTx_kernelILi32ELb0EdPKdS0_dEv13rocblas_fill_17rocblas_diagonal_iiT2_lPT3_llS6_llPT4_lli.private_seg_size, 0
	.set _ZL23rocblas_trmm_rTx_kernelILi32ELb0EdPKdS0_dEv13rocblas_fill_17rocblas_diagonal_iiT2_lPT3_llS6_llPT4_lli.uses_vcc, 1
	.set _ZL23rocblas_trmm_rTx_kernelILi32ELb0EdPKdS0_dEv13rocblas_fill_17rocblas_diagonal_iiT2_lPT3_llS6_llPT4_lli.uses_flat_scratch, 0
	.set _ZL23rocblas_trmm_rTx_kernelILi32ELb0EdPKdS0_dEv13rocblas_fill_17rocblas_diagonal_iiT2_lPT3_llS6_llPT4_lli.has_dyn_sized_stack, 0
	.set _ZL23rocblas_trmm_rTx_kernelILi32ELb0EdPKdS0_dEv13rocblas_fill_17rocblas_diagonal_iiT2_lPT3_llS6_llPT4_lli.has_recursion, 0
	.set _ZL23rocblas_trmm_rTx_kernelILi32ELb0EdPKdS0_dEv13rocblas_fill_17rocblas_diagonal_iiT2_lPT3_llS6_llPT4_lli.has_indirect_call, 0
	.section	.AMDGPU.csdata,"",@progbits
; Kernel info:
; codeLenInByte = 1364
; TotalNumSgprs: 28
; NumVgprs: 15
; ScratchSize: 0
; MemoryBound: 0
; FloatMode: 240
; IeeeMode: 1
; LDSByteSize: 16384 bytes/workgroup (compile time only)
; SGPRBlocks: 0
; VGPRBlocks: 1
; NumSGPRsForWavesPerEU: 28
; NumVGPRsForWavesPerEU: 15
; Occupancy: 16
; WaveLimiterHint : 0
; COMPUTE_PGM_RSRC2:SCRATCH_EN: 0
; COMPUTE_PGM_RSRC2:USER_SGPR: 6
; COMPUTE_PGM_RSRC2:TRAP_HANDLER: 0
; COMPUTE_PGM_RSRC2:TGID_X_EN: 1
; COMPUTE_PGM_RSRC2:TGID_Y_EN: 0
; COMPUTE_PGM_RSRC2:TGID_Z_EN: 1
; COMPUTE_PGM_RSRC2:TIDIG_COMP_CNT: 1
	.section	.text._ZL23rocblas_trmm_rTx_kernelILi32ELb0EddKddEv13rocblas_fill_17rocblas_diagonal_iiT2_lPT3_llS5_llPT4_lli,"axG",@progbits,_ZL23rocblas_trmm_rTx_kernelILi32ELb0EddKddEv13rocblas_fill_17rocblas_diagonal_iiT2_lPT3_llS5_llPT4_lli,comdat
	.globl	_ZL23rocblas_trmm_rTx_kernelILi32ELb0EddKddEv13rocblas_fill_17rocblas_diagonal_iiT2_lPT3_llS5_llPT4_lli ; -- Begin function _ZL23rocblas_trmm_rTx_kernelILi32ELb0EddKddEv13rocblas_fill_17rocblas_diagonal_iiT2_lPT3_llS5_llPT4_lli
	.p2align	8
	.type	_ZL23rocblas_trmm_rTx_kernelILi32ELb0EddKddEv13rocblas_fill_17rocblas_diagonal_iiT2_lPT3_llS5_llPT4_lli,@function
_ZL23rocblas_trmm_rTx_kernelILi32ELb0EddKddEv13rocblas_fill_17rocblas_diagonal_iiT2_lPT3_llS5_llPT4_lli: ; @_ZL23rocblas_trmm_rTx_kernelILi32ELb0EddKddEv13rocblas_fill_17rocblas_diagonal_iiT2_lPT3_llS5_llPT4_lli
; %bb.0:
	s_load_dwordx2 s[2:3], s[4:5], 0x10
	s_waitcnt lgkmcnt(0)
	v_cmp_eq_f64_e64 s0, s[2:3], 0
	s_and_b32 vcc_lo, exec_lo, s0
	s_cbranch_vccnz .LBB69_15
; %bb.1:
	s_clause 0x1
	s_load_dwordx4 s[24:27], s[4:5], 0x0
	s_load_dwordx16 s[8:23], s[4:5], 0x20
	v_lshlrev_b32_e32 v2, 5, v1
	s_mov_b32 s28, 0
	s_mov_b32 s29, s28
	v_mov_b32_e32 v4, s28
	v_add_lshl_u32 v3, v2, v0, 3
	v_mov_b32_e32 v5, s29
	v_lshlrev_b32_e32 v2, 3, v0
	ds_write2st64_b64 v3, v[4:5], v[4:5] offset1:16
	s_waitcnt lgkmcnt(0)
	v_cmp_gt_i32_e32 vcc_lo, s27, v1
	v_cmp_gt_i32_e64 s0, s27, v0
	s_and_b32 s0, vcc_lo, s0
	s_and_saveexec_b32 s1, s0
	s_cbranch_execz .LBB69_3
; %bb.2:
	v_mad_u64_u32 v[4:5], null, s10, v1, 0
	s_mul_i32 s0, s13, s7
	s_mul_i32 s10, s12, s7
	v_mad_u64_u32 v[5:6], null, s11, v1, v[5:6]
	s_mul_hi_u32 s11, s12, s7
	s_add_i32 s11, s11, s0
	s_lshl_b64 s[10:11], s[10:11], 3
	s_add_u32 s0, s8, s10
	v_lshlrev_b64 v[4:5], 3, v[4:5]
	s_addc_u32 s8, s9, s11
	v_add_co_u32 v4, s0, s0, v4
	v_add_co_ci_u32_e64 v5, null, s8, v5, s0
	v_add_co_u32 v4, s0, v4, v2
	v_add_co_ci_u32_e64 v5, null, 0, v5, s0
	global_load_dwordx2 v[4:5], v[4:5], off
	s_waitcnt vmcnt(0)
	ds_write_b64 v3, v[4:5]
.LBB69_3:
	s_or_b32 exec_lo, exec_lo, s1
	s_add_i32 s0, s26, -1
	s_ashr_i32 s1, s0, 31
	s_lshr_b32 s1, s1, 27
	s_add_i32 s0, s0, s1
	s_and_b32 s1, s0, 0xffffffe0
	s_ashr_i32 s0, s0, 5
	s_sub_i32 s1, s26, s1
	s_cmp_ge_i32 s6, s0
	s_cselect_b32 s0, s1, 32
	s_lshl_b32 s8, s6, 5
	v_cmp_gt_i32_e64 s0, s0, v0
	s_ashr_i32 s9, s8, 31
	s_and_b32 s0, vcc_lo, s0
	s_and_saveexec_b32 s1, s0
	s_cbranch_execz .LBB69_5
; %bb.4:
	v_mad_u64_u32 v[4:5], null, s16, v1, 0
	s_mul_i32 s6, s19, s7
	s_mul_hi_u32 s11, s18, s7
	s_mul_i32 s10, s18, s7
	s_add_i32 s11, s11, s6
	s_lshl_b64 s[10:11], s[10:11], 3
	v_mad_u64_u32 v[5:6], null, s17, v1, v[5:6]
	s_add_u32 s6, s14, s10
	s_addc_u32 s12, s15, s11
	s_lshl_b64 s[10:11], s[8:9], 3
	v_add_nc_u32_e32 v6, 0x2000, v3
	s_add_u32 s6, s6, s10
	s_addc_u32 s10, s12, s11
	v_lshlrev_b64 v[4:5], 3, v[4:5]
	v_add_co_u32 v4, vcc_lo, s6, v4
	v_add_co_ci_u32_e64 v5, null, s10, v5, vcc_lo
	v_add_co_u32 v4, vcc_lo, v4, v2
	v_add_co_ci_u32_e64 v5, null, 0, v5, vcc_lo
	global_load_dwordx2 v[4:5], v[4:5], off
	s_waitcnt vmcnt(0)
	ds_write_b64 v6, v[4:5]
.LBB69_5:
	s_or_b32 exec_lo, exec_lo, s1
	v_cmp_eq_u32_e32 vcc_lo, v1, v0
	s_cmpk_eq_i32 s25, 0x84
	s_cselect_b32 s1, -1, 0
	s_and_b32 s6, vcc_lo, s1
	s_and_saveexec_b32 s1, s6
; %bb.6:
	v_mov_b32_e32 v4, 0
	v_mov_b32_e32 v5, 0x3ff00000
	ds_write_b64 v3, v[4:5]
; %bb.7:
	s_or_b32 exec_lo, exec_lo, s1
	s_cmpk_lg_i32 s24, 0x79
	s_cbranch_scc0 .LBB69_9
; %bb.8:
	v_cmp_lt_u32_e32 vcc_lo, v0, v1
	s_and_b32 s1, vcc_lo, exec_lo
	s_cbranch_execz .LBB69_10
	s_branch .LBB69_11
.LBB69_9:
	s_mov_b32 s1, 0
.LBB69_10:
	v_cmp_gt_u32_e32 vcc_lo, v0, v1
	s_andn2_b32 s1, s1, exec_lo
	s_and_b32 s6, vcc_lo, exec_lo
	s_or_b32 s1, s1, s6
.LBB69_11:
	s_and_saveexec_b32 s6, s1
; %bb.12:
	v_mov_b32_e32 v4, 0
	v_mov_b32_e32 v5, v4
	ds_write_b64 v3, v[4:5]
; %bb.13:
	s_or_b32 exec_lo, exec_lo, s6
	s_waitcnt lgkmcnt(0)
	s_barrier
	buffer_gl0_inv
	s_and_saveexec_b32 s1, s0
	s_cbranch_execz .LBB69_15
; %bb.14:
	v_add_nc_u32_e32 v0, 0x2000, v2
	v_lshlrev_b32_e32 v13, 3, v1
	s_load_dwordx2 s[0:1], s[4:5], 0x60
	ds_read2_b64 v[3:6], v0 offset1:32
	ds_read2_b64 v[7:10], v13 offset1:32
	v_add_nc_u32_e32 v14, 0x800, v13
	s_waitcnt lgkmcnt(0)
	s_mul_i32 s1, s1, s7
	s_mul_hi_u32 s4, s0, s7
	s_mul_i32 s0, s0, s7
	v_fma_f64 v[3:4], v[3:4], v[7:8], 0
	s_add_i32 s1, s4, s1
	s_lshl_b64 s[0:1], s[0:1], 3
	v_fma_f64 v[11:12], v[5:6], v[9:10], v[3:4]
	ds_read2_b64 v[3:6], v0 offset0:64 offset1:96
	ds_read2_b64 v[7:10], v13 offset0:64 offset1:96
	s_waitcnt lgkmcnt(0)
	v_fma_f64 v[3:4], v[3:4], v[7:8], v[11:12]
	v_fma_f64 v[11:12], v[5:6], v[9:10], v[3:4]
	ds_read2_b64 v[3:6], v0 offset0:128 offset1:160
	ds_read2_b64 v[7:10], v13 offset0:128 offset1:160
	s_waitcnt lgkmcnt(0)
	v_fma_f64 v[3:4], v[3:4], v[7:8], v[11:12]
	v_fma_f64 v[11:12], v[5:6], v[9:10], v[3:4]
	ds_read2_b64 v[3:6], v0 offset0:192 offset1:224
	ds_read2_b64 v[7:10], v13 offset0:192 offset1:224
	v_add_nc_u32_e32 v0, 0x2800, v2
	s_waitcnt lgkmcnt(0)
	v_fma_f64 v[3:4], v[3:4], v[7:8], v[11:12]
	v_fma_f64 v[11:12], v[5:6], v[9:10], v[3:4]
	ds_read2_b64 v[3:6], v0 offset1:32
	ds_read2_b64 v[7:10], v14 offset1:32
	s_waitcnt lgkmcnt(0)
	v_fma_f64 v[3:4], v[3:4], v[7:8], v[11:12]
	v_fma_f64 v[11:12], v[5:6], v[9:10], v[3:4]
	ds_read2_b64 v[3:6], v0 offset0:64 offset1:96
	ds_read2_b64 v[7:10], v14 offset0:64 offset1:96
	s_waitcnt lgkmcnt(0)
	v_fma_f64 v[3:4], v[3:4], v[7:8], v[11:12]
	v_fma_f64 v[11:12], v[5:6], v[9:10], v[3:4]
	ds_read2_b64 v[3:6], v0 offset0:128 offset1:160
	ds_read2_b64 v[7:10], v14 offset0:128 offset1:160
	;; [unrolled: 5-line block ×3, first 2 shown]
	v_add_nc_u32_e32 v0, 0x3000, v2
	v_add_nc_u32_e32 v14, 0x1000, v13
	;; [unrolled: 1-line block ×3, first 2 shown]
	s_waitcnt lgkmcnt(0)
	v_fma_f64 v[3:4], v[3:4], v[7:8], v[11:12]
	v_fma_f64 v[11:12], v[5:6], v[9:10], v[3:4]
	ds_read2_b64 v[3:6], v0 offset1:32
	ds_read2_b64 v[7:10], v14 offset1:32
	s_waitcnt lgkmcnt(0)
	v_fma_f64 v[3:4], v[3:4], v[7:8], v[11:12]
	v_fma_f64 v[11:12], v[5:6], v[9:10], v[3:4]
	ds_read2_b64 v[3:6], v0 offset0:64 offset1:96
	ds_read2_b64 v[7:10], v14 offset0:64 offset1:96
	s_waitcnt lgkmcnt(0)
	v_fma_f64 v[3:4], v[3:4], v[7:8], v[11:12]
	v_fma_f64 v[11:12], v[5:6], v[9:10], v[3:4]
	ds_read2_b64 v[3:6], v0 offset0:128 offset1:160
	ds_read2_b64 v[7:10], v14 offset0:128 offset1:160
	;; [unrolled: 5-line block ×3, first 2 shown]
	v_add_nc_u32_e32 v0, 0x3800, v2
	s_waitcnt lgkmcnt(0)
	v_fma_f64 v[3:4], v[3:4], v[7:8], v[11:12]
	v_fma_f64 v[11:12], v[5:6], v[9:10], v[3:4]
	ds_read2_b64 v[3:6], v0 offset1:32
	ds_read2_b64 v[7:10], v13 offset1:32
	s_waitcnt lgkmcnt(0)
	v_fma_f64 v[3:4], v[3:4], v[7:8], v[11:12]
	v_fma_f64 v[11:12], v[5:6], v[9:10], v[3:4]
	ds_read2_b64 v[3:6], v0 offset0:64 offset1:96
	ds_read2_b64 v[7:10], v13 offset0:64 offset1:96
	s_waitcnt lgkmcnt(0)
	v_fma_f64 v[3:4], v[3:4], v[7:8], v[11:12]
	v_fma_f64 v[11:12], v[5:6], v[9:10], v[3:4]
	ds_read2_b64 v[3:6], v0 offset0:128 offset1:160
	ds_read2_b64 v[7:10], v13 offset0:128 offset1:160
	;; [unrolled: 5-line block ×3, first 2 shown]
	s_waitcnt lgkmcnt(0)
	v_fma_f64 v[3:4], v[3:4], v[7:8], v[11:12]
	v_fma_f64 v[3:4], v[5:6], v[9:10], v[3:4]
	v_mad_u64_u32 v[5:6], null, s22, v1, 0
	v_mov_b32_e32 v0, v6
	v_mad_u64_u32 v[0:1], null, s23, v1, v[0:1]
	v_mov_b32_e32 v6, v0
	v_mul_f64 v[0:1], s[2:3], v[3:4]
	s_add_u32 s2, s20, s0
	s_addc_u32 s3, s21, s1
	s_lshl_b64 s[0:1], s[8:9], 3
	v_lshlrev_b64 v[3:4], 3, v[5:6]
	s_add_u32 s0, s2, s0
	s_addc_u32 s1, s3, s1
	v_add_co_u32 v3, vcc_lo, s0, v3
	v_add_co_ci_u32_e64 v4, null, s1, v4, vcc_lo
	v_add_co_u32 v2, vcc_lo, v3, v2
	v_add_co_ci_u32_e64 v3, null, 0, v4, vcc_lo
	global_store_dwordx2 v[2:3], v[0:1], off
.LBB69_15:
	s_endpgm
	.section	.rodata,"a",@progbits
	.p2align	6, 0x0
	.amdhsa_kernel _ZL23rocblas_trmm_rTx_kernelILi32ELb0EddKddEv13rocblas_fill_17rocblas_diagonal_iiT2_lPT3_llS5_llPT4_lli
		.amdhsa_group_segment_fixed_size 16384
		.amdhsa_private_segment_fixed_size 0
		.amdhsa_kernarg_size 108
		.amdhsa_user_sgpr_count 6
		.amdhsa_user_sgpr_private_segment_buffer 1
		.amdhsa_user_sgpr_dispatch_ptr 0
		.amdhsa_user_sgpr_queue_ptr 0
		.amdhsa_user_sgpr_kernarg_segment_ptr 1
		.amdhsa_user_sgpr_dispatch_id 0
		.amdhsa_user_sgpr_flat_scratch_init 0
		.amdhsa_user_sgpr_private_segment_size 0
		.amdhsa_wavefront_size32 1
		.amdhsa_uses_dynamic_stack 0
		.amdhsa_system_sgpr_private_segment_wavefront_offset 0
		.amdhsa_system_sgpr_workgroup_id_x 1
		.amdhsa_system_sgpr_workgroup_id_y 0
		.amdhsa_system_sgpr_workgroup_id_z 1
		.amdhsa_system_sgpr_workgroup_info 0
		.amdhsa_system_vgpr_workitem_id 1
		.amdhsa_next_free_vgpr 15
		.amdhsa_next_free_sgpr 30
		.amdhsa_reserve_vcc 1
		.amdhsa_reserve_flat_scratch 0
		.amdhsa_float_round_mode_32 0
		.amdhsa_float_round_mode_16_64 0
		.amdhsa_float_denorm_mode_32 3
		.amdhsa_float_denorm_mode_16_64 3
		.amdhsa_dx10_clamp 1
		.amdhsa_ieee_mode 1
		.amdhsa_fp16_overflow 0
		.amdhsa_workgroup_processor_mode 1
		.amdhsa_memory_ordered 1
		.amdhsa_forward_progress 1
		.amdhsa_shared_vgpr_count 0
		.amdhsa_exception_fp_ieee_invalid_op 0
		.amdhsa_exception_fp_denorm_src 0
		.amdhsa_exception_fp_ieee_div_zero 0
		.amdhsa_exception_fp_ieee_overflow 0
		.amdhsa_exception_fp_ieee_underflow 0
		.amdhsa_exception_fp_ieee_inexact 0
		.amdhsa_exception_int_div_zero 0
	.end_amdhsa_kernel
	.section	.text._ZL23rocblas_trmm_rTx_kernelILi32ELb0EddKddEv13rocblas_fill_17rocblas_diagonal_iiT2_lPT3_llS5_llPT4_lli,"axG",@progbits,_ZL23rocblas_trmm_rTx_kernelILi32ELb0EddKddEv13rocblas_fill_17rocblas_diagonal_iiT2_lPT3_llS5_llPT4_lli,comdat
.Lfunc_end69:
	.size	_ZL23rocblas_trmm_rTx_kernelILi32ELb0EddKddEv13rocblas_fill_17rocblas_diagonal_iiT2_lPT3_llS5_llPT4_lli, .Lfunc_end69-_ZL23rocblas_trmm_rTx_kernelILi32ELb0EddKddEv13rocblas_fill_17rocblas_diagonal_iiT2_lPT3_llS5_llPT4_lli
                                        ; -- End function
	.set _ZL23rocblas_trmm_rTx_kernelILi32ELb0EddKddEv13rocblas_fill_17rocblas_diagonal_iiT2_lPT3_llS5_llPT4_lli.num_vgpr, 15
	.set _ZL23rocblas_trmm_rTx_kernelILi32ELb0EddKddEv13rocblas_fill_17rocblas_diagonal_iiT2_lPT3_llS5_llPT4_lli.num_agpr, 0
	.set _ZL23rocblas_trmm_rTx_kernelILi32ELb0EddKddEv13rocblas_fill_17rocblas_diagonal_iiT2_lPT3_llS5_llPT4_lli.numbered_sgpr, 30
	.set _ZL23rocblas_trmm_rTx_kernelILi32ELb0EddKddEv13rocblas_fill_17rocblas_diagonal_iiT2_lPT3_llS5_llPT4_lli.num_named_barrier, 0
	.set _ZL23rocblas_trmm_rTx_kernelILi32ELb0EddKddEv13rocblas_fill_17rocblas_diagonal_iiT2_lPT3_llS5_llPT4_lli.private_seg_size, 0
	.set _ZL23rocblas_trmm_rTx_kernelILi32ELb0EddKddEv13rocblas_fill_17rocblas_diagonal_iiT2_lPT3_llS5_llPT4_lli.uses_vcc, 1
	.set _ZL23rocblas_trmm_rTx_kernelILi32ELb0EddKddEv13rocblas_fill_17rocblas_diagonal_iiT2_lPT3_llS5_llPT4_lli.uses_flat_scratch, 0
	.set _ZL23rocblas_trmm_rTx_kernelILi32ELb0EddKddEv13rocblas_fill_17rocblas_diagonal_iiT2_lPT3_llS5_llPT4_lli.has_dyn_sized_stack, 0
	.set _ZL23rocblas_trmm_rTx_kernelILi32ELb0EddKddEv13rocblas_fill_17rocblas_diagonal_iiT2_lPT3_llS5_llPT4_lli.has_recursion, 0
	.set _ZL23rocblas_trmm_rTx_kernelILi32ELb0EddKddEv13rocblas_fill_17rocblas_diagonal_iiT2_lPT3_llS5_llPT4_lli.has_indirect_call, 0
	.section	.AMDGPU.csdata,"",@progbits
; Kernel info:
; codeLenInByte = 1324
; TotalNumSgprs: 32
; NumVgprs: 15
; ScratchSize: 0
; MemoryBound: 0
; FloatMode: 240
; IeeeMode: 1
; LDSByteSize: 16384 bytes/workgroup (compile time only)
; SGPRBlocks: 0
; VGPRBlocks: 1
; NumSGPRsForWavesPerEU: 32
; NumVGPRsForWavesPerEU: 15
; Occupancy: 16
; WaveLimiterHint : 0
; COMPUTE_PGM_RSRC2:SCRATCH_EN: 0
; COMPUTE_PGM_RSRC2:USER_SGPR: 6
; COMPUTE_PGM_RSRC2:TRAP_HANDLER: 0
; COMPUTE_PGM_RSRC2:TGID_X_EN: 1
; COMPUTE_PGM_RSRC2:TGID_Y_EN: 0
; COMPUTE_PGM_RSRC2:TGID_Z_EN: 1
; COMPUTE_PGM_RSRC2:TIDIG_COMP_CNT: 1
	.section	.text._ZL23rocblas_trmm_rTx_kernelILi32ELb1EdPKdS0_dEv13rocblas_fill_17rocblas_diagonal_iiT2_lPT3_llS6_llPT4_lli,"axG",@progbits,_ZL23rocblas_trmm_rTx_kernelILi32ELb1EdPKdS0_dEv13rocblas_fill_17rocblas_diagonal_iiT2_lPT3_llS6_llPT4_lli,comdat
	.globl	_ZL23rocblas_trmm_rTx_kernelILi32ELb1EdPKdS0_dEv13rocblas_fill_17rocblas_diagonal_iiT2_lPT3_llS6_llPT4_lli ; -- Begin function _ZL23rocblas_trmm_rTx_kernelILi32ELb1EdPKdS0_dEv13rocblas_fill_17rocblas_diagonal_iiT2_lPT3_llS6_llPT4_lli
	.p2align	8
	.type	_ZL23rocblas_trmm_rTx_kernelILi32ELb1EdPKdS0_dEv13rocblas_fill_17rocblas_diagonal_iiT2_lPT3_llS6_llPT4_lli,@function
_ZL23rocblas_trmm_rTx_kernelILi32ELb1EdPKdS0_dEv13rocblas_fill_17rocblas_diagonal_iiT2_lPT3_llS6_llPT4_lli: ; @_ZL23rocblas_trmm_rTx_kernelILi32ELb1EdPKdS0_dEv13rocblas_fill_17rocblas_diagonal_iiT2_lPT3_llS6_llPT4_lli
; %bb.0:
	s_load_dwordx16 s[8:23], s[4:5], 0x10
	s_waitcnt lgkmcnt(0)
	s_mul_i32 s0, s11, s7
	s_mul_hi_u32 s1, s10, s7
	s_add_i32 s1, s1, s0
	s_mul_i32 s0, s10, s7
	s_lshl_b64 s[0:1], s[0:1], 3
	s_add_u32 s0, s8, s0
	s_addc_u32 s1, s9, s1
	s_load_dwordx2 s[2:3], s[0:1], 0x0
	s_waitcnt lgkmcnt(0)
	v_cmp_eq_f64_e64 s0, s[2:3], 0
	s_and_b32 vcc_lo, exec_lo, s0
	s_cbranch_vccnz .LBB70_15
; %bb.1:
	s_load_dwordx4 s[8:11], s[4:5], 0x0
	v_lshlrev_b32_e32 v2, 5, v1
	s_mov_b32 s24, 0
	s_mov_b32 s25, s24
	v_mov_b32_e32 v4, s24
	v_add_lshl_u32 v3, v2, v0, 3
	v_mov_b32_e32 v5, s25
	v_lshlrev_b32_e32 v2, 3, v0
	ds_write2st64_b64 v3, v[4:5], v[4:5] offset1:16
	s_waitcnt lgkmcnt(0)
	v_cmp_gt_i32_e32 vcc_lo, s11, v1
	v_cmp_gt_i32_e64 s0, s11, v0
	s_and_b32 s0, vcc_lo, s0
	s_and_saveexec_b32 s1, s0
	s_cbranch_execz .LBB70_3
; %bb.2:
	v_mad_u64_u32 v[4:5], null, s14, v1, 0
	s_mul_i32 s0, s17, s7
	s_mul_hi_u32 s11, s16, s7
	s_mul_i32 s14, s16, s7
	v_mad_u64_u32 v[5:6], null, s15, v1, v[5:6]
	s_add_i32 s15, s11, s0
	s_lshl_b64 s[14:15], s[14:15], 3
	s_add_u32 s0, s12, s14
	s_addc_u32 s11, s13, s15
	v_lshlrev_b64 v[4:5], 3, v[4:5]
	v_add_co_u32 v4, s0, s0, v4
	v_add_co_ci_u32_e64 v5, null, s11, v5, s0
	v_add_co_u32 v4, s0, v4, v2
	v_add_co_ci_u32_e64 v5, null, 0, v5, s0
	global_load_dwordx2 v[4:5], v[4:5], off
	s_waitcnt vmcnt(0)
	ds_write_b64 v3, v[4:5]
.LBB70_3:
	s_or_b32 exec_lo, exec_lo, s1
	s_add_i32 s0, s10, -1
	s_ashr_i32 s1, s0, 31
	s_lshr_b32 s1, s1, 27
	s_add_i32 s0, s0, s1
	s_and_b32 s1, s0, 0xffffffe0
	s_ashr_i32 s0, s0, 5
	s_sub_i32 s1, s10, s1
	s_cmp_ge_i32 s6, s0
	s_cselect_b32 s0, s1, 32
	s_lshl_b32 s10, s6, 5
	v_cmp_gt_i32_e64 s0, s0, v0
	s_ashr_i32 s11, s10, 31
	s_and_b32 s0, vcc_lo, s0
	s_and_saveexec_b32 s1, s0
	s_cbranch_execz .LBB70_5
; %bb.4:
	v_mad_u64_u32 v[4:5], null, s20, v1, 0
	s_mul_i32 s6, s23, s7
	s_mul_hi_u32 s13, s22, s7
	s_mul_i32 s12, s22, s7
	s_add_i32 s13, s13, s6
	s_lshl_b64 s[12:13], s[12:13], 3
	v_mad_u64_u32 v[5:6], null, s21, v1, v[5:6]
	s_add_u32 s6, s18, s12
	s_addc_u32 s14, s19, s13
	s_lshl_b64 s[12:13], s[10:11], 3
	v_add_nc_u32_e32 v6, 0x2000, v3
	s_add_u32 s6, s6, s12
	s_addc_u32 s12, s14, s13
	v_lshlrev_b64 v[4:5], 3, v[4:5]
	v_add_co_u32 v4, vcc_lo, s6, v4
	v_add_co_ci_u32_e64 v5, null, s12, v5, vcc_lo
	v_add_co_u32 v4, vcc_lo, v4, v2
	v_add_co_ci_u32_e64 v5, null, 0, v5, vcc_lo
	global_load_dwordx2 v[4:5], v[4:5], off
	s_waitcnt vmcnt(0)
	ds_write_b64 v6, v[4:5]
.LBB70_5:
	s_or_b32 exec_lo, exec_lo, s1
	v_cmp_eq_u32_e32 vcc_lo, v1, v0
	s_cmpk_eq_i32 s9, 0x84
	s_cselect_b32 s1, -1, 0
	s_and_b32 s6, vcc_lo, s1
	s_and_saveexec_b32 s1, s6
; %bb.6:
	v_mov_b32_e32 v4, 0
	v_mov_b32_e32 v5, 0x3ff00000
	ds_write_b64 v3, v[4:5]
; %bb.7:
	s_or_b32 exec_lo, exec_lo, s1
	s_cmpk_lg_i32 s8, 0x79
	s_cbranch_scc0 .LBB70_9
; %bb.8:
	v_cmp_lt_u32_e32 vcc_lo, v0, v1
	s_and_b32 s1, vcc_lo, exec_lo
	s_cbranch_execz .LBB70_10
	s_branch .LBB70_11
.LBB70_9:
	s_mov_b32 s1, 0
.LBB70_10:
	v_cmp_gt_u32_e32 vcc_lo, v0, v1
	s_andn2_b32 s1, s1, exec_lo
	s_and_b32 s6, vcc_lo, exec_lo
	s_or_b32 s1, s1, s6
.LBB70_11:
	s_and_saveexec_b32 s6, s1
; %bb.12:
	v_mov_b32_e32 v4, 0
	v_mov_b32_e32 v5, v4
	ds_write_b64 v3, v[4:5]
; %bb.13:
	s_or_b32 exec_lo, exec_lo, s6
	s_waitcnt lgkmcnt(0)
	s_barrier
	buffer_gl0_inv
	s_and_saveexec_b32 s1, s0
	s_cbranch_execz .LBB70_15
; %bb.14:
	v_add_nc_u32_e32 v0, 0x2000, v2
	v_lshlrev_b32_e32 v13, 3, v1
	ds_read2_b64 v[3:6], v0 offset1:32
	ds_read2_b64 v[7:10], v13 offset1:32
	v_add_nc_u32_e32 v14, 0x800, v13
	s_waitcnt lgkmcnt(0)
	v_fma_f64 v[3:4], v[3:4], v[7:8], 0
	v_fma_f64 v[11:12], v[5:6], v[9:10], v[3:4]
	ds_read2_b64 v[3:6], v0 offset0:64 offset1:96
	ds_read2_b64 v[7:10], v13 offset0:64 offset1:96
	s_waitcnt lgkmcnt(0)
	v_fma_f64 v[3:4], v[3:4], v[7:8], v[11:12]
	v_fma_f64 v[11:12], v[5:6], v[9:10], v[3:4]
	ds_read2_b64 v[3:6], v0 offset0:128 offset1:160
	ds_read2_b64 v[7:10], v13 offset0:128 offset1:160
	;; [unrolled: 5-line block ×3, first 2 shown]
	v_add_nc_u32_e32 v0, 0x2800, v2
	s_waitcnt lgkmcnt(0)
	v_fma_f64 v[3:4], v[3:4], v[7:8], v[11:12]
	v_fma_f64 v[11:12], v[5:6], v[9:10], v[3:4]
	ds_read2_b64 v[3:6], v0 offset1:32
	ds_read2_b64 v[7:10], v14 offset1:32
	s_waitcnt lgkmcnt(0)
	v_fma_f64 v[3:4], v[3:4], v[7:8], v[11:12]
	v_fma_f64 v[11:12], v[5:6], v[9:10], v[3:4]
	ds_read2_b64 v[3:6], v0 offset0:64 offset1:96
	ds_read2_b64 v[7:10], v14 offset0:64 offset1:96
	s_waitcnt lgkmcnt(0)
	v_fma_f64 v[3:4], v[3:4], v[7:8], v[11:12]
	v_fma_f64 v[11:12], v[5:6], v[9:10], v[3:4]
	ds_read2_b64 v[3:6], v0 offset0:128 offset1:160
	ds_read2_b64 v[7:10], v14 offset0:128 offset1:160
	s_waitcnt lgkmcnt(0)
	v_fma_f64 v[3:4], v[3:4], v[7:8], v[11:12]
	v_fma_f64 v[11:12], v[5:6], v[9:10], v[3:4]
	ds_read2_b64 v[3:6], v0 offset0:192 offset1:224
	ds_read2_b64 v[7:10], v14 offset0:192 offset1:224
	v_add_nc_u32_e32 v0, 0x3000, v2
	v_add_nc_u32_e32 v14, 0x1000, v13
	;; [unrolled: 1-line block ×3, first 2 shown]
	s_waitcnt lgkmcnt(0)
	v_fma_f64 v[3:4], v[3:4], v[7:8], v[11:12]
	v_fma_f64 v[11:12], v[5:6], v[9:10], v[3:4]
	ds_read2_b64 v[3:6], v0 offset1:32
	ds_read2_b64 v[7:10], v14 offset1:32
	s_waitcnt lgkmcnt(0)
	v_fma_f64 v[3:4], v[3:4], v[7:8], v[11:12]
	v_fma_f64 v[11:12], v[5:6], v[9:10], v[3:4]
	ds_read2_b64 v[3:6], v0 offset0:64 offset1:96
	ds_read2_b64 v[7:10], v14 offset0:64 offset1:96
	s_waitcnt lgkmcnt(0)
	v_fma_f64 v[3:4], v[3:4], v[7:8], v[11:12]
	v_fma_f64 v[11:12], v[5:6], v[9:10], v[3:4]
	ds_read2_b64 v[3:6], v0 offset0:128 offset1:160
	ds_read2_b64 v[7:10], v14 offset0:128 offset1:160
	;; [unrolled: 5-line block ×3, first 2 shown]
	v_add_nc_u32_e32 v0, 0x3800, v2
	s_waitcnt lgkmcnt(0)
	v_fma_f64 v[3:4], v[3:4], v[7:8], v[11:12]
	v_fma_f64 v[11:12], v[5:6], v[9:10], v[3:4]
	ds_read2_b64 v[3:6], v0 offset1:32
	ds_read2_b64 v[7:10], v13 offset1:32
	s_waitcnt lgkmcnt(0)
	v_fma_f64 v[3:4], v[3:4], v[7:8], v[11:12]
	v_fma_f64 v[11:12], v[5:6], v[9:10], v[3:4]
	ds_read2_b64 v[3:6], v0 offset0:64 offset1:96
	ds_read2_b64 v[7:10], v13 offset0:64 offset1:96
	s_waitcnt lgkmcnt(0)
	v_fma_f64 v[3:4], v[3:4], v[7:8], v[11:12]
	v_fma_f64 v[11:12], v[5:6], v[9:10], v[3:4]
	ds_read2_b64 v[3:6], v0 offset0:128 offset1:160
	ds_read2_b64 v[7:10], v13 offset0:128 offset1:160
	;; [unrolled: 5-line block ×3, first 2 shown]
	s_clause 0x1
	s_load_dwordx4 s[12:15], s[4:5], 0x50
	s_load_dwordx2 s[0:1], s[4:5], 0x60
	s_waitcnt lgkmcnt(0)
	s_mul_i32 s1, s1, s7
	v_fma_f64 v[3:4], v[3:4], v[7:8], v[11:12]
	s_mul_hi_u32 s4, s0, s7
	s_mul_i32 s0, s0, s7
	s_add_i32 s1, s4, s1
	s_lshl_b64 s[0:1], s[0:1], 3
	v_fma_f64 v[3:4], v[5:6], v[9:10], v[3:4]
	v_mad_u64_u32 v[5:6], null, s14, v1, 0
	v_mov_b32_e32 v0, v6
	v_mad_u64_u32 v[0:1], null, s15, v1, v[0:1]
	v_mov_b32_e32 v6, v0
	v_mul_f64 v[0:1], s[2:3], v[3:4]
	s_add_u32 s2, s12, s0
	s_addc_u32 s3, s13, s1
	s_lshl_b64 s[0:1], s[10:11], 3
	v_lshlrev_b64 v[3:4], 3, v[5:6]
	s_add_u32 s0, s2, s0
	s_addc_u32 s1, s3, s1
	v_add_co_u32 v3, vcc_lo, s0, v3
	v_add_co_ci_u32_e64 v4, null, s1, v4, vcc_lo
	v_add_co_u32 v2, vcc_lo, v3, v2
	v_add_co_ci_u32_e64 v3, null, 0, v4, vcc_lo
	global_store_dwordx2 v[2:3], v[0:1], off
.LBB70_15:
	s_endpgm
	.section	.rodata,"a",@progbits
	.p2align	6, 0x0
	.amdhsa_kernel _ZL23rocblas_trmm_rTx_kernelILi32ELb1EdPKdS0_dEv13rocblas_fill_17rocblas_diagonal_iiT2_lPT3_llS6_llPT4_lli
		.amdhsa_group_segment_fixed_size 16384
		.amdhsa_private_segment_fixed_size 0
		.amdhsa_kernarg_size 108
		.amdhsa_user_sgpr_count 6
		.amdhsa_user_sgpr_private_segment_buffer 1
		.amdhsa_user_sgpr_dispatch_ptr 0
		.amdhsa_user_sgpr_queue_ptr 0
		.amdhsa_user_sgpr_kernarg_segment_ptr 1
		.amdhsa_user_sgpr_dispatch_id 0
		.amdhsa_user_sgpr_flat_scratch_init 0
		.amdhsa_user_sgpr_private_segment_size 0
		.amdhsa_wavefront_size32 1
		.amdhsa_uses_dynamic_stack 0
		.amdhsa_system_sgpr_private_segment_wavefront_offset 0
		.amdhsa_system_sgpr_workgroup_id_x 1
		.amdhsa_system_sgpr_workgroup_id_y 0
		.amdhsa_system_sgpr_workgroup_id_z 1
		.amdhsa_system_sgpr_workgroup_info 0
		.amdhsa_system_vgpr_workitem_id 1
		.amdhsa_next_free_vgpr 15
		.amdhsa_next_free_sgpr 26
		.amdhsa_reserve_vcc 1
		.amdhsa_reserve_flat_scratch 0
		.amdhsa_float_round_mode_32 0
		.amdhsa_float_round_mode_16_64 0
		.amdhsa_float_denorm_mode_32 3
		.amdhsa_float_denorm_mode_16_64 3
		.amdhsa_dx10_clamp 1
		.amdhsa_ieee_mode 1
		.amdhsa_fp16_overflow 0
		.amdhsa_workgroup_processor_mode 1
		.amdhsa_memory_ordered 1
		.amdhsa_forward_progress 1
		.amdhsa_shared_vgpr_count 0
		.amdhsa_exception_fp_ieee_invalid_op 0
		.amdhsa_exception_fp_denorm_src 0
		.amdhsa_exception_fp_ieee_div_zero 0
		.amdhsa_exception_fp_ieee_overflow 0
		.amdhsa_exception_fp_ieee_underflow 0
		.amdhsa_exception_fp_ieee_inexact 0
		.amdhsa_exception_int_div_zero 0
	.end_amdhsa_kernel
	.section	.text._ZL23rocblas_trmm_rTx_kernelILi32ELb1EdPKdS0_dEv13rocblas_fill_17rocblas_diagonal_iiT2_lPT3_llS6_llPT4_lli,"axG",@progbits,_ZL23rocblas_trmm_rTx_kernelILi32ELb1EdPKdS0_dEv13rocblas_fill_17rocblas_diagonal_iiT2_lPT3_llS6_llPT4_lli,comdat
.Lfunc_end70:
	.size	_ZL23rocblas_trmm_rTx_kernelILi32ELb1EdPKdS0_dEv13rocblas_fill_17rocblas_diagonal_iiT2_lPT3_llS6_llPT4_lli, .Lfunc_end70-_ZL23rocblas_trmm_rTx_kernelILi32ELb1EdPKdS0_dEv13rocblas_fill_17rocblas_diagonal_iiT2_lPT3_llS6_llPT4_lli
                                        ; -- End function
	.set _ZL23rocblas_trmm_rTx_kernelILi32ELb1EdPKdS0_dEv13rocblas_fill_17rocblas_diagonal_iiT2_lPT3_llS6_llPT4_lli.num_vgpr, 15
	.set _ZL23rocblas_trmm_rTx_kernelILi32ELb1EdPKdS0_dEv13rocblas_fill_17rocblas_diagonal_iiT2_lPT3_llS6_llPT4_lli.num_agpr, 0
	.set _ZL23rocblas_trmm_rTx_kernelILi32ELb1EdPKdS0_dEv13rocblas_fill_17rocblas_diagonal_iiT2_lPT3_llS6_llPT4_lli.numbered_sgpr, 26
	.set _ZL23rocblas_trmm_rTx_kernelILi32ELb1EdPKdS0_dEv13rocblas_fill_17rocblas_diagonal_iiT2_lPT3_llS6_llPT4_lli.num_named_barrier, 0
	.set _ZL23rocblas_trmm_rTx_kernelILi32ELb1EdPKdS0_dEv13rocblas_fill_17rocblas_diagonal_iiT2_lPT3_llS6_llPT4_lli.private_seg_size, 0
	.set _ZL23rocblas_trmm_rTx_kernelILi32ELb1EdPKdS0_dEv13rocblas_fill_17rocblas_diagonal_iiT2_lPT3_llS6_llPT4_lli.uses_vcc, 1
	.set _ZL23rocblas_trmm_rTx_kernelILi32ELb1EdPKdS0_dEv13rocblas_fill_17rocblas_diagonal_iiT2_lPT3_llS6_llPT4_lli.uses_flat_scratch, 0
	.set _ZL23rocblas_trmm_rTx_kernelILi32ELb1EdPKdS0_dEv13rocblas_fill_17rocblas_diagonal_iiT2_lPT3_llS6_llPT4_lli.has_dyn_sized_stack, 0
	.set _ZL23rocblas_trmm_rTx_kernelILi32ELb1EdPKdS0_dEv13rocblas_fill_17rocblas_diagonal_iiT2_lPT3_llS6_llPT4_lli.has_recursion, 0
	.set _ZL23rocblas_trmm_rTx_kernelILi32ELb1EdPKdS0_dEv13rocblas_fill_17rocblas_diagonal_iiT2_lPT3_llS6_llPT4_lli.has_indirect_call, 0
	.section	.AMDGPU.csdata,"",@progbits
; Kernel info:
; codeLenInByte = 1364
; TotalNumSgprs: 28
; NumVgprs: 15
; ScratchSize: 0
; MemoryBound: 0
; FloatMode: 240
; IeeeMode: 1
; LDSByteSize: 16384 bytes/workgroup (compile time only)
; SGPRBlocks: 0
; VGPRBlocks: 1
; NumSGPRsForWavesPerEU: 28
; NumVGPRsForWavesPerEU: 15
; Occupancy: 16
; WaveLimiterHint : 0
; COMPUTE_PGM_RSRC2:SCRATCH_EN: 0
; COMPUTE_PGM_RSRC2:USER_SGPR: 6
; COMPUTE_PGM_RSRC2:TRAP_HANDLER: 0
; COMPUTE_PGM_RSRC2:TGID_X_EN: 1
; COMPUTE_PGM_RSRC2:TGID_Y_EN: 0
; COMPUTE_PGM_RSRC2:TGID_Z_EN: 1
; COMPUTE_PGM_RSRC2:TIDIG_COMP_CNT: 1
	.section	.text._ZL23rocblas_trmm_rTx_kernelILi32ELb1EddKddEv13rocblas_fill_17rocblas_diagonal_iiT2_lPT3_llS5_llPT4_lli,"axG",@progbits,_ZL23rocblas_trmm_rTx_kernelILi32ELb1EddKddEv13rocblas_fill_17rocblas_diagonal_iiT2_lPT3_llS5_llPT4_lli,comdat
	.globl	_ZL23rocblas_trmm_rTx_kernelILi32ELb1EddKddEv13rocblas_fill_17rocblas_diagonal_iiT2_lPT3_llS5_llPT4_lli ; -- Begin function _ZL23rocblas_trmm_rTx_kernelILi32ELb1EddKddEv13rocblas_fill_17rocblas_diagonal_iiT2_lPT3_llS5_llPT4_lli
	.p2align	8
	.type	_ZL23rocblas_trmm_rTx_kernelILi32ELb1EddKddEv13rocblas_fill_17rocblas_diagonal_iiT2_lPT3_llS5_llPT4_lli,@function
_ZL23rocblas_trmm_rTx_kernelILi32ELb1EddKddEv13rocblas_fill_17rocblas_diagonal_iiT2_lPT3_llS5_llPT4_lli: ; @_ZL23rocblas_trmm_rTx_kernelILi32ELb1EddKddEv13rocblas_fill_17rocblas_diagonal_iiT2_lPT3_llS5_llPT4_lli
; %bb.0:
	s_load_dwordx2 s[2:3], s[4:5], 0x10
	s_waitcnt lgkmcnt(0)
	v_cmp_eq_f64_e64 s0, s[2:3], 0
	s_and_b32 vcc_lo, exec_lo, s0
	s_cbranch_vccnz .LBB71_15
; %bb.1:
	s_clause 0x1
	s_load_dwordx4 s[24:27], s[4:5], 0x0
	s_load_dwordx16 s[8:23], s[4:5], 0x20
	v_lshlrev_b32_e32 v2, 5, v1
	s_mov_b32 s28, 0
	s_mov_b32 s29, s28
	v_mov_b32_e32 v4, s28
	v_add_lshl_u32 v3, v2, v0, 3
	v_mov_b32_e32 v5, s29
	v_lshlrev_b32_e32 v2, 3, v0
	ds_write2st64_b64 v3, v[4:5], v[4:5] offset1:16
	s_waitcnt lgkmcnt(0)
	v_cmp_gt_i32_e32 vcc_lo, s27, v1
	v_cmp_gt_i32_e64 s0, s27, v0
	s_and_b32 s0, vcc_lo, s0
	s_and_saveexec_b32 s1, s0
	s_cbranch_execz .LBB71_3
; %bb.2:
	v_mad_u64_u32 v[4:5], null, s10, v1, 0
	s_mul_i32 s0, s13, s7
	s_mul_i32 s10, s12, s7
	v_mad_u64_u32 v[5:6], null, s11, v1, v[5:6]
	s_mul_hi_u32 s11, s12, s7
	s_add_i32 s11, s11, s0
	s_lshl_b64 s[10:11], s[10:11], 3
	s_add_u32 s0, s8, s10
	v_lshlrev_b64 v[4:5], 3, v[4:5]
	s_addc_u32 s8, s9, s11
	v_add_co_u32 v4, s0, s0, v4
	v_add_co_ci_u32_e64 v5, null, s8, v5, s0
	v_add_co_u32 v4, s0, v4, v2
	v_add_co_ci_u32_e64 v5, null, 0, v5, s0
	global_load_dwordx2 v[4:5], v[4:5], off
	s_waitcnt vmcnt(0)
	ds_write_b64 v3, v[4:5]
.LBB71_3:
	s_or_b32 exec_lo, exec_lo, s1
	s_add_i32 s0, s26, -1
	s_ashr_i32 s1, s0, 31
	s_lshr_b32 s1, s1, 27
	s_add_i32 s0, s0, s1
	s_and_b32 s1, s0, 0xffffffe0
	s_ashr_i32 s0, s0, 5
	s_sub_i32 s1, s26, s1
	s_cmp_ge_i32 s6, s0
	s_cselect_b32 s0, s1, 32
	s_lshl_b32 s8, s6, 5
	v_cmp_gt_i32_e64 s0, s0, v0
	s_ashr_i32 s9, s8, 31
	s_and_b32 s0, vcc_lo, s0
	s_and_saveexec_b32 s1, s0
	s_cbranch_execz .LBB71_5
; %bb.4:
	v_mad_u64_u32 v[4:5], null, s16, v1, 0
	s_mul_i32 s6, s19, s7
	s_mul_hi_u32 s11, s18, s7
	s_mul_i32 s10, s18, s7
	s_add_i32 s11, s11, s6
	s_lshl_b64 s[10:11], s[10:11], 3
	v_mad_u64_u32 v[5:6], null, s17, v1, v[5:6]
	s_add_u32 s6, s14, s10
	s_addc_u32 s12, s15, s11
	s_lshl_b64 s[10:11], s[8:9], 3
	v_add_nc_u32_e32 v6, 0x2000, v3
	s_add_u32 s6, s6, s10
	s_addc_u32 s10, s12, s11
	v_lshlrev_b64 v[4:5], 3, v[4:5]
	v_add_co_u32 v4, vcc_lo, s6, v4
	v_add_co_ci_u32_e64 v5, null, s10, v5, vcc_lo
	v_add_co_u32 v4, vcc_lo, v4, v2
	v_add_co_ci_u32_e64 v5, null, 0, v5, vcc_lo
	global_load_dwordx2 v[4:5], v[4:5], off
	s_waitcnt vmcnt(0)
	ds_write_b64 v6, v[4:5]
.LBB71_5:
	s_or_b32 exec_lo, exec_lo, s1
	v_cmp_eq_u32_e32 vcc_lo, v1, v0
	s_cmpk_eq_i32 s25, 0x84
	s_cselect_b32 s1, -1, 0
	s_and_b32 s6, vcc_lo, s1
	s_and_saveexec_b32 s1, s6
; %bb.6:
	v_mov_b32_e32 v4, 0
	v_mov_b32_e32 v5, 0x3ff00000
	ds_write_b64 v3, v[4:5]
; %bb.7:
	s_or_b32 exec_lo, exec_lo, s1
	s_cmpk_lg_i32 s24, 0x79
	s_cbranch_scc0 .LBB71_9
; %bb.8:
	v_cmp_lt_u32_e32 vcc_lo, v0, v1
	s_and_b32 s1, vcc_lo, exec_lo
	s_cbranch_execz .LBB71_10
	s_branch .LBB71_11
.LBB71_9:
	s_mov_b32 s1, 0
.LBB71_10:
	v_cmp_gt_u32_e32 vcc_lo, v0, v1
	s_andn2_b32 s1, s1, exec_lo
	s_and_b32 s6, vcc_lo, exec_lo
	s_or_b32 s1, s1, s6
.LBB71_11:
	s_and_saveexec_b32 s6, s1
; %bb.12:
	v_mov_b32_e32 v4, 0
	v_mov_b32_e32 v5, v4
	ds_write_b64 v3, v[4:5]
; %bb.13:
	s_or_b32 exec_lo, exec_lo, s6
	s_waitcnt lgkmcnt(0)
	s_barrier
	buffer_gl0_inv
	s_and_saveexec_b32 s1, s0
	s_cbranch_execz .LBB71_15
; %bb.14:
	v_add_nc_u32_e32 v0, 0x2000, v2
	v_lshlrev_b32_e32 v13, 3, v1
	s_load_dwordx2 s[0:1], s[4:5], 0x60
	ds_read2_b64 v[3:6], v0 offset1:32
	ds_read2_b64 v[7:10], v13 offset1:32
	v_add_nc_u32_e32 v14, 0x800, v13
	s_waitcnt lgkmcnt(0)
	s_mul_i32 s1, s1, s7
	s_mul_hi_u32 s4, s0, s7
	s_mul_i32 s0, s0, s7
	v_fma_f64 v[3:4], v[3:4], v[7:8], 0
	s_add_i32 s1, s4, s1
	s_lshl_b64 s[0:1], s[0:1], 3
	v_fma_f64 v[11:12], v[5:6], v[9:10], v[3:4]
	ds_read2_b64 v[3:6], v0 offset0:64 offset1:96
	ds_read2_b64 v[7:10], v13 offset0:64 offset1:96
	s_waitcnt lgkmcnt(0)
	v_fma_f64 v[3:4], v[3:4], v[7:8], v[11:12]
	v_fma_f64 v[11:12], v[5:6], v[9:10], v[3:4]
	ds_read2_b64 v[3:6], v0 offset0:128 offset1:160
	ds_read2_b64 v[7:10], v13 offset0:128 offset1:160
	s_waitcnt lgkmcnt(0)
	v_fma_f64 v[3:4], v[3:4], v[7:8], v[11:12]
	v_fma_f64 v[11:12], v[5:6], v[9:10], v[3:4]
	ds_read2_b64 v[3:6], v0 offset0:192 offset1:224
	ds_read2_b64 v[7:10], v13 offset0:192 offset1:224
	v_add_nc_u32_e32 v0, 0x2800, v2
	s_waitcnt lgkmcnt(0)
	v_fma_f64 v[3:4], v[3:4], v[7:8], v[11:12]
	v_fma_f64 v[11:12], v[5:6], v[9:10], v[3:4]
	ds_read2_b64 v[3:6], v0 offset1:32
	ds_read2_b64 v[7:10], v14 offset1:32
	s_waitcnt lgkmcnt(0)
	v_fma_f64 v[3:4], v[3:4], v[7:8], v[11:12]
	v_fma_f64 v[11:12], v[5:6], v[9:10], v[3:4]
	ds_read2_b64 v[3:6], v0 offset0:64 offset1:96
	ds_read2_b64 v[7:10], v14 offset0:64 offset1:96
	s_waitcnt lgkmcnt(0)
	v_fma_f64 v[3:4], v[3:4], v[7:8], v[11:12]
	v_fma_f64 v[11:12], v[5:6], v[9:10], v[3:4]
	ds_read2_b64 v[3:6], v0 offset0:128 offset1:160
	ds_read2_b64 v[7:10], v14 offset0:128 offset1:160
	;; [unrolled: 5-line block ×3, first 2 shown]
	v_add_nc_u32_e32 v0, 0x3000, v2
	v_add_nc_u32_e32 v14, 0x1000, v13
	;; [unrolled: 1-line block ×3, first 2 shown]
	s_waitcnt lgkmcnt(0)
	v_fma_f64 v[3:4], v[3:4], v[7:8], v[11:12]
	v_fma_f64 v[11:12], v[5:6], v[9:10], v[3:4]
	ds_read2_b64 v[3:6], v0 offset1:32
	ds_read2_b64 v[7:10], v14 offset1:32
	s_waitcnt lgkmcnt(0)
	v_fma_f64 v[3:4], v[3:4], v[7:8], v[11:12]
	v_fma_f64 v[11:12], v[5:6], v[9:10], v[3:4]
	ds_read2_b64 v[3:6], v0 offset0:64 offset1:96
	ds_read2_b64 v[7:10], v14 offset0:64 offset1:96
	s_waitcnt lgkmcnt(0)
	v_fma_f64 v[3:4], v[3:4], v[7:8], v[11:12]
	v_fma_f64 v[11:12], v[5:6], v[9:10], v[3:4]
	ds_read2_b64 v[3:6], v0 offset0:128 offset1:160
	ds_read2_b64 v[7:10], v14 offset0:128 offset1:160
	;; [unrolled: 5-line block ×3, first 2 shown]
	v_add_nc_u32_e32 v0, 0x3800, v2
	s_waitcnt lgkmcnt(0)
	v_fma_f64 v[3:4], v[3:4], v[7:8], v[11:12]
	v_fma_f64 v[11:12], v[5:6], v[9:10], v[3:4]
	ds_read2_b64 v[3:6], v0 offset1:32
	ds_read2_b64 v[7:10], v13 offset1:32
	s_waitcnt lgkmcnt(0)
	v_fma_f64 v[3:4], v[3:4], v[7:8], v[11:12]
	v_fma_f64 v[11:12], v[5:6], v[9:10], v[3:4]
	ds_read2_b64 v[3:6], v0 offset0:64 offset1:96
	ds_read2_b64 v[7:10], v13 offset0:64 offset1:96
	s_waitcnt lgkmcnt(0)
	v_fma_f64 v[3:4], v[3:4], v[7:8], v[11:12]
	v_fma_f64 v[11:12], v[5:6], v[9:10], v[3:4]
	ds_read2_b64 v[3:6], v0 offset0:128 offset1:160
	ds_read2_b64 v[7:10], v13 offset0:128 offset1:160
	;; [unrolled: 5-line block ×3, first 2 shown]
	s_waitcnt lgkmcnt(0)
	v_fma_f64 v[3:4], v[3:4], v[7:8], v[11:12]
	v_fma_f64 v[3:4], v[5:6], v[9:10], v[3:4]
	v_mad_u64_u32 v[5:6], null, s22, v1, 0
	v_mov_b32_e32 v0, v6
	v_mad_u64_u32 v[0:1], null, s23, v1, v[0:1]
	v_mov_b32_e32 v6, v0
	v_mul_f64 v[0:1], s[2:3], v[3:4]
	s_add_u32 s2, s20, s0
	s_addc_u32 s3, s21, s1
	s_lshl_b64 s[0:1], s[8:9], 3
	v_lshlrev_b64 v[3:4], 3, v[5:6]
	s_add_u32 s0, s2, s0
	s_addc_u32 s1, s3, s1
	v_add_co_u32 v3, vcc_lo, s0, v3
	v_add_co_ci_u32_e64 v4, null, s1, v4, vcc_lo
	v_add_co_u32 v2, vcc_lo, v3, v2
	v_add_co_ci_u32_e64 v3, null, 0, v4, vcc_lo
	global_store_dwordx2 v[2:3], v[0:1], off
.LBB71_15:
	s_endpgm
	.section	.rodata,"a",@progbits
	.p2align	6, 0x0
	.amdhsa_kernel _ZL23rocblas_trmm_rTx_kernelILi32ELb1EddKddEv13rocblas_fill_17rocblas_diagonal_iiT2_lPT3_llS5_llPT4_lli
		.amdhsa_group_segment_fixed_size 16384
		.amdhsa_private_segment_fixed_size 0
		.amdhsa_kernarg_size 108
		.amdhsa_user_sgpr_count 6
		.amdhsa_user_sgpr_private_segment_buffer 1
		.amdhsa_user_sgpr_dispatch_ptr 0
		.amdhsa_user_sgpr_queue_ptr 0
		.amdhsa_user_sgpr_kernarg_segment_ptr 1
		.amdhsa_user_sgpr_dispatch_id 0
		.amdhsa_user_sgpr_flat_scratch_init 0
		.amdhsa_user_sgpr_private_segment_size 0
		.amdhsa_wavefront_size32 1
		.amdhsa_uses_dynamic_stack 0
		.amdhsa_system_sgpr_private_segment_wavefront_offset 0
		.amdhsa_system_sgpr_workgroup_id_x 1
		.amdhsa_system_sgpr_workgroup_id_y 0
		.amdhsa_system_sgpr_workgroup_id_z 1
		.amdhsa_system_sgpr_workgroup_info 0
		.amdhsa_system_vgpr_workitem_id 1
		.amdhsa_next_free_vgpr 15
		.amdhsa_next_free_sgpr 30
		.amdhsa_reserve_vcc 1
		.amdhsa_reserve_flat_scratch 0
		.amdhsa_float_round_mode_32 0
		.amdhsa_float_round_mode_16_64 0
		.amdhsa_float_denorm_mode_32 3
		.amdhsa_float_denorm_mode_16_64 3
		.amdhsa_dx10_clamp 1
		.amdhsa_ieee_mode 1
		.amdhsa_fp16_overflow 0
		.amdhsa_workgroup_processor_mode 1
		.amdhsa_memory_ordered 1
		.amdhsa_forward_progress 1
		.amdhsa_shared_vgpr_count 0
		.amdhsa_exception_fp_ieee_invalid_op 0
		.amdhsa_exception_fp_denorm_src 0
		.amdhsa_exception_fp_ieee_div_zero 0
		.amdhsa_exception_fp_ieee_overflow 0
		.amdhsa_exception_fp_ieee_underflow 0
		.amdhsa_exception_fp_ieee_inexact 0
		.amdhsa_exception_int_div_zero 0
	.end_amdhsa_kernel
	.section	.text._ZL23rocblas_trmm_rTx_kernelILi32ELb1EddKddEv13rocblas_fill_17rocblas_diagonal_iiT2_lPT3_llS5_llPT4_lli,"axG",@progbits,_ZL23rocblas_trmm_rTx_kernelILi32ELb1EddKddEv13rocblas_fill_17rocblas_diagonal_iiT2_lPT3_llS5_llPT4_lli,comdat
.Lfunc_end71:
	.size	_ZL23rocblas_trmm_rTx_kernelILi32ELb1EddKddEv13rocblas_fill_17rocblas_diagonal_iiT2_lPT3_llS5_llPT4_lli, .Lfunc_end71-_ZL23rocblas_trmm_rTx_kernelILi32ELb1EddKddEv13rocblas_fill_17rocblas_diagonal_iiT2_lPT3_llS5_llPT4_lli
                                        ; -- End function
	.set _ZL23rocblas_trmm_rTx_kernelILi32ELb1EddKddEv13rocblas_fill_17rocblas_diagonal_iiT2_lPT3_llS5_llPT4_lli.num_vgpr, 15
	.set _ZL23rocblas_trmm_rTx_kernelILi32ELb1EddKddEv13rocblas_fill_17rocblas_diagonal_iiT2_lPT3_llS5_llPT4_lli.num_agpr, 0
	.set _ZL23rocblas_trmm_rTx_kernelILi32ELb1EddKddEv13rocblas_fill_17rocblas_diagonal_iiT2_lPT3_llS5_llPT4_lli.numbered_sgpr, 30
	.set _ZL23rocblas_trmm_rTx_kernelILi32ELb1EddKddEv13rocblas_fill_17rocblas_diagonal_iiT2_lPT3_llS5_llPT4_lli.num_named_barrier, 0
	.set _ZL23rocblas_trmm_rTx_kernelILi32ELb1EddKddEv13rocblas_fill_17rocblas_diagonal_iiT2_lPT3_llS5_llPT4_lli.private_seg_size, 0
	.set _ZL23rocblas_trmm_rTx_kernelILi32ELb1EddKddEv13rocblas_fill_17rocblas_diagonal_iiT2_lPT3_llS5_llPT4_lli.uses_vcc, 1
	.set _ZL23rocblas_trmm_rTx_kernelILi32ELb1EddKddEv13rocblas_fill_17rocblas_diagonal_iiT2_lPT3_llS5_llPT4_lli.uses_flat_scratch, 0
	.set _ZL23rocblas_trmm_rTx_kernelILi32ELb1EddKddEv13rocblas_fill_17rocblas_diagonal_iiT2_lPT3_llS5_llPT4_lli.has_dyn_sized_stack, 0
	.set _ZL23rocblas_trmm_rTx_kernelILi32ELb1EddKddEv13rocblas_fill_17rocblas_diagonal_iiT2_lPT3_llS5_llPT4_lli.has_recursion, 0
	.set _ZL23rocblas_trmm_rTx_kernelILi32ELb1EddKddEv13rocblas_fill_17rocblas_diagonal_iiT2_lPT3_llS5_llPT4_lli.has_indirect_call, 0
	.section	.AMDGPU.csdata,"",@progbits
; Kernel info:
; codeLenInByte = 1324
; TotalNumSgprs: 32
; NumVgprs: 15
; ScratchSize: 0
; MemoryBound: 0
; FloatMode: 240
; IeeeMode: 1
; LDSByteSize: 16384 bytes/workgroup (compile time only)
; SGPRBlocks: 0
; VGPRBlocks: 1
; NumSGPRsForWavesPerEU: 32
; NumVGPRsForWavesPerEU: 15
; Occupancy: 16
; WaveLimiterHint : 0
; COMPUTE_PGM_RSRC2:SCRATCH_EN: 0
; COMPUTE_PGM_RSRC2:USER_SGPR: 6
; COMPUTE_PGM_RSRC2:TRAP_HANDLER: 0
; COMPUTE_PGM_RSRC2:TGID_X_EN: 1
; COMPUTE_PGM_RSRC2:TGID_Y_EN: 0
; COMPUTE_PGM_RSRC2:TGID_Z_EN: 1
; COMPUTE_PGM_RSRC2:TIDIG_COMP_CNT: 1
	.section	.text._ZL30rocblas_trmm_outofplace_kernelI19rocblas_complex_numIfELi32ELi2ELb1ELb0ELb0ELb0EPKS1_S2_S1_Ev17rocblas_diagonal_iiT6_lPT7_lllS7_lllPT8_llli,"axG",@progbits,_ZL30rocblas_trmm_outofplace_kernelI19rocblas_complex_numIfELi32ELi2ELb1ELb0ELb0ELb0EPKS1_S2_S1_Ev17rocblas_diagonal_iiT6_lPT7_lllS7_lllPT8_llli,comdat
	.globl	_ZL30rocblas_trmm_outofplace_kernelI19rocblas_complex_numIfELi32ELi2ELb1ELb0ELb0ELb0EPKS1_S2_S1_Ev17rocblas_diagonal_iiT6_lPT7_lllS7_lllPT8_llli ; -- Begin function _ZL30rocblas_trmm_outofplace_kernelI19rocblas_complex_numIfELi32ELi2ELb1ELb0ELb0ELb0EPKS1_S2_S1_Ev17rocblas_diagonal_iiT6_lPT7_lllS7_lllPT8_llli
	.p2align	8
	.type	_ZL30rocblas_trmm_outofplace_kernelI19rocblas_complex_numIfELi32ELi2ELb1ELb0ELb0ELb0EPKS1_S2_S1_Ev17rocblas_diagonal_iiT6_lPT7_lllS7_lllPT8_llli,@function
_ZL30rocblas_trmm_outofplace_kernelI19rocblas_complex_numIfELi32ELi2ELb1ELb0ELb0ELb0EPKS1_S2_S1_Ev17rocblas_diagonal_iiT6_lPT7_lllS7_lllPT8_llli: ; @_ZL30rocblas_trmm_outofplace_kernelI19rocblas_complex_numIfELi32ELi2ELb1ELb0ELb0ELb0EPKS1_S2_S1_Ev17rocblas_diagonal_iiT6_lPT7_lllS7_lllPT8_llli
; %bb.0:
	s_load_dwordx16 s[12:27], s[4:5], 0x10
	s_waitcnt lgkmcnt(0)
	s_mul_i32 s0, s15, s8
	s_mul_hi_u32 s1, s14, s8
	s_add_i32 s1, s1, s0
	s_mul_i32 s0, s14, s8
	s_lshl_b64 s[0:1], s[0:1], 3
	s_add_u32 s0, s12, s0
	s_addc_u32 s1, s13, s1
	s_load_dwordx2 s[10:11], s[0:1], 0x0
	s_waitcnt lgkmcnt(0)
	s_or_b32 s0, s10, s11
	s_bitset0_b32 s0, 31
	s_cmp_eq_u32 s0, 0
	s_cbranch_scc1 .LBB72_63
; %bb.1:
	s_load_dwordx4 s[12:15], s[4:5], 0x0
	s_waitcnt lgkmcnt(0)
	s_add_i32 s0, s14, -1
	s_ashr_i32 s1, s0, 31
	s_lshr_b32 s1, s1, 27
	s_add_i32 s0, s0, s1
	s_ashr_i32 s15, s0, 5
	s_cmp_gt_i32 s7, s15
	s_cbranch_scc1 .LBB72_63
; %bb.2:
	s_clause 0x1
	s_load_dwordx4 s[28:31], s[4:5], 0x70
	s_load_dwordx8 s[36:43], s[4:5], 0x50
	s_mul_i32 s1, s23, s8
	s_mul_hi_u32 s2, s22, s8
	s_mul_i32 s0, s22, s8
	s_add_i32 s1, s2, s1
	s_load_dword s33, s[4:5], 0x8c
	s_lshl_b64 s[34:35], s[0:1], 3
	v_mad_u64_u32 v[2:3], null, s20, v1, 0
	s_add_u32 s0, s16, s34
	s_addc_u32 s1, s17, s35
	s_lshl_b64 s[46:47], s[18:19], 3
	v_lshl_add_u32 v5, v1, 3, 0x80
	s_add_u32 s2, s0, s46
	s_addc_u32 s3, s1, s47
	v_mad_u64_u32 v[3:4], null, s21, v1, v[3:4]
	v_lshlrev_b32_e32 v4, 8, v1
	v_lshlrev_b32_e32 v42, 3, v0
	s_waitcnt lgkmcnt(0)
	s_mul_i32 s1, s31, s8
	s_mul_hi_u32 s4, s30, s8
	s_mul_i32 s0, s30, s8
	s_add_i32 s1, s4, s1
	v_lshlrev_b64 v[2:3], 3, v[2:3]
	s_lshl_b64 s[0:1], s[0:1], 3
	v_add_nc_u32_e32 v43, v42, v4
	s_add_u32 s4, s40, s0
	s_addc_u32 s5, s41, s1
	s_lshl_b64 s[0:1], s[42:43], 3
	v_add_co_u32 v14, vcc_lo, s2, v2
	s_add_u32 s40, s4, s0
	s_addc_u32 s41, s5, s1
	s_lshl_b32 s42, s6, 5
	s_cmp_gt_i32 s6, -1
	v_add_nc_u32_e32 v12, s42, v0
	s_cselect_b32 s43, -1, 0
	s_cmpk_eq_i32 s12, 0x84
	v_add_co_ci_u32_e64 v15, null, s3, v3, vcc_lo
	s_cselect_b32 s44, -1, 0
	s_ashr_i32 s19, s13, 31
	s_ashr_i32 s45, s14, 31
	s_lshl_b64 s[22:23], s[20:21], 8
	s_add_u32 s30, s13, -16
	s_addc_u32 s31, s19, -1
	s_add_u32 s4, s16, s46
	s_addc_u32 s5, s17, s47
	s_add_u32 s4, s4, s34
	s_addc_u32 s5, s5, s35
	v_ashrrev_i32_e32 v13, 31, v12
	v_mad_u64_u32 v[20:21], null, s20, v5, s[4:5]
	s_mul_i32 s4, s39, s8
	s_mul_hi_u32 s5, s38, s8
	v_add_nc_u32_e32 v44, 0x2000, v4
	s_add_i32 s5, s5, s4
	s_mul_i32 s4, s38, s8
	v_add_co_u32 v16, vcc_lo, v12, 16
	v_mov_b32_e32 v4, v21
	s_lshl_b64 s[4:5], s[4:5], 3
	s_lshl_b64 s[8:9], s[26:27], 3
	v_add_co_ci_u32_e64 v17, null, 0, v13, vcc_lo
	v_add_nc_u32_e32 v2, 16, v12
	v_sub_co_u32 v18, vcc_lo, v12, v1
	s_add_u32 s4, s4, s8
	s_addc_u32 s5, s5, s9
	v_subrev_co_ci_u32_e64 v19, null, 0, v13, vcc_lo
	s_add_u32 s4, s24, s4
	v_mad_u64_u32 v[4:5], null, s21, v5, v[4:5]
	s_addc_u32 s5, s25, s5
	v_add_co_u32 v5, s4, s4, v42
	v_ashrrev_i32_e32 v3, 31, v2
	v_add_co_u32 v22, vcc_lo, v18, 16
	v_add_co_ci_u32_e64 v6, null, s5, 0, s4
	v_add_co_ci_u32_e64 v23, null, 0, v19, vcc_lo
	v_add_co_u32 v24, vcc_lo, v18, -16
	s_mov_b32 s18, s13
	v_add_co_ci_u32_e64 v25, null, -1, v19, vcc_lo
	v_add_co_u32 v28, vcc_lo, 0x80, v5
	v_cmp_le_i64_e64 s1, s[18:19], v[16:17]
	v_lshlrev_b64 v[26:27], 3, v[12:13]
	v_lshlrev_b64 v[32:33], 3, v[2:3]
	v_mov_b32_e32 v11, 0
	v_add_nc_u32_e32 v45, v44, v42
	v_cmp_le_i32_e64 s0, s13, v12
	v_cmp_gt_i32_e64 s2, s13, v12
	v_cmp_gt_i32_e64 s3, s13, v2
	v_mov_b32_e32 v21, v4
	v_add_co_ci_u32_e64 v29, null, 0, v6, vcc_lo
	v_lshl_add_u32 v30, s7, 5, v1
	v_mov_b32_e32 v10, 1.0
	v_add_nc_u32_e32 v46, 0x800, v42
	v_add_nc_u32_e32 v47, 0x1000, v42
	;; [unrolled: 1-line block ×3, first 2 shown]
	s_lshl_b64 s[12:13], s[36:37], 3
	s_lshl_b32 s20, s33, 5
	s_branch .LBB72_4
.LBB72_3:                               ;   in Loop: Header=BB72_4 Depth=1
	s_or_b32 exec_lo, exec_lo, s4
	v_add_nc_u32_e32 v30, s20, v30
	s_add_i32 s7, s33, s7
	s_cmp_le_i32 s7, s15
	s_cbranch_scc0 .LBB72_63
.LBB72_4:                               ; =>This Loop Header: Depth=1
                                        ;     Child Loop BB72_7 Depth 2
	v_lshl_add_u32 v49, s7, 5, v1
	v_mov_b32_e32 v56, v11
	v_mov_b32_e32 v57, v11
	;; [unrolled: 1-line block ×4, first 2 shown]
	v_ashrrev_i32_e32 v50, 31, v49
	v_mov_b32_e32 v52, v11
	v_mov_b32_e32 v53, v11
	;; [unrolled: 1-line block ×4, first 2 shown]
	s_andn2_b32 vcc_lo, exec_lo, s43
	s_cbranch_vccnz .LBB72_55
; %bb.5:                                ;   in Loop: Header=BB72_4 Depth=1
	v_ashrrev_i32_e32 v31, 31, v30
	v_mad_u64_u32 v[34:35], null, s12, v30, v[28:29]
	v_mul_lo_u32 v4, s13, v30
	v_mov_b32_e32 v39, v15
	v_lshlrev_b64 v[2:3], 3, v[30:31]
	v_mul_lo_u32 v7, s12, v31
	v_mov_b32_e32 v41, v21
	v_mov_b32_e32 v31, 0
	;; [unrolled: 1-line block ×4, first 2 shown]
	v_add_co_u32 v5, vcc_lo, 0x80, v2
	v_add_co_ci_u32_e64 v6, null, 0, v3, vcc_lo
	v_sub_co_u32 v2, vcc_lo, s14, v49
	v_mul_lo_u32 v8, s37, v5
	v_mul_lo_u32 v6, s36, v6
	v_mad_u64_u32 v[36:37], null, s36, v5, v[28:29]
	v_sub_co_ci_u32_e64 v3, null, s45, v50, vcc_lo
	v_add3_u32 v35, v4, v35, v7
	v_mov_b32_e32 v51, 0
	v_mov_b32_e32 v53, 0
	v_cmp_lt_i64_e64 s4, 16, v[2:3]
	v_add3_u32 v37, v8, v37, v6
	v_mov_b32_e32 v52, 0
	v_mov_b32_e32 v55, 0
	;; [unrolled: 1-line block ×5, first 2 shown]
	s_mov_b64 s[16:17], 0
	v_cmp_lt_i64_e32 vcc_lo, 0, v[2:3]
	s_branch .LBB72_7
.LBB72_6:                               ;   in Loop: Header=BB72_7 Depth=2
	s_or_b32 exec_lo, exec_lo, s5
	s_waitcnt lgkmcnt(0)
	s_barrier
	buffer_gl0_inv
	ds_read_b128 v[58:61], v44
	ds_read2_b64 v[62:65], v42 offset1:16
	ds_read_b128 v[66:69], v44 offset:4096
	ds_read_b128 v[70:73], v44 offset:16
	;; [unrolled: 1-line block ×4, first 2 shown]
	ds_read2_b64 v[74:77], v42 offset0:32 offset1:48
	ds_read_b128 v[78:81], v44 offset:4112
	v_add_co_u32 v40, s5, v40, s22
	v_add_co_ci_u32_e64 v41, null, s23, v41, s5
	v_add_co_u32 v34, s5, 0x100, v34
	v_add_co_ci_u32_e64 v35, null, 0, v35, s5
	;; [unrolled: 2-line block ×3, first 2 shown]
	v_add_co_u32 v36, s5, 0x100, v36
	s_waitcnt lgkmcnt(6)
	v_mul_f32_e32 v82, v59, v63
	v_mul_f32_e32 v83, v58, v63
	;; [unrolled: 1-line block ×4, first 2 shown]
	s_waitcnt lgkmcnt(5)
	v_mul_f32_e32 v86, v67, v63
	v_mul_f32_e32 v63, v66, v63
	;; [unrolled: 1-line block ×3, first 2 shown]
	v_fma_f32 v82, v58, v62, -v82
	v_fmac_f32_e32 v83, v59, v62
	v_fma_f32 v58, v58, v64, -v84
	v_fmac_f32_e32 v85, v59, v64
	;; [unrolled: 2-line block ×3, first 2 shown]
	v_fma_f32 v62, v66, v64, -v87
	v_mul_f32_e32 v65, v66, v65
	v_add_f32_e32 v58, v54, v58
	v_add_f32_e32 v59, v52, v59
	;; [unrolled: 1-line block ×3, first 2 shown]
	s_waitcnt lgkmcnt(1)
	v_mul_f32_e32 v66, v61, v75
	v_add_f32_e32 v62, v51, v62
	ds_read2_b64 v[51:54], v42 offset0:64 offset1:80
	v_add_f32_e32 v56, v56, v82
	v_fmac_f32_e32 v65, v67, v64
	v_mul_f32_e32 v64, v60, v75
	v_fma_f32 v66, v60, v74, -v66
	v_mul_f32_e32 v67, v61, v77
	v_add_f32_e32 v57, v57, v83
	v_add_f32_e32 v31, v31, v65
	v_fmac_f32_e32 v64, v61, v74
	v_mul_f32_e32 v65, v60, v77
	v_add_f32_e32 v66, v56, v66
	v_fma_f32 v56, v60, v76, -v67
	v_mul_f32_e32 v60, v69, v75
	v_add_f32_e32 v55, v55, v85
	v_add_f32_e32 v64, v57, v64
	v_fmac_f32_e32 v65, v61, v76
	v_mul_f32_e32 v57, v68, v75
	v_add_f32_e32 v61, v58, v56
	v_fma_f32 v56, v68, v74, -v60
	v_mul_f32_e32 v58, v69, v77
	v_add_f32_e32 v60, v55, v65
	v_fmac_f32_e32 v57, v69, v74
	v_mul_f32_e32 v65, v68, v77
	v_add_f32_e32 v59, v59, v56
	v_fma_f32 v55, v68, v76, -v58
	s_waitcnt lgkmcnt(0)
	v_mul_f32_e32 v56, v71, v52
	v_add_f32_e32 v63, v63, v57
	v_fmac_f32_e32 v65, v69, v76
	v_mul_f32_e32 v67, v70, v52
	v_add_f32_e32 v62, v62, v55
	v_fma_f32 v68, v70, v51, -v56
	v_mul_f32_e32 v69, v71, v54
	ds_read2_b64 v[55:58], v42 offset0:96 offset1:112
	v_fmac_f32_e32 v67, v71, v51
	v_add_f32_e32 v31, v31, v65
	v_add_f32_e32 v65, v66, v68
	v_fma_f32 v68, v70, v53, -v69
	v_mul_f32_e32 v66, v70, v54
	v_add_f32_e32 v64, v64, v67
	v_mul_f32_e32 v67, v79, v52
	v_mul_f32_e32 v52, v78, v52
	v_add_f32_e32 v61, v61, v68
	v_mul_f32_e32 v68, v79, v54
	v_fmac_f32_e32 v66, v71, v53
	v_fma_f32 v67, v78, v51, -v67
	v_fmac_f32_e32 v52, v79, v51
	v_mul_f32_e32 v69, v78, v54
	v_fma_f32 v51, v78, v53, -v68
	v_add_f32_e32 v60, v60, v66
	v_add_f32_e32 v66, v59, v67
	;; [unrolled: 1-line block ×3, first 2 shown]
	v_fmac_f32_e32 v69, v79, v53
	s_waitcnt lgkmcnt(0)
	v_mul_f32_e32 v59, v73, v56
	v_add_f32_e32 v67, v62, v51
	ds_read2_b64 v[51:54], v42 offset0:128 offset1:144
	v_mul_f32_e32 v62, v72, v56
	v_mul_f32_e32 v68, v73, v58
	v_fma_f32 v59, v72, v55, -v59
	v_add_f32_e32 v31, v31, v69
	v_mul_f32_e32 v69, v72, v58
	v_fmac_f32_e32 v62, v73, v55
	v_fma_f32 v68, v72, v57, -v68
	v_add_f32_e32 v65, v65, v59
	v_mul_f32_e32 v59, v81, v56
	v_fmac_f32_e32 v69, v73, v57
	v_mul_f32_e32 v56, v80, v56
	v_mul_f32_e32 v71, v81, v58
	v_add_f32_e32 v64, v64, v62
	v_fma_f32 v70, v80, v55, -v59
	v_add_f32_e32 v68, v61, v68
	v_add_f32_e32 v69, v60, v69
	ds_read_b128 v[59:62], v44 offset:4128
	v_fmac_f32_e32 v56, v81, v55
	v_add_f32_e32 v70, v66, v70
	v_mul_f32_e32 v66, v80, v58
	v_fma_f32 v55, v80, v57, -v71
	s_waitcnt lgkmcnt(1)
	v_mul_f32_e32 v58, v7, v52
	v_add_f32_e32 v71, v63, v56
	v_mul_f32_e32 v63, v6, v52
	v_fmac_f32_e32 v66, v81, v57
	v_add_f32_e32 v67, v67, v55
	v_fma_f32 v72, v6, v51, -v58
	ds_read2_b64 v[55:58], v42 offset0:160 offset1:176
	v_fmac_f32_e32 v63, v7, v51
	v_mul_f32_e32 v73, v7, v54
	v_mul_f32_e32 v74, v6, v54
	v_add_f32_e32 v31, v31, v66
	v_add_f32_e32 v72, v65, v72
	;; [unrolled: 1-line block ×3, first 2 shown]
	v_fma_f32 v6, v6, v53, -v73
	ds_read_b128 v[63:66], v44 offset:4144
	s_waitcnt lgkmcnt(2)
	v_mul_f32_e32 v73, v60, v52
	v_fmac_f32_e32 v74, v7, v53
	v_mul_f32_e32 v7, v59, v52
	v_mul_f32_e32 v52, v60, v54
	v_add_f32_e32 v6, v68, v6
	v_fma_f32 v68, v59, v51, -v73
	v_mul_f32_e32 v73, v59, v54
	v_fmac_f32_e32 v7, v60, v51
	v_fma_f32 v51, v59, v53, -v52
	v_add_f32_e32 v69, v69, v74
	v_add_f32_e32 v59, v70, v68
	s_waitcnt lgkmcnt(1)
	v_mul_f32_e32 v52, v9, v56
	v_fmac_f32_e32 v73, v60, v53
	v_add_f32_e32 v60, v67, v51
	v_mul_f32_e32 v70, v9, v58
	v_add_f32_e32 v7, v71, v7
	v_fma_f32 v68, v8, v55, -v52
	ds_read2_b64 v[51:54], v42 offset0:192 offset1:208
	v_mul_f32_e32 v67, v8, v56
	v_mul_f32_e32 v71, v8, v58
	v_fma_f32 v8, v8, v57, -v70
	v_mul_f32_e32 v70, v62, v56
	v_mul_f32_e32 v56, v61, v56
	v_add_f32_e32 v68, v72, v68
	v_fmac_f32_e32 v67, v9, v55
	v_add_f32_e32 v72, v6, v8
	v_fma_f32 v6, v61, v55, -v70
	v_fmac_f32_e32 v56, v62, v55
	v_mul_f32_e32 v8, v62, v58
	v_fmac_f32_e32 v71, v9, v57
	v_mul_f32_e32 v58, v61, v58
	v_add_f32_e32 v59, v59, v6
	v_add_f32_e32 v56, v7, v56
	v_fma_f32 v61, v61, v57, -v8
	ds_read2_b64 v[6:9], v42 offset0:224 offset1:240
	v_add_f32_e32 v55, v69, v71
	v_fmac_f32_e32 v58, v62, v57
	s_waitcnt lgkmcnt(1)
	v_mul_f32_e32 v69, v3, v52
	v_mul_f32_e32 v57, v2, v52
	v_add_f32_e32 v67, v75, v67
	v_add_f32_e32 v60, v60, v61
	v_mul_f32_e32 v62, v3, v54
	v_fma_f32 v61, v2, v51, -v69
	v_fmac_f32_e32 v57, v3, v51
	v_mul_f32_e32 v69, v2, v54
	v_add_f32_e32 v31, v31, v73
	v_fma_f32 v2, v2, v53, -v62
	v_add_f32_e32 v61, v68, v61
	v_add_f32_e32 v62, v67, v57
	v_fmac_f32_e32 v69, v3, v53
	v_mul_f32_e32 v3, v64, v52
	v_mul_f32_e32 v52, v63, v52
	;; [unrolled: 1-line block ×4, first 2 shown]
	s_waitcnt lgkmcnt(0)
	v_mul_f32_e32 v54, v5, v7
	v_fma_f32 v3, v63, v51, -v3
	v_fmac_f32_e32 v52, v64, v51
	v_fma_f32 v51, v63, v53, -v57
	v_add_f32_e32 v31, v31, v58
	v_add_f32_e32 v67, v55, v69
	;; [unrolled: 1-line block ×4, first 2 shown]
	v_fmac_f32_e32 v68, v64, v53
	v_add_f32_e32 v64, v60, v51
	v_fma_f32 v3, v4, v6, -v54
	ds_read_b128 v[51:54], v44 offset:64
	ds_read2_b64 v[55:58], v46 offset1:16
	v_mul_f32_e32 v60, v4, v7
	v_mul_f32_e32 v69, v5, v9
	v_add_f32_e32 v2, v72, v2
	v_add_f32_e32 v31, v31, v68
	v_mul_f32_e32 v68, v4, v9
	v_fmac_f32_e32 v60, v5, v6
	v_add_f32_e32 v70, v61, v3
	v_fma_f32 v3, v4, v8, -v69
	v_mul_f32_e32 v4, v66, v7
	v_mul_f32_e32 v7, v65, v7
	v_mul_f32_e32 v61, v66, v9
	v_add_f32_e32 v69, v62, v60
	v_fmac_f32_e32 v68, v5, v8
	v_add_f32_e32 v71, v2, v3
	v_fma_f32 v60, v65, v6, -v4
	v_fmac_f32_e32 v7, v66, v6
	ds_read_b128 v[2:5], v44 offset:4160
	v_fma_f32 v6, v65, v8, -v61
	v_mul_f32_e32 v65, v65, v9
	s_waitcnt lgkmcnt(1)
	v_mul_f32_e32 v9, v52, v56
	v_add_f32_e32 v72, v63, v7
	v_mul_f32_e32 v63, v51, v56
	v_add_f32_e32 v73, v64, v6
	v_fmac_f32_e32 v65, v66, v8
	v_fma_f32 v64, v51, v55, -v9
	ds_read2_b64 v[6:9], v46 offset0:32 offset1:48
	v_mul_f32_e32 v66, v52, v58
	v_mul_f32_e32 v74, v51, v58
	v_add_f32_e32 v67, v67, v68
	v_add_f32_e32 v68, v59, v60
	ds_read_b128 v[59:62], v44 offset:80
	v_fmac_f32_e32 v63, v52, v55
	v_fma_f32 v51, v51, v57, -v66
	v_fmac_f32_e32 v74, v52, v57
	v_add_f32_e32 v70, v70, v64
	v_add_f32_e32 v31, v31, v65
	s_waitcnt lgkmcnt(2)
	v_mul_f32_e32 v75, v3, v56
	v_mul_f32_e32 v52, v2, v56
	;; [unrolled: 1-line block ×3, first 2 shown]
	v_add_f32_e32 v51, v71, v51
	v_add_f32_e32 v67, v67, v74
	v_fma_f32 v71, v2, v55, -v75
	v_fmac_f32_e32 v52, v3, v55
	v_mul_f32_e32 v74, v2, v58
	v_fma_f32 v2, v2, v57, -v56
	s_waitcnt lgkmcnt(1)
	v_mul_f32_e32 v55, v54, v7
	v_add_f32_e32 v68, v68, v71
	v_add_f32_e32 v52, v72, v52
	v_fmac_f32_e32 v74, v3, v57
	v_add_f32_e32 v71, v73, v2
	v_mul_f32_e32 v2, v53, v7
	v_fma_f32 v3, v53, v6, -v55
	ds_read2_b64 v[55:58], v46 offset0:64 offset1:80
	v_mul_f32_e32 v72, v54, v9
	v_add_f32_e32 v69, v69, v63
	v_fmac_f32_e32 v2, v54, v6
	v_add_f32_e32 v70, v70, v3
	v_mul_f32_e32 v3, v53, v9
	v_fma_f32 v53, v53, v8, -v72
	v_mul_f32_e32 v72, v5, v7
	v_mul_f32_e32 v7, v4, v7
	ds_read_b128 v[63:66], v44 offset:4176
	v_add_f32_e32 v69, v69, v2
	v_fmac_f32_e32 v3, v54, v8
	v_fma_f32 v2, v4, v6, -v72
	v_fmac_f32_e32 v7, v5, v6
	v_mul_f32_e32 v6, v5, v9
	v_mul_f32_e32 v9, v4, v9
	v_add_f32_e32 v51, v51, v53
	v_add_f32_e32 v53, v67, v3
	;; [unrolled: 1-line block ×3, first 2 shown]
	v_fma_f32 v6, v4, v8, -v6
	v_fmac_f32_e32 v9, v5, v8
	ds_read2_b64 v[2:5], v46 offset0:96 offset1:112
	v_add_f32_e32 v31, v31, v74
	v_add_f32_e32 v7, v52, v7
	s_waitcnt lgkmcnt(2)
	v_mul_f32_e32 v52, v60, v56
	v_mul_f32_e32 v8, v59, v56
	;; [unrolled: 1-line block ×3, first 2 shown]
	v_add_f32_e32 v31, v31, v9
	v_mul_f32_e32 v68, v59, v58
	v_fma_f32 v52, v59, v55, -v52
	v_fmac_f32_e32 v8, v60, v55
	v_fma_f32 v9, v59, v57, -v67
	v_add_f32_e32 v6, v71, v6
	v_fmac_f32_e32 v68, v60, v57
	v_add_f32_e32 v70, v70, v52
	v_add_f32_e32 v59, v69, v8
	s_waitcnt lgkmcnt(1)
	v_mul_f32_e32 v8, v64, v56
	v_mul_f32_e32 v52, v63, v56
	v_add_f32_e32 v56, v51, v9
	v_mul_f32_e32 v9, v64, v58
	v_add_f32_e32 v60, v53, v68
	v_fma_f32 v8, v63, v55, -v8
	v_fmac_f32_e32 v52, v64, v55
	v_mul_f32_e32 v55, v63, v58
	v_fma_f32 v9, v63, v57, -v9
	s_waitcnt lgkmcnt(0)
	v_mul_f32_e32 v51, v62, v3
	v_add_f32_e32 v63, v54, v8
	v_add_f32_e32 v67, v7, v52
	v_fmac_f32_e32 v55, v64, v57
	v_add_f32_e32 v64, v6, v9
	v_fma_f32 v57, v61, v2, -v51
	ds_read_b128 v[6:9], v44 offset:96
	ds_read2_b64 v[51:54], v46 offset0:128 offset1:144
	v_mul_f32_e32 v58, v61, v3
	v_mul_f32_e32 v68, v62, v5
	v_add_f32_e32 v31, v31, v55
	v_mul_f32_e32 v55, v61, v5
	v_add_f32_e32 v69, v70, v57
	v_fmac_f32_e32 v58, v62, v2
	v_fma_f32 v57, v61, v4, -v68
	v_mul_f32_e32 v61, v66, v3
	v_fmac_f32_e32 v55, v62, v4
	v_mul_f32_e32 v3, v65, v3
	v_add_f32_e32 v68, v59, v58
	v_add_f32_e32 v70, v56, v57
	v_fma_f32 v59, v65, v2, -v61
	v_mul_f32_e32 v61, v66, v5
	v_add_f32_e32 v71, v60, v55
	v_fmac_f32_e32 v3, v66, v2
	ds_read_b128 v[55:58], v44 offset:4192
	v_add_f32_e32 v72, v63, v59
	v_fma_f32 v2, v65, v4, -v61
	v_mul_f32_e32 v63, v65, v5
	s_waitcnt lgkmcnt(1)
	v_mul_f32_e32 v5, v7, v52
	v_add_f32_e32 v67, v67, v3
	v_mul_f32_e32 v65, v6, v52
	v_add_f32_e32 v73, v64, v2
	v_fmac_f32_e32 v63, v66, v4
	v_fma_f32 v64, v6, v51, -v5
	ds_read2_b64 v[2:5], v46 offset0:160 offset1:176
	v_mul_f32_e32 v66, v7, v54
	v_mul_f32_e32 v74, v6, v54
	ds_read_b128 v[59:62], v44 offset:112
	v_fmac_f32_e32 v65, v7, v51
	v_add_f32_e32 v69, v69, v64
	v_fma_f32 v6, v6, v53, -v66
	v_fmac_f32_e32 v74, v7, v53
	v_add_f32_e32 v31, v31, v63
	v_add_f32_e32 v68, v68, v65
	s_waitcnt lgkmcnt(2)
	v_mul_f32_e32 v75, v56, v52
	v_mul_f32_e32 v7, v55, v52
	v_mul_f32_e32 v52, v56, v54
	v_add_f32_e32 v6, v70, v6
	v_add_f32_e32 v71, v71, v74
	v_fma_f32 v70, v55, v51, -v75
	v_fmac_f32_e32 v7, v56, v51
	v_mul_f32_e32 v74, v55, v54
	v_fma_f32 v51, v55, v53, -v52
	ds_read_b128 v[63:66], v44 offset:4208
	s_waitcnt lgkmcnt(2)
	v_mul_f32_e32 v52, v9, v3
	v_add_f32_e32 v55, v72, v70
	v_fmac_f32_e32 v74, v56, v53
	v_add_f32_e32 v56, v73, v51
	v_add_f32_e32 v7, v67, v7
	v_fma_f32 v70, v8, v2, -v52
	ds_read2_b64 v[51:54], v46 offset0:192 offset1:208
	v_mul_f32_e32 v67, v8, v3
	v_mul_f32_e32 v72, v9, v5
	v_add_f32_e32 v31, v31, v74
	v_add_f32_e32 v69, v69, v70
	v_mul_f32_e32 v70, v8, v5
	v_fmac_f32_e32 v67, v9, v2
	v_fma_f32 v8, v8, v4, -v72
	v_mul_f32_e32 v72, v58, v3
	v_mul_f32_e32 v3, v57, v3
	v_fmac_f32_e32 v70, v9, v4
	v_add_f32_e32 v67, v68, v67
	v_add_f32_e32 v6, v6, v8
	v_fma_f32 v8, v57, v2, -v72
	v_fmac_f32_e32 v3, v58, v2
	v_mul_f32_e32 v2, v58, v5
	v_mul_f32_e32 v68, v57, v5
	v_add_f32_e32 v9, v71, v70
	v_add_f32_e32 v8, v55, v8
	;; [unrolled: 1-line block ×3, first 2 shown]
	v_fma_f32 v55, v57, v4, -v2
	s_waitcnt lgkmcnt(0)
	v_mul_f32_e32 v57, v60, v52
	v_fmac_f32_e32 v68, v58, v4
	ds_read2_b64 v[2:5], v46 offset0:224 offset1:240
	v_mul_f32_e32 v70, v59, v54
	v_add_f32_e32 v55, v56, v55
	v_fma_f32 v56, v59, v51, -v57
	v_mul_f32_e32 v57, v60, v54
	v_mul_f32_e32 v58, v59, v52
	v_fmac_f32_e32 v70, v60, v53
	v_add_f32_e32 v31, v31, v68
	v_add_f32_e32 v56, v69, v56
	v_fma_f32 v57, v59, v53, -v57
	v_mul_f32_e32 v59, v64, v52
	v_mul_f32_e32 v52, v63, v52
	v_fmac_f32_e32 v58, v60, v51
	v_add_f32_e32 v60, v9, v70
	v_add_f32_e32 v57, v6, v57
	v_mul_f32_e32 v6, v64, v54
	v_fma_f32 v9, v63, v51, -v59
	v_fmac_f32_e32 v52, v64, v51
	v_mul_f32_e32 v59, v63, v54
	v_add_f32_e32 v58, v67, v58
	v_fma_f32 v6, v63, v53, -v6
	s_waitcnt lgkmcnt(0)
	v_mul_f32_e32 v51, v62, v3
	v_add_f32_e32 v63, v8, v9
	v_add_f32_e32 v67, v7, v52
	v_fmac_f32_e32 v59, v64, v53
	v_add_f32_e32 v64, v55, v6
	v_fma_f32 v55, v61, v2, -v51
	ds_read_b128 v[6:9], v44 offset:128
	ds_read2_b64 v[51:54], v47 offset1:16
	v_mul_f32_e32 v68, v61, v3
	v_mul_f32_e32 v69, v62, v5
	v_add_f32_e32 v31, v31, v59
	v_mul_f32_e32 v59, v61, v5
	v_add_f32_e32 v70, v56, v55
	v_mul_f32_e32 v56, v66, v3
	v_fmac_f32_e32 v68, v62, v2
	v_fma_f32 v55, v61, v4, -v69
	v_fmac_f32_e32 v59, v62, v4
	v_mul_f32_e32 v3, v65, v3
	v_fma_f32 v61, v65, v2, -v56
	v_mul_f32_e32 v62, v66, v5
	v_add_f32_e32 v68, v58, v68
	v_add_f32_e32 v69, v57, v55
	v_fmac_f32_e32 v3, v66, v2
	ds_read_b128 v[55:58], v44 offset:4224
	v_add_f32_e32 v72, v63, v61
	v_fma_f32 v2, v65, v4, -v62
	v_mul_f32_e32 v63, v65, v5
	s_waitcnt lgkmcnt(1)
	v_mul_f32_e32 v5, v7, v52
	v_add_f32_e32 v67, v67, v3
	v_mul_f32_e32 v65, v6, v52
	v_add_f32_e32 v73, v64, v2
	v_fmac_f32_e32 v63, v66, v4
	v_fma_f32 v64, v6, v51, -v5
	ds_read2_b64 v[2:5], v47 offset0:32 offset1:48
	v_mul_f32_e32 v66, v7, v54
	v_mul_f32_e32 v74, v6, v54
	v_add_f32_e32 v71, v60, v59
	ds_read_b128 v[59:62], v44 offset:144
	v_fmac_f32_e32 v65, v7, v51
	v_fma_f32 v6, v6, v53, -v66
	v_fmac_f32_e32 v74, v7, v53
	v_add_f32_e32 v70, v70, v64
	v_add_f32_e32 v31, v31, v63
	s_waitcnt lgkmcnt(2)
	v_mul_f32_e32 v75, v56, v52
	v_mul_f32_e32 v7, v55, v52
	;; [unrolled: 1-line block ×3, first 2 shown]
	v_add_f32_e32 v6, v69, v6
	v_add_f32_e32 v71, v71, v74
	v_fma_f32 v69, v55, v51, -v75
	v_fmac_f32_e32 v7, v56, v51
	v_mul_f32_e32 v74, v55, v54
	v_fma_f32 v51, v55, v53, -v52
	v_add_f32_e32 v68, v68, v65
	s_waitcnt lgkmcnt(1)
	v_mul_f32_e32 v52, v9, v3
	v_add_f32_e32 v55, v72, v69
	v_fmac_f32_e32 v74, v56, v53
	v_add_f32_e32 v56, v73, v51
	v_add_f32_e32 v7, v67, v7
	v_fma_f32 v69, v8, v2, -v52
	ds_read2_b64 v[51:54], v47 offset0:64 offset1:80
	v_mul_f32_e32 v67, v8, v3
	v_mul_f32_e32 v72, v9, v5
	ds_read_b128 v[63:66], v44 offset:4240
	v_add_f32_e32 v69, v70, v69
	v_mul_f32_e32 v70, v8, v5
	v_fmac_f32_e32 v67, v9, v2
	v_fma_f32 v8, v8, v4, -v72
	v_mul_f32_e32 v72, v58, v3
	v_mul_f32_e32 v3, v57, v3
	v_fmac_f32_e32 v70, v9, v4
	v_add_f32_e32 v67, v68, v67
	v_add_f32_e32 v6, v6, v8
	v_fma_f32 v8, v57, v2, -v72
	v_fmac_f32_e32 v3, v58, v2
	v_mul_f32_e32 v2, v58, v5
	v_mul_f32_e32 v68, v57, v5
	v_add_f32_e32 v9, v71, v70
	v_add_f32_e32 v8, v55, v8
	;; [unrolled: 1-line block ×3, first 2 shown]
	v_fma_f32 v55, v57, v4, -v2
	s_waitcnt lgkmcnt(1)
	v_mul_f32_e32 v57, v60, v52
	v_fmac_f32_e32 v68, v58, v4
	ds_read2_b64 v[2:5], v47 offset0:96 offset1:112
	v_mul_f32_e32 v70, v59, v54
	v_add_f32_e32 v55, v56, v55
	v_fma_f32 v56, v59, v51, -v57
	v_mul_f32_e32 v57, v60, v54
	v_mul_f32_e32 v58, v59, v52
	v_fmac_f32_e32 v70, v60, v53
	v_add_f32_e32 v31, v31, v74
	v_add_f32_e32 v56, v69, v56
	v_fma_f32 v57, v59, v53, -v57
	s_waitcnt lgkmcnt(1)
	v_mul_f32_e32 v59, v64, v52
	v_mul_f32_e32 v52, v63, v52
	v_fmac_f32_e32 v58, v60, v51
	v_add_f32_e32 v60, v9, v70
	v_add_f32_e32 v57, v6, v57
	v_mul_f32_e32 v6, v64, v54
	v_fma_f32 v9, v63, v51, -v59
	v_fmac_f32_e32 v52, v64, v51
	v_mul_f32_e32 v59, v63, v54
	v_add_f32_e32 v58, v67, v58
	v_fma_f32 v6, v63, v53, -v6
	s_waitcnt lgkmcnt(0)
	v_mul_f32_e32 v51, v62, v3
	v_add_f32_e32 v63, v8, v9
	v_add_f32_e32 v67, v7, v52
	v_fmac_f32_e32 v59, v64, v53
	v_add_f32_e32 v64, v55, v6
	v_fma_f32 v55, v61, v2, -v51
	ds_read_b128 v[6:9], v44 offset:160
	ds_read2_b64 v[51:54], v47 offset0:128 offset1:144
	v_add_f32_e32 v31, v31, v68
	v_mul_f32_e32 v68, v61, v3
	v_mul_f32_e32 v69, v62, v5
	v_add_f32_e32 v70, v56, v55
	v_mul_f32_e32 v56, v66, v3
	v_add_f32_e32 v31, v31, v59
	v_mul_f32_e32 v59, v61, v5
	v_fmac_f32_e32 v68, v62, v2
	v_fma_f32 v55, v61, v4, -v69
	v_mul_f32_e32 v3, v65, v3
	v_fma_f32 v61, v65, v2, -v56
	v_fmac_f32_e32 v59, v62, v4
	v_mul_f32_e32 v62, v66, v5
	v_add_f32_e32 v68, v58, v68
	v_add_f32_e32 v69, v57, v55
	v_fmac_f32_e32 v3, v66, v2
	ds_read_b128 v[55:58], v44 offset:4256
	v_add_f32_e32 v72, v63, v61
	v_fma_f32 v2, v65, v4, -v62
	v_mul_f32_e32 v63, v65, v5
	s_waitcnt lgkmcnt(1)
	v_mul_f32_e32 v5, v7, v52
	v_add_f32_e32 v67, v67, v3
	v_mul_f32_e32 v65, v6, v52
	v_add_f32_e32 v73, v64, v2
	v_fmac_f32_e32 v63, v66, v4
	v_fma_f32 v64, v6, v51, -v5
	ds_read2_b64 v[2:5], v47 offset0:160 offset1:176
	v_mul_f32_e32 v66, v7, v54
	v_mul_f32_e32 v74, v6, v54
	v_add_f32_e32 v71, v60, v59
	ds_read_b128 v[59:62], v44 offset:176
	v_fmac_f32_e32 v65, v7, v51
	v_fma_f32 v6, v6, v53, -v66
	v_fmac_f32_e32 v74, v7, v53
	v_add_f32_e32 v70, v70, v64
	v_add_f32_e32 v31, v31, v63
	s_waitcnt lgkmcnt(2)
	v_mul_f32_e32 v75, v56, v52
	v_mul_f32_e32 v7, v55, v52
	;; [unrolled: 1-line block ×3, first 2 shown]
	v_add_f32_e32 v6, v69, v6
	v_add_f32_e32 v71, v71, v74
	v_fma_f32 v69, v55, v51, -v75
	v_fmac_f32_e32 v7, v56, v51
	v_mul_f32_e32 v74, v55, v54
	v_fma_f32 v51, v55, v53, -v52
	v_add_f32_e32 v68, v68, v65
	s_waitcnt lgkmcnt(1)
	v_mul_f32_e32 v52, v9, v3
	v_add_f32_e32 v55, v72, v69
	v_fmac_f32_e32 v74, v56, v53
	v_add_f32_e32 v56, v73, v51
	v_add_f32_e32 v7, v67, v7
	v_fma_f32 v69, v8, v2, -v52
	ds_read2_b64 v[51:54], v47 offset0:192 offset1:208
	v_mul_f32_e32 v67, v8, v3
	v_mul_f32_e32 v72, v9, v5
	ds_read_b128 v[63:66], v44 offset:4272
	v_add_f32_e32 v69, v70, v69
	v_mul_f32_e32 v70, v8, v5
	v_fmac_f32_e32 v67, v9, v2
	v_fma_f32 v8, v8, v4, -v72
	v_mul_f32_e32 v72, v58, v3
	v_mul_f32_e32 v3, v57, v3
	v_fmac_f32_e32 v70, v9, v4
	v_add_f32_e32 v67, v68, v67
	v_add_f32_e32 v6, v6, v8
	v_fma_f32 v8, v57, v2, -v72
	v_fmac_f32_e32 v3, v58, v2
	v_mul_f32_e32 v2, v58, v5
	v_mul_f32_e32 v68, v57, v5
	v_add_f32_e32 v9, v71, v70
	v_add_f32_e32 v8, v55, v8
	;; [unrolled: 1-line block ×3, first 2 shown]
	v_fma_f32 v55, v57, v4, -v2
	s_waitcnt lgkmcnt(1)
	v_mul_f32_e32 v57, v60, v52
	v_fmac_f32_e32 v68, v58, v4
	ds_read2_b64 v[2:5], v47 offset0:224 offset1:240
	v_mul_f32_e32 v70, v59, v54
	v_add_f32_e32 v55, v56, v55
	v_fma_f32 v56, v59, v51, -v57
	v_mul_f32_e32 v57, v60, v54
	v_mul_f32_e32 v58, v59, v52
	v_fmac_f32_e32 v70, v60, v53
	v_add_f32_e32 v31, v31, v74
	v_add_f32_e32 v56, v69, v56
	v_fma_f32 v57, v59, v53, -v57
	s_waitcnt lgkmcnt(1)
	v_mul_f32_e32 v59, v64, v52
	v_mul_f32_e32 v52, v63, v52
	v_fmac_f32_e32 v58, v60, v51
	v_add_f32_e32 v60, v9, v70
	v_add_f32_e32 v57, v6, v57
	v_mul_f32_e32 v6, v64, v54
	v_fma_f32 v9, v63, v51, -v59
	v_fmac_f32_e32 v52, v64, v51
	v_mul_f32_e32 v59, v63, v54
	v_add_f32_e32 v58, v67, v58
	v_fma_f32 v6, v63, v53, -v6
	s_waitcnt lgkmcnt(0)
	v_mul_f32_e32 v51, v62, v3
	v_add_f32_e32 v63, v8, v9
	v_add_f32_e32 v67, v7, v52
	v_fmac_f32_e32 v59, v64, v53
	v_add_f32_e32 v64, v55, v6
	v_fma_f32 v55, v61, v2, -v51
	ds_read_b128 v[6:9], v44 offset:192
	ds_read2_b64 v[51:54], v48 offset1:16
	v_add_f32_e32 v31, v31, v68
	v_mul_f32_e32 v68, v61, v3
	v_mul_f32_e32 v69, v62, v5
	v_add_f32_e32 v70, v56, v55
	v_mul_f32_e32 v56, v66, v3
	v_add_f32_e32 v31, v31, v59
	v_mul_f32_e32 v59, v61, v5
	v_fmac_f32_e32 v68, v62, v2
	v_fma_f32 v55, v61, v4, -v69
	v_mul_f32_e32 v3, v65, v3
	v_fma_f32 v61, v65, v2, -v56
	v_fmac_f32_e32 v59, v62, v4
	v_mul_f32_e32 v62, v66, v5
	v_add_f32_e32 v68, v58, v68
	v_add_f32_e32 v69, v57, v55
	v_fmac_f32_e32 v3, v66, v2
	ds_read_b128 v[55:58], v44 offset:4288
	v_add_f32_e32 v72, v63, v61
	v_fma_f32 v2, v65, v4, -v62
	v_mul_f32_e32 v63, v65, v5
	s_waitcnt lgkmcnt(1)
	v_mul_f32_e32 v5, v7, v52
	v_add_f32_e32 v67, v67, v3
	v_mul_f32_e32 v65, v6, v52
	v_add_f32_e32 v73, v64, v2
	v_fmac_f32_e32 v63, v66, v4
	v_fma_f32 v64, v6, v51, -v5
	ds_read2_b64 v[2:5], v48 offset0:32 offset1:48
	v_mul_f32_e32 v66, v7, v54
	v_mul_f32_e32 v74, v6, v54
	v_add_f32_e32 v71, v60, v59
	ds_read_b128 v[59:62], v44 offset:208
	v_fmac_f32_e32 v65, v7, v51
	v_fma_f32 v6, v6, v53, -v66
	v_fmac_f32_e32 v74, v7, v53
	v_add_f32_e32 v70, v70, v64
	v_add_f32_e32 v31, v31, v63
	s_waitcnt lgkmcnt(2)
	v_mul_f32_e32 v75, v56, v52
	v_mul_f32_e32 v7, v55, v52
	;; [unrolled: 1-line block ×3, first 2 shown]
	v_add_f32_e32 v6, v69, v6
	v_add_f32_e32 v71, v71, v74
	v_fma_f32 v69, v55, v51, -v75
	v_fmac_f32_e32 v7, v56, v51
	v_mul_f32_e32 v74, v55, v54
	v_fma_f32 v51, v55, v53, -v52
	v_add_f32_e32 v68, v68, v65
	s_waitcnt lgkmcnt(1)
	v_mul_f32_e32 v52, v9, v3
	v_add_f32_e32 v55, v72, v69
	v_fmac_f32_e32 v74, v56, v53
	v_add_f32_e32 v56, v73, v51
	v_add_f32_e32 v7, v67, v7
	v_fma_f32 v69, v8, v2, -v52
	ds_read2_b64 v[51:54], v48 offset0:64 offset1:80
	v_mul_f32_e32 v67, v8, v3
	v_mul_f32_e32 v72, v9, v5
	ds_read_b128 v[63:66], v44 offset:4304
	v_add_f32_e32 v69, v70, v69
	v_mul_f32_e32 v70, v8, v5
	v_fmac_f32_e32 v67, v9, v2
	v_fma_f32 v8, v8, v4, -v72
	v_mul_f32_e32 v72, v58, v3
	v_mul_f32_e32 v3, v57, v3
	v_fmac_f32_e32 v70, v9, v4
	v_add_f32_e32 v67, v68, v67
	v_add_f32_e32 v6, v6, v8
	v_fma_f32 v8, v57, v2, -v72
	v_fmac_f32_e32 v3, v58, v2
	v_mul_f32_e32 v2, v58, v5
	v_mul_f32_e32 v68, v57, v5
	v_add_f32_e32 v9, v71, v70
	v_add_f32_e32 v8, v55, v8
	;; [unrolled: 1-line block ×3, first 2 shown]
	v_fma_f32 v55, v57, v4, -v2
	s_waitcnt lgkmcnt(1)
	v_mul_f32_e32 v57, v60, v52
	v_fmac_f32_e32 v68, v58, v4
	ds_read2_b64 v[2:5], v48 offset0:96 offset1:112
	v_mul_f32_e32 v70, v59, v54
	v_add_f32_e32 v55, v56, v55
	v_fma_f32 v56, v59, v51, -v57
	v_mul_f32_e32 v57, v60, v54
	v_mul_f32_e32 v58, v59, v52
	v_fmac_f32_e32 v70, v60, v53
	v_add_f32_e32 v31, v31, v74
	v_add_f32_e32 v56, v69, v56
	v_fma_f32 v57, v59, v53, -v57
	s_waitcnt lgkmcnt(1)
	v_mul_f32_e32 v59, v64, v52
	v_mul_f32_e32 v52, v63, v52
	v_fmac_f32_e32 v58, v60, v51
	v_add_f32_e32 v60, v9, v70
	v_add_f32_e32 v57, v6, v57
	v_mul_f32_e32 v6, v64, v54
	v_fma_f32 v9, v63, v51, -v59
	v_fmac_f32_e32 v52, v64, v51
	v_mul_f32_e32 v59, v63, v54
	v_add_f32_e32 v31, v31, v68
	v_fma_f32 v6, v63, v53, -v6
	s_waitcnt lgkmcnt(0)
	v_mul_f32_e32 v51, v62, v3
	v_add_f32_e32 v58, v67, v58
	v_add_f32_e32 v63, v8, v9
	v_add_f32_e32 v67, v7, v52
	v_fmac_f32_e32 v59, v64, v53
	v_add_f32_e32 v64, v55, v6
	v_fma_f32 v55, v61, v2, -v51
	ds_read_b128 v[6:9], v44 offset:224
	ds_read2_b64 v[51:54], v48 offset0:128 offset1:144
	v_mul_f32_e32 v68, v61, v3
	v_mul_f32_e32 v69, v62, v5
	v_add_f32_e32 v31, v31, v59
	v_mul_f32_e32 v59, v61, v5
	s_add_u32 s16, s16, 32
	v_fmac_f32_e32 v68, v62, v2
	v_fma_f32 v61, v61, v4, -v69
	v_add_f32_e32 v69, v56, v55
	v_mul_f32_e32 v55, v66, v3
	v_fmac_f32_e32 v59, v62, v4
	v_add_f32_e32 v68, v58, v68
	v_add_f32_e32 v70, v57, v61
	v_mul_f32_e32 v3, v65, v3
	v_fma_f32 v61, v65, v2, -v55
	v_add_f32_e32 v71, v60, v59
	v_mul_f32_e32 v59, v66, v5
	ds_read_b128 v[55:58], v44 offset:4320
	v_fmac_f32_e32 v3, v66, v2
	v_add_f32_e32 v72, v63, v61
	v_mul_f32_e32 v63, v65, v5
	v_fma_f32 v2, v65, v4, -v59
	s_waitcnt lgkmcnt(1)
	v_mul_f32_e32 v5, v7, v52
	v_add_f32_e32 v67, v67, v3
	v_mul_f32_e32 v65, v7, v54
	v_fmac_f32_e32 v63, v66, v4
	v_add_f32_e32 v73, v64, v2
	v_fma_f32 v64, v6, v51, -v5
	ds_read2_b64 v[2:5], v48 offset0:160 offset1:176
	ds_read_b128 v[59:62], v44 offset:240
	v_mul_f32_e32 v74, v6, v52
	v_mul_f32_e32 v75, v6, v54
	v_fma_f32 v6, v6, v53, -v65
	v_add_f32_e32 v69, v69, v64
	v_add_f32_e32 v31, v31, v63
	v_fmac_f32_e32 v74, v7, v51
	v_fmac_f32_e32 v75, v7, v53
	s_waitcnt lgkmcnt(2)
	v_mul_f32_e32 v76, v56, v52
	v_mul_f32_e32 v7, v55, v52
	v_add_f32_e32 v6, v70, v6
	v_mul_f32_e32 v70, v56, v54
	v_add_f32_e32 v68, v68, v74
	v_fma_f32 v52, v55, v51, -v76
	v_fmac_f32_e32 v7, v56, v51
	v_mul_f32_e32 v74, v55, v54
	v_fma_f32 v51, v55, v53, -v70
	ds_read_b128 v[63:66], v44 offset:4336
	v_add_f32_e32 v72, v72, v52
	s_waitcnt lgkmcnt(2)
	v_mul_f32_e32 v52, v9, v3
	v_add_f32_e32 v7, v67, v7
	v_fmac_f32_e32 v74, v56, v53
	v_mul_f32_e32 v55, v8, v3
	v_add_f32_e32 v56, v73, v51
	v_fma_f32 v67, v8, v2, -v52
	ds_read2_b64 v[51:54], v48 offset0:192 offset1:208
	v_mul_f32_e32 v70, v9, v5
	v_fmac_f32_e32 v55, v9, v2
	v_add_f32_e32 v71, v71, v75
	v_add_f32_e32 v67, v69, v67
	v_mul_f32_e32 v69, v8, v5
	v_fma_f32 v8, v8, v4, -v70
	v_add_f32_e32 v55, v68, v55
	v_mul_f32_e32 v68, v58, v3
	v_mul_f32_e32 v3, v57, v3
	v_fmac_f32_e32 v69, v9, v4
	v_add_f32_e32 v6, v6, v8
	v_mul_f32_e32 v8, v58, v5
	v_fma_f32 v9, v57, v2, -v68
	v_fmac_f32_e32 v3, v58, v2
	v_add_f32_e32 v68, v71, v69
	v_mul_f32_e32 v69, v57, v5
	v_fma_f32 v2, v57, v4, -v8
	v_add_f32_e32 v8, v72, v9
	v_add_f32_e32 v7, v7, v3
	s_waitcnt lgkmcnt(0)
	v_mul_f32_e32 v9, v60, v52
	v_fmac_f32_e32 v69, v58, v4
	v_add_f32_e32 v56, v56, v2
	ds_read2_b64 v[2:5], v48 offset0:224 offset1:240
	v_mul_f32_e32 v57, v59, v52
	v_fma_f32 v9, v59, v51, -v9
	v_mul_f32_e32 v58, v60, v54
	v_add_f32_e32 v31, v31, v74
	v_add_co_ci_u32_e64 v37, null, 0, v37, s5
	v_fmac_f32_e32 v57, v60, v51
	v_add_f32_e32 v9, v67, v9
	v_mul_f32_e32 v67, v64, v52
	v_fma_f32 v58, v59, v53, -v58
	v_mul_f32_e32 v52, v63, v52
	v_add_f32_e32 v55, v55, v57
	v_add_f32_e32 v31, v31, v69
	v_fma_f32 v57, v63, v51, -v67
	v_mul_f32_e32 v69, v59, v54
	v_add_f32_e32 v6, v6, v58
	v_mul_f32_e32 v58, v64, v54
	v_fmac_f32_e32 v52, v64, v51
	v_add_f32_e32 v8, v8, v57
	v_mul_f32_e32 v51, v63, v54
	s_waitcnt lgkmcnt(0)
	v_mul_f32_e32 v57, v62, v3
	v_fmac_f32_e32 v69, v60, v53
	v_fma_f32 v54, v63, v53, -v58
	v_add_f32_e32 v7, v7, v52
	v_fmac_f32_e32 v51, v64, v53
	v_fma_f32 v52, v61, v2, -v57
	v_mul_f32_e32 v53, v62, v5
	v_mul_f32_e32 v58, v61, v3
	v_add_f32_e32 v60, v56, v54
	v_mul_f32_e32 v63, v61, v5
	v_add_f32_e32 v31, v31, v51
	v_add_f32_e32 v56, v9, v52
	v_fma_f32 v9, v61, v4, -v53
	v_mul_f32_e32 v51, v66, v3
	v_mul_f32_e32 v3, v65, v3
	;; [unrolled: 1-line block ×4, first 2 shown]
	v_add_f32_e32 v59, v68, v69
	v_fmac_f32_e32 v58, v62, v2
	v_fmac_f32_e32 v63, v62, v4
	v_add_f32_e32 v54, v6, v9
	v_fma_f32 v6, v65, v2, -v51
	v_fmac_f32_e32 v3, v66, v2
	v_fma_f32 v2, v65, v4, -v52
	v_fmac_f32_e32 v5, v66, v4
	v_add_f32_e32 v57, v55, v58
	v_add_f32_e32 v55, v59, v63
	;; [unrolled: 1-line block ×6, first 2 shown]
	s_addc_u32 s17, s17, 0
	s_sub_i32 s6, s16, 32
	s_cmp_ge_i32 s6, s42
	s_barrier
	buffer_gl0_inv
	s_cbranch_scc1 .LBB72_55
.LBB72_7:                               ;   Parent Loop BB72_4 Depth=1
                                        ; =>  This Inner Loop Header: Depth=2
	v_add_co_u32 v2, s5, v1, s16
	v_add_co_ci_u32_e64 v3, null, 0, s17, s5
	v_cmp_eq_u64_e64 s8, s[16:17], v[18:19]
	v_cmp_le_i64_e64 s6, s[18:19], v[2:3]
	v_cmp_gt_i64_e64 s5, v[2:3], v[12:13]
	s_and_b32 s24, s44, s8
	v_add_co_u32 v4, s8, v38, v26
	v_add_co_ci_u32_e64 v5, null, v39, v27, s8
	s_or_b32 s9, s6, s5
	s_or_b32 s8, s9, s24
	s_nor_b32 s8, s0, s8
	s_and_saveexec_b32 s9, s8
	s_xor_b32 s8, exec_lo, s9
	s_cbranch_execz .LBB72_9
; %bb.8:                                ;   in Loop: Header=BB72_7 Depth=2
	global_load_dwordx2 v[6:7], v[4:5], off
	s_waitcnt vmcnt(0)
	ds_write_b64 v43, v[6:7]
.LBB72_9:                               ;   in Loop: Header=BB72_7 Depth=2
	s_or_saveexec_b32 s8, s8
	s_xor_b32 s21, s24, -1
	s_xor_b32 exec_lo, exec_lo, s8
	s_cbranch_execz .LBB72_15
; %bb.10:                               ;   in Loop: Header=BB72_7 Depth=2
	s_and_saveexec_b32 s9, s21
	s_xor_b32 s9, exec_lo, s9
; %bb.11:                               ;   in Loop: Header=BB72_7 Depth=2
	v_mov_b32_e32 v6, v11
	v_mov_b32_e32 v7, v11
	ds_write_b64 v43, v[6:7]
; %bb.12:                               ;   in Loop: Header=BB72_7 Depth=2
	s_andn2_saveexec_b32 s9, s9
; %bb.13:                               ;   in Loop: Header=BB72_7 Depth=2
	ds_write_b64 v43, v[10:11]
; %bb.14:                               ;   in Loop: Header=BB72_7 Depth=2
	s_or_b32 exec_lo, exec_lo, s9
.LBB72_15:                              ;   in Loop: Header=BB72_7 Depth=2
	s_or_b32 exec_lo, exec_lo, s8
	v_cmp_eq_u64_e64 s8, s[16:17], v[22:23]
	v_cmp_lt_i64_e64 s9, v[16:17], v[2:3]
	s_and_b32 s8, s44, s8
	s_or_b32 s6, s6, s9
	s_or_b32 s6, s6, s8
	s_nor_b32 s6, s1, s6
	s_and_saveexec_b32 s9, s6
	s_xor_b32 s6, exec_lo, s9
	s_cbranch_execz .LBB72_17
; %bb.16:                               ;   in Loop: Header=BB72_7 Depth=2
	global_load_dwordx2 v[4:5], v[4:5], off offset:128
	s_waitcnt vmcnt(0)
	ds_write_b64 v43, v[4:5] offset:128
.LBB72_17:                              ;   in Loop: Header=BB72_7 Depth=2
	s_andn2_saveexec_b32 s6, s6
	s_cbranch_execz .LBB72_23
; %bb.18:                               ;   in Loop: Header=BB72_7 Depth=2
	s_xor_b32 s8, s8, -1
	s_and_saveexec_b32 s9, s8
	s_xor_b32 s8, exec_lo, s9
; %bb.19:                               ;   in Loop: Header=BB72_7 Depth=2
	v_mov_b32_e32 v4, v11
	v_mov_b32_e32 v5, v11
	ds_write_b64 v43, v[4:5] offset:128
; %bb.20:                               ;   in Loop: Header=BB72_7 Depth=2
	s_andn2_saveexec_b32 s8, s8
; %bb.21:                               ;   in Loop: Header=BB72_7 Depth=2
	ds_write_b64 v43, v[10:11] offset:128
; %bb.22:                               ;   in Loop: Header=BB72_7 Depth=2
	s_or_b32 exec_lo, exec_lo, s8
.LBB72_23:                              ;   in Loop: Header=BB72_7 Depth=2
	s_or_b32 exec_lo, exec_lo, s6
	v_add_co_u32 v2, s6, v2, 16
	v_add_co_ci_u32_e64 v3, null, 0, v3, s6
	v_cmp_eq_u64_e64 s8, s[16:17], v[24:25]
	v_cmp_le_i64_e64 s6, s[18:19], v[2:3]
	v_cmp_gt_i64_e64 s9, v[2:3], v[12:13]
	s_and_b32 s25, s44, s8
	v_add_co_u32 v2, s8, v40, v26
	v_add_co_ci_u32_e64 v3, null, v41, v27, s8
	s_or_b32 s9, s6, s9
	s_or_b32 s8, s9, s25
	s_nor_b32 s8, s0, s8
	s_and_saveexec_b32 s9, s8
	s_xor_b32 s8, exec_lo, s9
	s_cbranch_execz .LBB72_25
; %bb.24:                               ;   in Loop: Header=BB72_7 Depth=2
	global_load_dwordx2 v[4:5], v[2:3], off
	s_waitcnt vmcnt(0)
	ds_write_b64 v43, v[4:5] offset:4096
.LBB72_25:                              ;   in Loop: Header=BB72_7 Depth=2
	s_andn2_saveexec_b32 s8, s8
	s_cbranch_execz .LBB72_31
; %bb.26:                               ;   in Loop: Header=BB72_7 Depth=2
	s_xor_b32 s9, s25, -1
	s_and_saveexec_b32 s25, s9
	s_xor_b32 s9, exec_lo, s25
; %bb.27:                               ;   in Loop: Header=BB72_7 Depth=2
	v_mov_b32_e32 v4, v11
	v_mov_b32_e32 v5, v11
	ds_write_b64 v43, v[4:5] offset:4096
; %bb.28:                               ;   in Loop: Header=BB72_7 Depth=2
	s_andn2_saveexec_b32 s9, s9
; %bb.29:                               ;   in Loop: Header=BB72_7 Depth=2
	ds_write_b64 v43, v[10:11] offset:4096
; %bb.30:                               ;   in Loop: Header=BB72_7 Depth=2
	s_or_b32 exec_lo, exec_lo, s9
.LBB72_31:                              ;   in Loop: Header=BB72_7 Depth=2
	s_or_b32 exec_lo, exec_lo, s8
	s_or_b32 s5, s6, s5
	s_or_b32 s5, s5, s24
	s_nor_b32 s5, s1, s5
	s_and_saveexec_b32 s6, s5
	s_xor_b32 s5, exec_lo, s6
	s_cbranch_execz .LBB72_33
; %bb.32:                               ;   in Loop: Header=BB72_7 Depth=2
	global_load_dwordx2 v[2:3], v[2:3], off offset:128
	s_waitcnt vmcnt(0)
	ds_write_b64 v43, v[2:3] offset:4224
.LBB72_33:                              ;   in Loop: Header=BB72_7 Depth=2
	s_andn2_saveexec_b32 s5, s5
	s_cbranch_execz .LBB72_39
; %bb.34:                               ;   in Loop: Header=BB72_7 Depth=2
	s_and_saveexec_b32 s6, s21
	s_xor_b32 s6, exec_lo, s6
; %bb.35:                               ;   in Loop: Header=BB72_7 Depth=2
	v_mov_b32_e32 v2, v11
	v_mov_b32_e32 v3, v11
	ds_write_b64 v43, v[2:3] offset:4224
; %bb.36:                               ;   in Loop: Header=BB72_7 Depth=2
	s_andn2_saveexec_b32 s6, s6
; %bb.37:                               ;   in Loop: Header=BB72_7 Depth=2
	ds_write_b64 v43, v[10:11] offset:4224
; %bb.38:                               ;   in Loop: Header=BB72_7 Depth=2
	s_or_b32 exec_lo, exec_lo, s6
.LBB72_39:                              ;   in Loop: Header=BB72_7 Depth=2
	s_or_b32 exec_lo, exec_lo, s5
	v_add_co_u32 v2, s5, v0, s16
	v_add_co_ci_u32_e64 v3, null, 0, s17, s5
	v_cmp_gt_i64_e64 s5, s[18:19], v[2:3]
	s_and_b32 s6, vcc_lo, s5
	s_xor_b32 s6, s6, -1
	s_and_saveexec_b32 s8, s6
	s_xor_b32 s6, exec_lo, s8
; %bb.40:                               ;   in Loop: Header=BB72_7 Depth=2
	v_mov_b32_e32 v4, v11
	v_mov_b32_e32 v5, v11
	ds_write_b64 v45, v[4:5]
; %bb.41:                               ;   in Loop: Header=BB72_7 Depth=2
	s_andn2_saveexec_b32 s6, s6
	s_cbranch_execz .LBB72_43
; %bb.42:                               ;   in Loop: Header=BB72_7 Depth=2
	global_load_dwordx2 v[4:5], v[34:35], off offset:-128
	s_waitcnt vmcnt(0)
	ds_write_b64 v45, v[4:5]
.LBB72_43:                              ;   in Loop: Header=BB72_7 Depth=2
	s_or_b32 exec_lo, exec_lo, s6
	v_cmp_gt_i64_e64 s6, s[30:31], v[2:3]
	s_and_b32 s8, vcc_lo, s6
	s_xor_b32 s8, s8, -1
	s_and_saveexec_b32 s9, s8
	s_xor_b32 s8, exec_lo, s9
; %bb.44:                               ;   in Loop: Header=BB72_7 Depth=2
	v_mov_b32_e32 v2, v11
	v_mov_b32_e32 v3, v11
	ds_write_b64 v45, v[2:3] offset:128
; %bb.45:                               ;   in Loop: Header=BB72_7 Depth=2
	s_andn2_saveexec_b32 s8, s8
	s_cbranch_execz .LBB72_47
; %bb.46:                               ;   in Loop: Header=BB72_7 Depth=2
	global_load_dwordx2 v[2:3], v[34:35], off
	s_waitcnt vmcnt(0)
	ds_write_b64 v45, v[2:3] offset:128
.LBB72_47:                              ;   in Loop: Header=BB72_7 Depth=2
	s_or_b32 exec_lo, exec_lo, s8
	s_and_b32 s5, s4, s5
	s_xor_b32 s5, s5, -1
	s_and_saveexec_b32 s8, s5
	s_xor_b32 s5, exec_lo, s8
; %bb.48:                               ;   in Loop: Header=BB72_7 Depth=2
	v_mov_b32_e32 v2, v11
	v_mov_b32_e32 v3, v11
	ds_write_b64 v45, v[2:3] offset:4096
; %bb.49:                               ;   in Loop: Header=BB72_7 Depth=2
	s_andn2_saveexec_b32 s5, s5
	s_cbranch_execz .LBB72_51
; %bb.50:                               ;   in Loop: Header=BB72_7 Depth=2
	global_load_dwordx2 v[2:3], v[36:37], off offset:-128
	s_waitcnt vmcnt(0)
	ds_write_b64 v45, v[2:3] offset:4096
.LBB72_51:                              ;   in Loop: Header=BB72_7 Depth=2
	s_or_b32 exec_lo, exec_lo, s5
	s_and_b32 s5, s4, s6
	s_xor_b32 s5, s5, -1
	s_and_saveexec_b32 s6, s5
	s_xor_b32 s5, exec_lo, s6
; %bb.52:                               ;   in Loop: Header=BB72_7 Depth=2
	v_mov_b32_e32 v2, v11
	v_mov_b32_e32 v3, v11
	ds_write_b64 v45, v[2:3] offset:4224
; %bb.53:                               ;   in Loop: Header=BB72_7 Depth=2
	s_andn2_saveexec_b32 s5, s5
	s_cbranch_execz .LBB72_6
; %bb.54:                               ;   in Loop: Header=BB72_7 Depth=2
	global_load_dwordx2 v[2:3], v[36:37], off
	s_waitcnt vmcnt(0)
	ds_write_b64 v45, v[2:3] offset:4224
	s_branch .LBB72_6
.LBB72_55:                              ;   in Loop: Header=BB72_4 Depth=1
	v_mul_lo_u32 v4, s29, v49
	v_mul_lo_u32 v5, s28, v50
	v_mad_u64_u32 v[2:3], null, s28, v49, 0
	v_cmp_gt_i32_e32 vcc_lo, s14, v49
	v_add3_u32 v3, v3, v5, v4
	v_lshlrev_b64 v[2:3], 3, v[2:3]
	v_add_co_u32 v2, s4, s40, v2
	v_add_co_ci_u32_e64 v3, null, s41, v3, s4
	s_and_b32 s4, s2, vcc_lo
	s_and_saveexec_b32 s5, s4
	s_cbranch_execz .LBB72_57
; %bb.56:                               ;   in Loop: Header=BB72_4 Depth=1
	v_add_co_u32 v4, s4, v2, v26
	v_add_co_ci_u32_e64 v5, null, v3, v27, s4
	v_mul_f32_e32 v8, s11, v57
	v_mul_f32_e32 v9, s10, v57
	global_load_dwordx2 v[6:7], v[4:5], off
	v_fma_f32 v8, v56, s10, -v8
	v_fmac_f32_e32 v9, s11, v56
	s_waitcnt vmcnt(0)
	v_add_f32_e32 v6, v6, v8
	v_add_f32_e32 v7, v9, v7
	global_store_dwordx2 v[4:5], v[6:7], off
.LBB72_57:                              ;   in Loop: Header=BB72_4 Depth=1
	s_or_b32 exec_lo, exec_lo, s5
	s_and_b32 s5, s3, vcc_lo
	s_and_saveexec_b32 s4, s5
	s_cbranch_execz .LBB72_59
; %bb.58:                               ;   in Loop: Header=BB72_4 Depth=1
	v_add_co_u32 v2, vcc_lo, v2, v32
	v_add_co_ci_u32_e64 v3, null, v3, v33, vcc_lo
	v_mul_f32_e32 v6, s11, v55
	v_mul_f32_e32 v7, s10, v55
	global_load_dwordx2 v[4:5], v[2:3], off
	v_fma_f32 v6, v54, s10, -v6
	v_fmac_f32_e32 v7, s11, v54
	s_waitcnt vmcnt(0)
	v_add_f32_e32 v4, v4, v6
	v_add_f32_e32 v5, v7, v5
	global_store_dwordx2 v[2:3], v[4:5], off
.LBB72_59:                              ;   in Loop: Header=BB72_4 Depth=1
	s_or_b32 exec_lo, exec_lo, s4
	v_add_nc_u32_e32 v4, 16, v49
	v_ashrrev_i32_e32 v5, 31, v4
	v_mul_lo_u32 v6, s29, v4
	v_mad_u64_u32 v[2:3], null, s28, v4, 0
	v_cmp_gt_i32_e32 vcc_lo, s14, v4
	v_mul_lo_u32 v5, s28, v5
	v_add3_u32 v3, v3, v5, v6
	v_lshlrev_b64 v[2:3], 3, v[2:3]
	v_add_co_u32 v2, s4, s40, v2
	v_add_co_ci_u32_e64 v3, null, s41, v3, s4
	s_and_b32 s4, s2, vcc_lo
	s_and_saveexec_b32 s5, s4
	s_cbranch_execz .LBB72_61
; %bb.60:                               ;   in Loop: Header=BB72_4 Depth=1
	v_add_co_u32 v4, s4, v2, v26
	v_add_co_ci_u32_e64 v5, null, v3, v27, s4
	v_mul_f32_e32 v8, s11, v53
	v_mul_f32_e32 v9, s10, v53
	global_load_dwordx2 v[6:7], v[4:5], off
	v_fma_f32 v8, v52, s10, -v8
	v_fmac_f32_e32 v9, s11, v52
	s_waitcnt vmcnt(0)
	v_add_f32_e32 v6, v6, v8
	v_add_f32_e32 v7, v9, v7
	global_store_dwordx2 v[4:5], v[6:7], off
.LBB72_61:                              ;   in Loop: Header=BB72_4 Depth=1
	s_or_b32 exec_lo, exec_lo, s5
	s_and_b32 s5, s3, vcc_lo
	s_and_saveexec_b32 s4, s5
	s_cbranch_execz .LBB72_3
; %bb.62:                               ;   in Loop: Header=BB72_4 Depth=1
	v_add_co_u32 v2, vcc_lo, v2, v32
	v_add_co_ci_u32_e64 v3, null, v3, v33, vcc_lo
	v_mul_f32_e32 v6, s11, v31
	v_mul_f32_e32 v7, s10, v31
	global_load_dwordx2 v[4:5], v[2:3], off
	v_fma_f32 v6, v51, s10, -v6
	v_fmac_f32_e32 v7, s11, v51
	s_waitcnt vmcnt(0)
	v_add_f32_e32 v4, v4, v6
	v_add_f32_e32 v5, v7, v5
	global_store_dwordx2 v[2:3], v[4:5], off
	s_branch .LBB72_3
.LBB72_63:
	s_endpgm
	.section	.rodata,"a",@progbits
	.p2align	6, 0x0
	.amdhsa_kernel _ZL30rocblas_trmm_outofplace_kernelI19rocblas_complex_numIfELi32ELi2ELb1ELb0ELb0ELb0EPKS1_S2_S1_Ev17rocblas_diagonal_iiT6_lPT7_lllS7_lllPT8_llli
		.amdhsa_group_segment_fixed_size 16384
		.amdhsa_private_segment_fixed_size 0
		.amdhsa_kernarg_size 392
		.amdhsa_user_sgpr_count 6
		.amdhsa_user_sgpr_private_segment_buffer 1
		.amdhsa_user_sgpr_dispatch_ptr 0
		.amdhsa_user_sgpr_queue_ptr 0
		.amdhsa_user_sgpr_kernarg_segment_ptr 1
		.amdhsa_user_sgpr_dispatch_id 0
		.amdhsa_user_sgpr_flat_scratch_init 0
		.amdhsa_user_sgpr_private_segment_size 0
		.amdhsa_wavefront_size32 1
		.amdhsa_uses_dynamic_stack 0
		.amdhsa_system_sgpr_private_segment_wavefront_offset 0
		.amdhsa_system_sgpr_workgroup_id_x 1
		.amdhsa_system_sgpr_workgroup_id_y 1
		.amdhsa_system_sgpr_workgroup_id_z 1
		.amdhsa_system_sgpr_workgroup_info 0
		.amdhsa_system_vgpr_workitem_id 1
		.amdhsa_next_free_vgpr 88
		.amdhsa_next_free_sgpr 48
		.amdhsa_reserve_vcc 1
		.amdhsa_reserve_flat_scratch 0
		.amdhsa_float_round_mode_32 0
		.amdhsa_float_round_mode_16_64 0
		.amdhsa_float_denorm_mode_32 3
		.amdhsa_float_denorm_mode_16_64 3
		.amdhsa_dx10_clamp 1
		.amdhsa_ieee_mode 1
		.amdhsa_fp16_overflow 0
		.amdhsa_workgroup_processor_mode 1
		.amdhsa_memory_ordered 1
		.amdhsa_forward_progress 1
		.amdhsa_shared_vgpr_count 0
		.amdhsa_exception_fp_ieee_invalid_op 0
		.amdhsa_exception_fp_denorm_src 0
		.amdhsa_exception_fp_ieee_div_zero 0
		.amdhsa_exception_fp_ieee_overflow 0
		.amdhsa_exception_fp_ieee_underflow 0
		.amdhsa_exception_fp_ieee_inexact 0
		.amdhsa_exception_int_div_zero 0
	.end_amdhsa_kernel
	.section	.text._ZL30rocblas_trmm_outofplace_kernelI19rocblas_complex_numIfELi32ELi2ELb1ELb0ELb0ELb0EPKS1_S2_S1_Ev17rocblas_diagonal_iiT6_lPT7_lllS7_lllPT8_llli,"axG",@progbits,_ZL30rocblas_trmm_outofplace_kernelI19rocblas_complex_numIfELi32ELi2ELb1ELb0ELb0ELb0EPKS1_S2_S1_Ev17rocblas_diagonal_iiT6_lPT7_lllS7_lllPT8_llli,comdat
.Lfunc_end72:
	.size	_ZL30rocblas_trmm_outofplace_kernelI19rocblas_complex_numIfELi32ELi2ELb1ELb0ELb0ELb0EPKS1_S2_S1_Ev17rocblas_diagonal_iiT6_lPT7_lllS7_lllPT8_llli, .Lfunc_end72-_ZL30rocblas_trmm_outofplace_kernelI19rocblas_complex_numIfELi32ELi2ELb1ELb0ELb0ELb0EPKS1_S2_S1_Ev17rocblas_diagonal_iiT6_lPT7_lllS7_lllPT8_llli
                                        ; -- End function
	.set _ZL30rocblas_trmm_outofplace_kernelI19rocblas_complex_numIfELi32ELi2ELb1ELb0ELb0ELb0EPKS1_S2_S1_Ev17rocblas_diagonal_iiT6_lPT7_lllS7_lllPT8_llli.num_vgpr, 88
	.set _ZL30rocblas_trmm_outofplace_kernelI19rocblas_complex_numIfELi32ELi2ELb1ELb0ELb0ELb0EPKS1_S2_S1_Ev17rocblas_diagonal_iiT6_lPT7_lllS7_lllPT8_llli.num_agpr, 0
	.set _ZL30rocblas_trmm_outofplace_kernelI19rocblas_complex_numIfELi32ELi2ELb1ELb0ELb0ELb0EPKS1_S2_S1_Ev17rocblas_diagonal_iiT6_lPT7_lllS7_lllPT8_llli.numbered_sgpr, 48
	.set _ZL30rocblas_trmm_outofplace_kernelI19rocblas_complex_numIfELi32ELi2ELb1ELb0ELb0ELb0EPKS1_S2_S1_Ev17rocblas_diagonal_iiT6_lPT7_lllS7_lllPT8_llli.num_named_barrier, 0
	.set _ZL30rocblas_trmm_outofplace_kernelI19rocblas_complex_numIfELi32ELi2ELb1ELb0ELb0ELb0EPKS1_S2_S1_Ev17rocblas_diagonal_iiT6_lPT7_lllS7_lllPT8_llli.private_seg_size, 0
	.set _ZL30rocblas_trmm_outofplace_kernelI19rocblas_complex_numIfELi32ELi2ELb1ELb0ELb0ELb0EPKS1_S2_S1_Ev17rocblas_diagonal_iiT6_lPT7_lllS7_lllPT8_llli.uses_vcc, 1
	.set _ZL30rocblas_trmm_outofplace_kernelI19rocblas_complex_numIfELi32ELi2ELb1ELb0ELb0ELb0EPKS1_S2_S1_Ev17rocblas_diagonal_iiT6_lPT7_lllS7_lllPT8_llli.uses_flat_scratch, 0
	.set _ZL30rocblas_trmm_outofplace_kernelI19rocblas_complex_numIfELi32ELi2ELb1ELb0ELb0ELb0EPKS1_S2_S1_Ev17rocblas_diagonal_iiT6_lPT7_lllS7_lllPT8_llli.has_dyn_sized_stack, 0
	.set _ZL30rocblas_trmm_outofplace_kernelI19rocblas_complex_numIfELi32ELi2ELb1ELb0ELb0ELb0EPKS1_S2_S1_Ev17rocblas_diagonal_iiT6_lPT7_lllS7_lllPT8_llli.has_recursion, 0
	.set _ZL30rocblas_trmm_outofplace_kernelI19rocblas_complex_numIfELi32ELi2ELb1ELb0ELb0ELb0EPKS1_S2_S1_Ev17rocblas_diagonal_iiT6_lPT7_lllS7_lllPT8_llli.has_indirect_call, 0
	.section	.AMDGPU.csdata,"",@progbits
; Kernel info:
; codeLenInByte = 6564
; TotalNumSgprs: 50
; NumVgprs: 88
; ScratchSize: 0
; MemoryBound: 1
; FloatMode: 240
; IeeeMode: 1
; LDSByteSize: 16384 bytes/workgroup (compile time only)
; SGPRBlocks: 0
; VGPRBlocks: 10
; NumSGPRsForWavesPerEU: 50
; NumVGPRsForWavesPerEU: 88
; Occupancy: 10
; WaveLimiterHint : 0
; COMPUTE_PGM_RSRC2:SCRATCH_EN: 0
; COMPUTE_PGM_RSRC2:USER_SGPR: 6
; COMPUTE_PGM_RSRC2:TRAP_HANDLER: 0
; COMPUTE_PGM_RSRC2:TGID_X_EN: 1
; COMPUTE_PGM_RSRC2:TGID_Y_EN: 1
; COMPUTE_PGM_RSRC2:TGID_Z_EN: 1
; COMPUTE_PGM_RSRC2:TIDIG_COMP_CNT: 1
	.section	.text._ZL30rocblas_trmm_outofplace_kernelI19rocblas_complex_numIfELi32ELi2ELb1ELb0ELb0ELb0ES1_KS1_S1_Ev17rocblas_diagonal_iiT6_lPT7_lllS6_lllPT8_llli,"axG",@progbits,_ZL30rocblas_trmm_outofplace_kernelI19rocblas_complex_numIfELi32ELi2ELb1ELb0ELb0ELb0ES1_KS1_S1_Ev17rocblas_diagonal_iiT6_lPT7_lllS6_lllPT8_llli,comdat
	.globl	_ZL30rocblas_trmm_outofplace_kernelI19rocblas_complex_numIfELi32ELi2ELb1ELb0ELb0ELb0ES1_KS1_S1_Ev17rocblas_diagonal_iiT6_lPT7_lllS6_lllPT8_llli ; -- Begin function _ZL30rocblas_trmm_outofplace_kernelI19rocblas_complex_numIfELi32ELi2ELb1ELb0ELb0ELb0ES1_KS1_S1_Ev17rocblas_diagonal_iiT6_lPT7_lllS6_lllPT8_llli
	.p2align	8
	.type	_ZL30rocblas_trmm_outofplace_kernelI19rocblas_complex_numIfELi32ELi2ELb1ELb0ELb0ELb0ES1_KS1_S1_Ev17rocblas_diagonal_iiT6_lPT7_lllS6_lllPT8_llli,@function
_ZL30rocblas_trmm_outofplace_kernelI19rocblas_complex_numIfELi32ELi2ELb1ELb0ELb0ELb0ES1_KS1_S1_Ev17rocblas_diagonal_iiT6_lPT7_lllS6_lllPT8_llli: ; @_ZL30rocblas_trmm_outofplace_kernelI19rocblas_complex_numIfELi32ELi2ELb1ELb0ELb0ELb0ES1_KS1_S1_Ev17rocblas_diagonal_iiT6_lPT7_lllS6_lllPT8_llli
; %bb.0:
	s_clause 0x1
	s_load_dwordx4 s[28:31], s[4:5], 0x0
	s_load_dword s33, s[4:5], 0x10
	s_waitcnt lgkmcnt(0)
	s_or_b32 s0, s31, s33
	s_bitset0_b32 s0, 31
	s_cmp_eq_u32 s0, 0
	s_cbranch_scc1 .LBB73_63
; %bb.1:
	s_add_i32 s0, s30, -1
	s_ashr_i32 s1, s0, 31
	s_lshr_b32 s1, s1, 27
	s_add_i32 s0, s0, s1
	s_ashr_i32 s34, s0, 5
	s_cmp_gt_i32 s7, s34
	s_cbranch_scc1 .LBB73_63
; %bb.2:
	s_clause 0x1
	s_load_dwordx16 s[12:27], s[4:5], 0x20
	s_load_dwordx8 s[36:43], s[4:5], 0x60
	v_lshlrev_b32_e32 v2, 8, v1
	v_lshlrev_b32_e32 v42, 3, v0
	v_lshl_add_u32 v5, v1, 3, 0x80
	s_mov_b32 s10, s29
	v_mov_b32_e32 v11, 0
	v_add_nc_u32_e32 v44, 0x2000, v2
	v_add_nc_u32_e32 v43, v42, v2
	v_lshl_add_u32 v30, s7, 5, v1
	v_mov_b32_e32 v10, 1.0
	v_add_nc_u32_e32 v46, 0x800, v42
	v_add_nc_u32_e32 v45, v44, v42
	;; [unrolled: 1-line block ×4, first 2 shown]
	s_waitcnt lgkmcnt(0)
	s_mul_i32 s1, s19, s8
	s_mul_hi_u32 s2, s18, s8
	s_mul_i32 s0, s18, s8
	s_add_i32 s1, s2, s1
	s_mul_i32 s3, s43, s8
	s_lshl_b64 s[44:45], s[0:1], 3
	s_mul_hi_u32 s2, s42, s8
	s_add_u32 s1, s12, s44
	s_addc_u32 s9, s13, s45
	s_lshl_b64 s[46:47], s[14:15], 3
	v_mad_u64_u32 v[2:3], null, s16, v1, 0
	s_add_u32 s14, s1, s46
	s_mul_i32 s0, s42, s8
	s_addc_u32 s9, s9, s47
	s_add_i32 s1, s2, s3
	s_load_dword s42, s[4:5], 0x8c
	s_lshl_b64 s[0:1], s[0:1], 3
	v_mad_u64_u32 v[3:4], null, s17, v1, v[3:4]
	s_add_u32 s2, s36, s0
	s_addc_u32 s3, s37, s1
	s_lshl_b64 s[0:1], s[38:39], 3
	s_add_u32 s35, s2, s0
	s_addc_u32 s36, s3, s1
	s_lshl_b32 s37, s6, 5
	v_lshlrev_b64 v[2:3], 3, v[2:3]
	v_add_nc_u32_e32 v12, s37, v0
	s_cmp_gt_i32 s6, -1
	s_cselect_b32 s38, -1, 0
	s_cmpk_eq_i32 s28, 0x84
	v_ashrrev_i32_e32 v13, 31, v12
	v_add_co_u32 v14, vcc_lo, v12, 16
	s_cselect_b32 s28, -1, 0
	s_ashr_i32 s11, s29, 31
	s_ashr_i32 s39, s30, 31
	v_add_co_ci_u32_e64 v15, null, 0, v13, vcc_lo
	v_add_co_u32 v16, vcc_lo, s14, v2
	s_lshl_b64 s[14:15], s[16:17], 8
	s_add_u32 s18, s29, -16
	s_addc_u32 s19, s11, -1
	s_add_u32 s4, s12, s46
	s_addc_u32 s5, s13, s47
	s_add_u32 s4, s4, s44
	s_addc_u32 s5, s5, s45
	v_add_co_ci_u32_e64 v17, null, s9, v3, vcc_lo
	v_mad_u64_u32 v[20:21], null, s16, v5, s[4:5]
	s_mul_i32 s4, s27, s8
	s_mul_hi_u32 s5, s26, s8
	v_add_nc_u32_e32 v2, 16, v12
	s_add_i32 s5, s5, s4
	s_mul_i32 s4, s26, s8
	s_lshl_b64 s[8:9], s[22:23], 3
	v_mov_b32_e32 v4, v21
	s_lshl_b64 s[4:5], s[4:5], 3
	v_sub_co_u32 v18, vcc_lo, v12, v1
	s_add_u32 s4, s4, s8
	s_addc_u32 s5, s5, s9
	v_subrev_co_ci_u32_e64 v19, null, 0, v13, vcc_lo
	s_add_u32 s4, s20, s4
	v_mad_u64_u32 v[4:5], null, s17, v5, v[4:5]
	s_addc_u32 s5, s21, s5
	v_add_co_u32 v5, s4, s4, v42
	v_ashrrev_i32_e32 v3, 31, v2
	v_add_co_u32 v22, vcc_lo, v18, 16
	v_add_co_ci_u32_e64 v6, null, s5, 0, s4
	v_add_co_ci_u32_e64 v23, null, 0, v19, vcc_lo
	v_add_co_u32 v24, vcc_lo, v18, -16
	v_add_co_ci_u32_e64 v25, null, -1, v19, vcc_lo
	v_add_co_u32 v28, vcc_lo, 0x80, v5
	v_cmp_le_i64_e64 s1, s[10:11], v[14:15]
	v_lshlrev_b64 v[26:27], 3, v[12:13]
	v_lshlrev_b64 v[32:33], 3, v[2:3]
	v_cmp_le_i32_e64 s0, s29, v12
	v_cmp_gt_i32_e64 s2, s29, v12
	v_cmp_gt_i32_e64 s3, s29, v2
	v_mov_b32_e32 v21, v4
	v_add_co_ci_u32_e64 v29, null, 0, v6, vcc_lo
	s_mov_b32 s20, s30
	s_lshl_b64 s[12:13], s[24:25], 3
	s_waitcnt lgkmcnt(0)
	s_lshl_b32 s21, s42, 5
	s_branch .LBB73_4
.LBB73_3:                               ;   in Loop: Header=BB73_4 Depth=1
	s_or_b32 exec_lo, exec_lo, s4
	v_add_nc_u32_e32 v30, s21, v30
	s_add_i32 s7, s42, s7
	s_cmp_le_i32 s7, s34
	s_cbranch_scc0 .LBB73_63
.LBB73_4:                               ; =>This Loop Header: Depth=1
                                        ;     Child Loop BB73_7 Depth 2
	v_lshl_add_u32 v49, s7, 5, v1
	v_mov_b32_e32 v56, v11
	v_mov_b32_e32 v57, v11
	;; [unrolled: 1-line block ×4, first 2 shown]
	v_ashrrev_i32_e32 v50, 31, v49
	v_mov_b32_e32 v52, v11
	v_mov_b32_e32 v53, v11
	v_mov_b32_e32 v51, v11
	v_mov_b32_e32 v31, v11
	s_andn2_b32 vcc_lo, exec_lo, s38
	s_cbranch_vccnz .LBB73_55
; %bb.5:                                ;   in Loop: Header=BB73_4 Depth=1
	v_ashrrev_i32_e32 v31, 31, v30
	v_mad_u64_u32 v[34:35], null, s12, v30, v[28:29]
	v_mul_lo_u32 v4, s13, v30
	v_mov_b32_e32 v39, v17
	v_lshlrev_b64 v[2:3], 3, v[30:31]
	v_mul_lo_u32 v7, s12, v31
	v_mov_b32_e32 v41, v21
	v_mov_b32_e32 v31, 0
	;; [unrolled: 1-line block ×4, first 2 shown]
	v_add_co_u32 v5, vcc_lo, 0x80, v2
	v_add_co_ci_u32_e64 v6, null, 0, v3, vcc_lo
	v_sub_co_u32 v2, vcc_lo, s20, v49
	v_mul_lo_u32 v8, s25, v5
	v_mul_lo_u32 v6, s24, v6
	v_mad_u64_u32 v[36:37], null, s24, v5, v[28:29]
	v_sub_co_ci_u32_e64 v3, null, s39, v50, vcc_lo
	v_add3_u32 v35, v4, v35, v7
	v_mov_b32_e32 v51, 0
	v_mov_b32_e32 v53, 0
	v_cmp_lt_i64_e64 s4, 16, v[2:3]
	v_add3_u32 v37, v8, v37, v6
	v_mov_b32_e32 v52, 0
	v_mov_b32_e32 v55, 0
	;; [unrolled: 1-line block ×5, first 2 shown]
	s_mov_b64 s[16:17], 0
	v_cmp_lt_i64_e32 vcc_lo, 0, v[2:3]
	s_branch .LBB73_7
.LBB73_6:                               ;   in Loop: Header=BB73_7 Depth=2
	s_or_b32 exec_lo, exec_lo, s5
	s_waitcnt lgkmcnt(0)
	s_barrier
	buffer_gl0_inv
	ds_read_b128 v[58:61], v44
	ds_read2_b64 v[62:65], v42 offset1:16
	ds_read_b128 v[66:69], v44 offset:4096
	ds_read_b128 v[70:73], v44 offset:16
	;; [unrolled: 1-line block ×4, first 2 shown]
	ds_read2_b64 v[74:77], v42 offset0:32 offset1:48
	ds_read_b128 v[78:81], v44 offset:4112
	v_add_co_u32 v40, s5, v40, s14
	v_add_co_ci_u32_e64 v41, null, s15, v41, s5
	v_add_co_u32 v34, s5, 0x100, v34
	v_add_co_ci_u32_e64 v35, null, 0, v35, s5
	;; [unrolled: 2-line block ×3, first 2 shown]
	v_add_co_u32 v36, s5, 0x100, v36
	s_waitcnt lgkmcnt(6)
	v_mul_f32_e32 v82, v59, v63
	v_mul_f32_e32 v83, v58, v63
	v_mul_f32_e32 v84, v59, v65
	v_mul_f32_e32 v85, v58, v65
	s_waitcnt lgkmcnt(5)
	v_mul_f32_e32 v86, v67, v63
	v_mul_f32_e32 v63, v66, v63
	;; [unrolled: 1-line block ×3, first 2 shown]
	v_fma_f32 v82, v58, v62, -v82
	v_fmac_f32_e32 v83, v59, v62
	v_fma_f32 v58, v58, v64, -v84
	v_fmac_f32_e32 v85, v59, v64
	;; [unrolled: 2-line block ×3, first 2 shown]
	v_fma_f32 v62, v66, v64, -v87
	v_mul_f32_e32 v65, v66, v65
	v_add_f32_e32 v58, v54, v58
	v_add_f32_e32 v59, v52, v59
	;; [unrolled: 1-line block ×3, first 2 shown]
	s_waitcnt lgkmcnt(1)
	v_mul_f32_e32 v66, v61, v75
	v_add_f32_e32 v62, v51, v62
	ds_read2_b64 v[51:54], v42 offset0:64 offset1:80
	v_add_f32_e32 v56, v56, v82
	v_fmac_f32_e32 v65, v67, v64
	v_mul_f32_e32 v64, v60, v75
	v_fma_f32 v66, v60, v74, -v66
	v_mul_f32_e32 v67, v61, v77
	v_add_f32_e32 v57, v57, v83
	v_add_f32_e32 v31, v31, v65
	v_fmac_f32_e32 v64, v61, v74
	v_mul_f32_e32 v65, v60, v77
	v_add_f32_e32 v66, v56, v66
	v_fma_f32 v56, v60, v76, -v67
	v_mul_f32_e32 v60, v69, v75
	v_add_f32_e32 v55, v55, v85
	v_add_f32_e32 v64, v57, v64
	v_fmac_f32_e32 v65, v61, v76
	v_mul_f32_e32 v57, v68, v75
	v_add_f32_e32 v61, v58, v56
	v_fma_f32 v56, v68, v74, -v60
	v_mul_f32_e32 v58, v69, v77
	v_add_f32_e32 v60, v55, v65
	v_fmac_f32_e32 v57, v69, v74
	v_mul_f32_e32 v65, v68, v77
	v_add_f32_e32 v59, v59, v56
	v_fma_f32 v55, v68, v76, -v58
	s_waitcnt lgkmcnt(0)
	v_mul_f32_e32 v56, v71, v52
	v_add_f32_e32 v63, v63, v57
	v_fmac_f32_e32 v65, v69, v76
	v_mul_f32_e32 v67, v70, v52
	v_add_f32_e32 v62, v62, v55
	v_fma_f32 v68, v70, v51, -v56
	v_mul_f32_e32 v69, v71, v54
	ds_read2_b64 v[55:58], v42 offset0:96 offset1:112
	v_fmac_f32_e32 v67, v71, v51
	v_add_f32_e32 v31, v31, v65
	v_add_f32_e32 v65, v66, v68
	v_fma_f32 v68, v70, v53, -v69
	v_mul_f32_e32 v66, v70, v54
	v_add_f32_e32 v64, v64, v67
	v_mul_f32_e32 v67, v79, v52
	v_mul_f32_e32 v52, v78, v52
	v_add_f32_e32 v61, v61, v68
	v_mul_f32_e32 v68, v79, v54
	v_fmac_f32_e32 v66, v71, v53
	v_fma_f32 v67, v78, v51, -v67
	v_fmac_f32_e32 v52, v79, v51
	v_mul_f32_e32 v69, v78, v54
	v_fma_f32 v51, v78, v53, -v68
	v_add_f32_e32 v60, v60, v66
	v_add_f32_e32 v66, v59, v67
	;; [unrolled: 1-line block ×3, first 2 shown]
	v_fmac_f32_e32 v69, v79, v53
	s_waitcnt lgkmcnt(0)
	v_mul_f32_e32 v59, v73, v56
	v_add_f32_e32 v67, v62, v51
	ds_read2_b64 v[51:54], v42 offset0:128 offset1:144
	v_mul_f32_e32 v62, v72, v56
	v_mul_f32_e32 v68, v73, v58
	v_fma_f32 v59, v72, v55, -v59
	v_add_f32_e32 v31, v31, v69
	v_mul_f32_e32 v69, v72, v58
	v_fmac_f32_e32 v62, v73, v55
	v_fma_f32 v68, v72, v57, -v68
	v_add_f32_e32 v65, v65, v59
	v_mul_f32_e32 v59, v81, v56
	v_fmac_f32_e32 v69, v73, v57
	v_mul_f32_e32 v56, v80, v56
	v_mul_f32_e32 v71, v81, v58
	v_add_f32_e32 v64, v64, v62
	v_fma_f32 v70, v80, v55, -v59
	v_add_f32_e32 v68, v61, v68
	v_add_f32_e32 v69, v60, v69
	ds_read_b128 v[59:62], v44 offset:4128
	v_fmac_f32_e32 v56, v81, v55
	v_add_f32_e32 v70, v66, v70
	v_mul_f32_e32 v66, v80, v58
	v_fma_f32 v55, v80, v57, -v71
	s_waitcnt lgkmcnt(1)
	v_mul_f32_e32 v58, v7, v52
	v_add_f32_e32 v71, v63, v56
	v_mul_f32_e32 v63, v6, v52
	v_fmac_f32_e32 v66, v81, v57
	v_add_f32_e32 v67, v67, v55
	v_fma_f32 v72, v6, v51, -v58
	ds_read2_b64 v[55:58], v42 offset0:160 offset1:176
	v_fmac_f32_e32 v63, v7, v51
	v_mul_f32_e32 v73, v7, v54
	v_mul_f32_e32 v74, v6, v54
	v_add_f32_e32 v31, v31, v66
	v_add_f32_e32 v72, v65, v72
	;; [unrolled: 1-line block ×3, first 2 shown]
	v_fma_f32 v6, v6, v53, -v73
	ds_read_b128 v[63:66], v44 offset:4144
	s_waitcnt lgkmcnt(2)
	v_mul_f32_e32 v73, v60, v52
	v_fmac_f32_e32 v74, v7, v53
	v_mul_f32_e32 v7, v59, v52
	v_mul_f32_e32 v52, v60, v54
	v_add_f32_e32 v6, v68, v6
	v_fma_f32 v68, v59, v51, -v73
	v_mul_f32_e32 v73, v59, v54
	v_fmac_f32_e32 v7, v60, v51
	v_fma_f32 v51, v59, v53, -v52
	v_add_f32_e32 v69, v69, v74
	v_add_f32_e32 v59, v70, v68
	s_waitcnt lgkmcnt(1)
	v_mul_f32_e32 v52, v9, v56
	v_fmac_f32_e32 v73, v60, v53
	v_add_f32_e32 v60, v67, v51
	v_mul_f32_e32 v70, v9, v58
	v_add_f32_e32 v7, v71, v7
	v_fma_f32 v68, v8, v55, -v52
	ds_read2_b64 v[51:54], v42 offset0:192 offset1:208
	v_mul_f32_e32 v67, v8, v56
	v_mul_f32_e32 v71, v8, v58
	v_fma_f32 v8, v8, v57, -v70
	v_mul_f32_e32 v70, v62, v56
	v_mul_f32_e32 v56, v61, v56
	v_add_f32_e32 v68, v72, v68
	v_fmac_f32_e32 v67, v9, v55
	v_add_f32_e32 v72, v6, v8
	v_fma_f32 v6, v61, v55, -v70
	v_fmac_f32_e32 v56, v62, v55
	v_mul_f32_e32 v8, v62, v58
	v_fmac_f32_e32 v71, v9, v57
	v_mul_f32_e32 v58, v61, v58
	v_add_f32_e32 v59, v59, v6
	v_add_f32_e32 v56, v7, v56
	v_fma_f32 v61, v61, v57, -v8
	ds_read2_b64 v[6:9], v42 offset0:224 offset1:240
	v_add_f32_e32 v55, v69, v71
	v_fmac_f32_e32 v58, v62, v57
	s_waitcnt lgkmcnt(1)
	v_mul_f32_e32 v69, v3, v52
	v_mul_f32_e32 v57, v2, v52
	v_add_f32_e32 v67, v75, v67
	v_add_f32_e32 v60, v60, v61
	v_mul_f32_e32 v62, v3, v54
	v_fma_f32 v61, v2, v51, -v69
	v_fmac_f32_e32 v57, v3, v51
	v_mul_f32_e32 v69, v2, v54
	v_add_f32_e32 v31, v31, v73
	v_fma_f32 v2, v2, v53, -v62
	v_add_f32_e32 v61, v68, v61
	v_add_f32_e32 v62, v67, v57
	v_fmac_f32_e32 v69, v3, v53
	v_mul_f32_e32 v3, v64, v52
	v_mul_f32_e32 v52, v63, v52
	;; [unrolled: 1-line block ×4, first 2 shown]
	s_waitcnt lgkmcnt(0)
	v_mul_f32_e32 v54, v5, v7
	v_fma_f32 v3, v63, v51, -v3
	v_fmac_f32_e32 v52, v64, v51
	v_fma_f32 v51, v63, v53, -v57
	v_add_f32_e32 v31, v31, v58
	v_add_f32_e32 v67, v55, v69
	;; [unrolled: 1-line block ×4, first 2 shown]
	v_fmac_f32_e32 v68, v64, v53
	v_add_f32_e32 v64, v60, v51
	v_fma_f32 v3, v4, v6, -v54
	ds_read_b128 v[51:54], v44 offset:64
	ds_read2_b64 v[55:58], v46 offset1:16
	v_mul_f32_e32 v60, v4, v7
	v_mul_f32_e32 v69, v5, v9
	v_add_f32_e32 v2, v72, v2
	v_add_f32_e32 v31, v31, v68
	v_mul_f32_e32 v68, v4, v9
	v_fmac_f32_e32 v60, v5, v6
	v_add_f32_e32 v70, v61, v3
	v_fma_f32 v3, v4, v8, -v69
	v_mul_f32_e32 v4, v66, v7
	v_mul_f32_e32 v7, v65, v7
	;; [unrolled: 1-line block ×3, first 2 shown]
	v_add_f32_e32 v69, v62, v60
	v_fmac_f32_e32 v68, v5, v8
	v_add_f32_e32 v71, v2, v3
	v_fma_f32 v60, v65, v6, -v4
	v_fmac_f32_e32 v7, v66, v6
	ds_read_b128 v[2:5], v44 offset:4160
	v_fma_f32 v6, v65, v8, -v61
	v_mul_f32_e32 v65, v65, v9
	s_waitcnt lgkmcnt(1)
	v_mul_f32_e32 v9, v52, v56
	v_add_f32_e32 v72, v63, v7
	v_mul_f32_e32 v63, v51, v56
	v_add_f32_e32 v73, v64, v6
	v_fmac_f32_e32 v65, v66, v8
	v_fma_f32 v64, v51, v55, -v9
	ds_read2_b64 v[6:9], v46 offset0:32 offset1:48
	v_mul_f32_e32 v66, v52, v58
	v_mul_f32_e32 v74, v51, v58
	v_add_f32_e32 v67, v67, v68
	v_add_f32_e32 v68, v59, v60
	ds_read_b128 v[59:62], v44 offset:80
	v_fmac_f32_e32 v63, v52, v55
	v_fma_f32 v51, v51, v57, -v66
	v_fmac_f32_e32 v74, v52, v57
	v_add_f32_e32 v70, v70, v64
	v_add_f32_e32 v31, v31, v65
	s_waitcnt lgkmcnt(2)
	v_mul_f32_e32 v75, v3, v56
	v_mul_f32_e32 v52, v2, v56
	;; [unrolled: 1-line block ×3, first 2 shown]
	v_add_f32_e32 v51, v71, v51
	v_add_f32_e32 v67, v67, v74
	v_fma_f32 v71, v2, v55, -v75
	v_fmac_f32_e32 v52, v3, v55
	v_mul_f32_e32 v74, v2, v58
	v_fma_f32 v2, v2, v57, -v56
	s_waitcnt lgkmcnt(1)
	v_mul_f32_e32 v55, v54, v7
	v_add_f32_e32 v68, v68, v71
	v_add_f32_e32 v52, v72, v52
	v_fmac_f32_e32 v74, v3, v57
	v_add_f32_e32 v71, v73, v2
	v_mul_f32_e32 v2, v53, v7
	v_fma_f32 v3, v53, v6, -v55
	ds_read2_b64 v[55:58], v46 offset0:64 offset1:80
	v_mul_f32_e32 v72, v54, v9
	v_add_f32_e32 v69, v69, v63
	v_fmac_f32_e32 v2, v54, v6
	v_add_f32_e32 v70, v70, v3
	v_mul_f32_e32 v3, v53, v9
	v_fma_f32 v53, v53, v8, -v72
	v_mul_f32_e32 v72, v5, v7
	v_mul_f32_e32 v7, v4, v7
	ds_read_b128 v[63:66], v44 offset:4176
	v_add_f32_e32 v69, v69, v2
	v_fmac_f32_e32 v3, v54, v8
	v_fma_f32 v2, v4, v6, -v72
	v_fmac_f32_e32 v7, v5, v6
	v_mul_f32_e32 v6, v5, v9
	v_mul_f32_e32 v9, v4, v9
	v_add_f32_e32 v51, v51, v53
	v_add_f32_e32 v53, v67, v3
	;; [unrolled: 1-line block ×3, first 2 shown]
	v_fma_f32 v6, v4, v8, -v6
	v_fmac_f32_e32 v9, v5, v8
	ds_read2_b64 v[2:5], v46 offset0:96 offset1:112
	v_add_f32_e32 v31, v31, v74
	v_add_f32_e32 v7, v52, v7
	s_waitcnt lgkmcnt(2)
	v_mul_f32_e32 v52, v60, v56
	v_mul_f32_e32 v8, v59, v56
	;; [unrolled: 1-line block ×3, first 2 shown]
	v_add_f32_e32 v31, v31, v9
	v_mul_f32_e32 v68, v59, v58
	v_fma_f32 v52, v59, v55, -v52
	v_fmac_f32_e32 v8, v60, v55
	v_fma_f32 v9, v59, v57, -v67
	v_add_f32_e32 v6, v71, v6
	v_fmac_f32_e32 v68, v60, v57
	v_add_f32_e32 v70, v70, v52
	v_add_f32_e32 v59, v69, v8
	s_waitcnt lgkmcnt(1)
	v_mul_f32_e32 v8, v64, v56
	v_mul_f32_e32 v52, v63, v56
	v_add_f32_e32 v56, v51, v9
	v_mul_f32_e32 v9, v64, v58
	v_add_f32_e32 v60, v53, v68
	v_fma_f32 v8, v63, v55, -v8
	v_fmac_f32_e32 v52, v64, v55
	v_mul_f32_e32 v55, v63, v58
	v_fma_f32 v9, v63, v57, -v9
	s_waitcnt lgkmcnt(0)
	v_mul_f32_e32 v51, v62, v3
	v_add_f32_e32 v63, v54, v8
	v_add_f32_e32 v67, v7, v52
	v_fmac_f32_e32 v55, v64, v57
	v_add_f32_e32 v64, v6, v9
	v_fma_f32 v57, v61, v2, -v51
	ds_read_b128 v[6:9], v44 offset:96
	ds_read2_b64 v[51:54], v46 offset0:128 offset1:144
	v_mul_f32_e32 v58, v61, v3
	v_mul_f32_e32 v68, v62, v5
	v_add_f32_e32 v31, v31, v55
	v_mul_f32_e32 v55, v61, v5
	v_add_f32_e32 v69, v70, v57
	v_fmac_f32_e32 v58, v62, v2
	v_fma_f32 v57, v61, v4, -v68
	v_mul_f32_e32 v61, v66, v3
	v_fmac_f32_e32 v55, v62, v4
	v_mul_f32_e32 v3, v65, v3
	v_add_f32_e32 v68, v59, v58
	v_add_f32_e32 v70, v56, v57
	v_fma_f32 v59, v65, v2, -v61
	v_mul_f32_e32 v61, v66, v5
	v_add_f32_e32 v71, v60, v55
	v_fmac_f32_e32 v3, v66, v2
	ds_read_b128 v[55:58], v44 offset:4192
	v_add_f32_e32 v72, v63, v59
	v_fma_f32 v2, v65, v4, -v61
	v_mul_f32_e32 v63, v65, v5
	s_waitcnt lgkmcnt(1)
	v_mul_f32_e32 v5, v7, v52
	v_add_f32_e32 v67, v67, v3
	v_mul_f32_e32 v65, v6, v52
	v_add_f32_e32 v73, v64, v2
	v_fmac_f32_e32 v63, v66, v4
	v_fma_f32 v64, v6, v51, -v5
	ds_read2_b64 v[2:5], v46 offset0:160 offset1:176
	v_mul_f32_e32 v66, v7, v54
	v_mul_f32_e32 v74, v6, v54
	ds_read_b128 v[59:62], v44 offset:112
	v_fmac_f32_e32 v65, v7, v51
	v_add_f32_e32 v69, v69, v64
	v_fma_f32 v6, v6, v53, -v66
	v_fmac_f32_e32 v74, v7, v53
	v_add_f32_e32 v31, v31, v63
	v_add_f32_e32 v68, v68, v65
	s_waitcnt lgkmcnt(2)
	v_mul_f32_e32 v75, v56, v52
	v_mul_f32_e32 v7, v55, v52
	v_mul_f32_e32 v52, v56, v54
	v_add_f32_e32 v6, v70, v6
	v_add_f32_e32 v71, v71, v74
	v_fma_f32 v70, v55, v51, -v75
	v_fmac_f32_e32 v7, v56, v51
	v_mul_f32_e32 v74, v55, v54
	v_fma_f32 v51, v55, v53, -v52
	ds_read_b128 v[63:66], v44 offset:4208
	s_waitcnt lgkmcnt(2)
	v_mul_f32_e32 v52, v9, v3
	v_add_f32_e32 v55, v72, v70
	v_fmac_f32_e32 v74, v56, v53
	v_add_f32_e32 v56, v73, v51
	v_add_f32_e32 v7, v67, v7
	v_fma_f32 v70, v8, v2, -v52
	ds_read2_b64 v[51:54], v46 offset0:192 offset1:208
	v_mul_f32_e32 v67, v8, v3
	v_mul_f32_e32 v72, v9, v5
	v_add_f32_e32 v31, v31, v74
	v_add_f32_e32 v69, v69, v70
	v_mul_f32_e32 v70, v8, v5
	v_fmac_f32_e32 v67, v9, v2
	v_fma_f32 v8, v8, v4, -v72
	v_mul_f32_e32 v72, v58, v3
	v_mul_f32_e32 v3, v57, v3
	v_fmac_f32_e32 v70, v9, v4
	v_add_f32_e32 v67, v68, v67
	v_add_f32_e32 v6, v6, v8
	v_fma_f32 v8, v57, v2, -v72
	v_fmac_f32_e32 v3, v58, v2
	v_mul_f32_e32 v2, v58, v5
	v_mul_f32_e32 v68, v57, v5
	v_add_f32_e32 v9, v71, v70
	v_add_f32_e32 v8, v55, v8
	v_add_f32_e32 v7, v7, v3
	v_fma_f32 v55, v57, v4, -v2
	s_waitcnt lgkmcnt(0)
	v_mul_f32_e32 v57, v60, v52
	v_fmac_f32_e32 v68, v58, v4
	ds_read2_b64 v[2:5], v46 offset0:224 offset1:240
	v_mul_f32_e32 v70, v59, v54
	v_add_f32_e32 v55, v56, v55
	v_fma_f32 v56, v59, v51, -v57
	v_mul_f32_e32 v57, v60, v54
	v_mul_f32_e32 v58, v59, v52
	v_fmac_f32_e32 v70, v60, v53
	v_add_f32_e32 v31, v31, v68
	v_add_f32_e32 v56, v69, v56
	v_fma_f32 v57, v59, v53, -v57
	v_mul_f32_e32 v59, v64, v52
	v_mul_f32_e32 v52, v63, v52
	v_fmac_f32_e32 v58, v60, v51
	v_add_f32_e32 v60, v9, v70
	v_add_f32_e32 v57, v6, v57
	v_mul_f32_e32 v6, v64, v54
	v_fma_f32 v9, v63, v51, -v59
	v_fmac_f32_e32 v52, v64, v51
	v_mul_f32_e32 v59, v63, v54
	v_add_f32_e32 v58, v67, v58
	v_fma_f32 v6, v63, v53, -v6
	s_waitcnt lgkmcnt(0)
	v_mul_f32_e32 v51, v62, v3
	v_add_f32_e32 v63, v8, v9
	v_add_f32_e32 v67, v7, v52
	v_fmac_f32_e32 v59, v64, v53
	v_add_f32_e32 v64, v55, v6
	v_fma_f32 v55, v61, v2, -v51
	ds_read_b128 v[6:9], v44 offset:128
	ds_read2_b64 v[51:54], v47 offset1:16
	v_mul_f32_e32 v68, v61, v3
	v_mul_f32_e32 v69, v62, v5
	v_add_f32_e32 v31, v31, v59
	v_mul_f32_e32 v59, v61, v5
	v_add_f32_e32 v70, v56, v55
	v_mul_f32_e32 v56, v66, v3
	v_fmac_f32_e32 v68, v62, v2
	v_fma_f32 v55, v61, v4, -v69
	v_fmac_f32_e32 v59, v62, v4
	v_mul_f32_e32 v3, v65, v3
	v_fma_f32 v61, v65, v2, -v56
	v_mul_f32_e32 v62, v66, v5
	v_add_f32_e32 v68, v58, v68
	v_add_f32_e32 v69, v57, v55
	v_fmac_f32_e32 v3, v66, v2
	ds_read_b128 v[55:58], v44 offset:4224
	v_add_f32_e32 v72, v63, v61
	v_fma_f32 v2, v65, v4, -v62
	v_mul_f32_e32 v63, v65, v5
	s_waitcnt lgkmcnt(1)
	v_mul_f32_e32 v5, v7, v52
	v_add_f32_e32 v67, v67, v3
	v_mul_f32_e32 v65, v6, v52
	v_add_f32_e32 v73, v64, v2
	v_fmac_f32_e32 v63, v66, v4
	v_fma_f32 v64, v6, v51, -v5
	ds_read2_b64 v[2:5], v47 offset0:32 offset1:48
	v_mul_f32_e32 v66, v7, v54
	v_mul_f32_e32 v74, v6, v54
	v_add_f32_e32 v71, v60, v59
	ds_read_b128 v[59:62], v44 offset:144
	v_fmac_f32_e32 v65, v7, v51
	v_fma_f32 v6, v6, v53, -v66
	v_fmac_f32_e32 v74, v7, v53
	v_add_f32_e32 v70, v70, v64
	v_add_f32_e32 v31, v31, v63
	s_waitcnt lgkmcnt(2)
	v_mul_f32_e32 v75, v56, v52
	v_mul_f32_e32 v7, v55, v52
	v_mul_f32_e32 v52, v56, v54
	v_add_f32_e32 v6, v69, v6
	v_add_f32_e32 v71, v71, v74
	v_fma_f32 v69, v55, v51, -v75
	v_fmac_f32_e32 v7, v56, v51
	v_mul_f32_e32 v74, v55, v54
	v_fma_f32 v51, v55, v53, -v52
	v_add_f32_e32 v68, v68, v65
	s_waitcnt lgkmcnt(1)
	v_mul_f32_e32 v52, v9, v3
	v_add_f32_e32 v55, v72, v69
	v_fmac_f32_e32 v74, v56, v53
	v_add_f32_e32 v56, v73, v51
	v_add_f32_e32 v7, v67, v7
	v_fma_f32 v69, v8, v2, -v52
	ds_read2_b64 v[51:54], v47 offset0:64 offset1:80
	v_mul_f32_e32 v67, v8, v3
	v_mul_f32_e32 v72, v9, v5
	ds_read_b128 v[63:66], v44 offset:4240
	v_add_f32_e32 v69, v70, v69
	v_mul_f32_e32 v70, v8, v5
	v_fmac_f32_e32 v67, v9, v2
	v_fma_f32 v8, v8, v4, -v72
	v_mul_f32_e32 v72, v58, v3
	v_mul_f32_e32 v3, v57, v3
	v_fmac_f32_e32 v70, v9, v4
	v_add_f32_e32 v67, v68, v67
	v_add_f32_e32 v6, v6, v8
	v_fma_f32 v8, v57, v2, -v72
	v_fmac_f32_e32 v3, v58, v2
	v_mul_f32_e32 v2, v58, v5
	v_mul_f32_e32 v68, v57, v5
	v_add_f32_e32 v9, v71, v70
	v_add_f32_e32 v8, v55, v8
	;; [unrolled: 1-line block ×3, first 2 shown]
	v_fma_f32 v55, v57, v4, -v2
	s_waitcnt lgkmcnt(1)
	v_mul_f32_e32 v57, v60, v52
	v_fmac_f32_e32 v68, v58, v4
	ds_read2_b64 v[2:5], v47 offset0:96 offset1:112
	v_mul_f32_e32 v70, v59, v54
	v_add_f32_e32 v55, v56, v55
	v_fma_f32 v56, v59, v51, -v57
	v_mul_f32_e32 v57, v60, v54
	v_mul_f32_e32 v58, v59, v52
	v_fmac_f32_e32 v70, v60, v53
	v_add_f32_e32 v31, v31, v74
	v_add_f32_e32 v56, v69, v56
	v_fma_f32 v57, v59, v53, -v57
	s_waitcnt lgkmcnt(1)
	v_mul_f32_e32 v59, v64, v52
	v_mul_f32_e32 v52, v63, v52
	v_fmac_f32_e32 v58, v60, v51
	v_add_f32_e32 v60, v9, v70
	v_add_f32_e32 v57, v6, v57
	v_mul_f32_e32 v6, v64, v54
	v_fma_f32 v9, v63, v51, -v59
	v_fmac_f32_e32 v52, v64, v51
	v_mul_f32_e32 v59, v63, v54
	v_add_f32_e32 v58, v67, v58
	v_fma_f32 v6, v63, v53, -v6
	s_waitcnt lgkmcnt(0)
	v_mul_f32_e32 v51, v62, v3
	v_add_f32_e32 v63, v8, v9
	v_add_f32_e32 v67, v7, v52
	v_fmac_f32_e32 v59, v64, v53
	v_add_f32_e32 v64, v55, v6
	v_fma_f32 v55, v61, v2, -v51
	ds_read_b128 v[6:9], v44 offset:160
	ds_read2_b64 v[51:54], v47 offset0:128 offset1:144
	v_add_f32_e32 v31, v31, v68
	v_mul_f32_e32 v68, v61, v3
	v_mul_f32_e32 v69, v62, v5
	v_add_f32_e32 v70, v56, v55
	v_mul_f32_e32 v56, v66, v3
	v_add_f32_e32 v31, v31, v59
	v_mul_f32_e32 v59, v61, v5
	v_fmac_f32_e32 v68, v62, v2
	v_fma_f32 v55, v61, v4, -v69
	v_mul_f32_e32 v3, v65, v3
	v_fma_f32 v61, v65, v2, -v56
	v_fmac_f32_e32 v59, v62, v4
	v_mul_f32_e32 v62, v66, v5
	v_add_f32_e32 v68, v58, v68
	v_add_f32_e32 v69, v57, v55
	v_fmac_f32_e32 v3, v66, v2
	ds_read_b128 v[55:58], v44 offset:4256
	v_add_f32_e32 v72, v63, v61
	v_fma_f32 v2, v65, v4, -v62
	v_mul_f32_e32 v63, v65, v5
	s_waitcnt lgkmcnt(1)
	v_mul_f32_e32 v5, v7, v52
	v_add_f32_e32 v67, v67, v3
	v_mul_f32_e32 v65, v6, v52
	v_add_f32_e32 v73, v64, v2
	v_fmac_f32_e32 v63, v66, v4
	v_fma_f32 v64, v6, v51, -v5
	ds_read2_b64 v[2:5], v47 offset0:160 offset1:176
	v_mul_f32_e32 v66, v7, v54
	v_mul_f32_e32 v74, v6, v54
	v_add_f32_e32 v71, v60, v59
	ds_read_b128 v[59:62], v44 offset:176
	v_fmac_f32_e32 v65, v7, v51
	v_fma_f32 v6, v6, v53, -v66
	v_fmac_f32_e32 v74, v7, v53
	v_add_f32_e32 v70, v70, v64
	v_add_f32_e32 v31, v31, v63
	s_waitcnt lgkmcnt(2)
	v_mul_f32_e32 v75, v56, v52
	v_mul_f32_e32 v7, v55, v52
	v_mul_f32_e32 v52, v56, v54
	v_add_f32_e32 v6, v69, v6
	v_add_f32_e32 v71, v71, v74
	v_fma_f32 v69, v55, v51, -v75
	v_fmac_f32_e32 v7, v56, v51
	v_mul_f32_e32 v74, v55, v54
	v_fma_f32 v51, v55, v53, -v52
	v_add_f32_e32 v68, v68, v65
	s_waitcnt lgkmcnt(1)
	v_mul_f32_e32 v52, v9, v3
	v_add_f32_e32 v55, v72, v69
	v_fmac_f32_e32 v74, v56, v53
	v_add_f32_e32 v56, v73, v51
	v_add_f32_e32 v7, v67, v7
	v_fma_f32 v69, v8, v2, -v52
	ds_read2_b64 v[51:54], v47 offset0:192 offset1:208
	v_mul_f32_e32 v67, v8, v3
	v_mul_f32_e32 v72, v9, v5
	ds_read_b128 v[63:66], v44 offset:4272
	v_add_f32_e32 v69, v70, v69
	v_mul_f32_e32 v70, v8, v5
	v_fmac_f32_e32 v67, v9, v2
	v_fma_f32 v8, v8, v4, -v72
	v_mul_f32_e32 v72, v58, v3
	v_mul_f32_e32 v3, v57, v3
	v_fmac_f32_e32 v70, v9, v4
	v_add_f32_e32 v67, v68, v67
	v_add_f32_e32 v6, v6, v8
	v_fma_f32 v8, v57, v2, -v72
	v_fmac_f32_e32 v3, v58, v2
	v_mul_f32_e32 v2, v58, v5
	v_mul_f32_e32 v68, v57, v5
	v_add_f32_e32 v9, v71, v70
	v_add_f32_e32 v8, v55, v8
	;; [unrolled: 1-line block ×3, first 2 shown]
	v_fma_f32 v55, v57, v4, -v2
	s_waitcnt lgkmcnt(1)
	v_mul_f32_e32 v57, v60, v52
	v_fmac_f32_e32 v68, v58, v4
	ds_read2_b64 v[2:5], v47 offset0:224 offset1:240
	v_mul_f32_e32 v70, v59, v54
	v_add_f32_e32 v55, v56, v55
	v_fma_f32 v56, v59, v51, -v57
	v_mul_f32_e32 v57, v60, v54
	v_mul_f32_e32 v58, v59, v52
	v_fmac_f32_e32 v70, v60, v53
	v_add_f32_e32 v31, v31, v74
	v_add_f32_e32 v56, v69, v56
	v_fma_f32 v57, v59, v53, -v57
	s_waitcnt lgkmcnt(1)
	v_mul_f32_e32 v59, v64, v52
	v_mul_f32_e32 v52, v63, v52
	v_fmac_f32_e32 v58, v60, v51
	v_add_f32_e32 v60, v9, v70
	v_add_f32_e32 v57, v6, v57
	v_mul_f32_e32 v6, v64, v54
	v_fma_f32 v9, v63, v51, -v59
	v_fmac_f32_e32 v52, v64, v51
	v_mul_f32_e32 v59, v63, v54
	v_add_f32_e32 v58, v67, v58
	v_fma_f32 v6, v63, v53, -v6
	s_waitcnt lgkmcnt(0)
	v_mul_f32_e32 v51, v62, v3
	v_add_f32_e32 v63, v8, v9
	v_add_f32_e32 v67, v7, v52
	v_fmac_f32_e32 v59, v64, v53
	v_add_f32_e32 v64, v55, v6
	v_fma_f32 v55, v61, v2, -v51
	ds_read_b128 v[6:9], v44 offset:192
	ds_read2_b64 v[51:54], v48 offset1:16
	v_add_f32_e32 v31, v31, v68
	v_mul_f32_e32 v68, v61, v3
	v_mul_f32_e32 v69, v62, v5
	v_add_f32_e32 v70, v56, v55
	v_mul_f32_e32 v56, v66, v3
	v_add_f32_e32 v31, v31, v59
	v_mul_f32_e32 v59, v61, v5
	v_fmac_f32_e32 v68, v62, v2
	v_fma_f32 v55, v61, v4, -v69
	v_mul_f32_e32 v3, v65, v3
	v_fma_f32 v61, v65, v2, -v56
	v_fmac_f32_e32 v59, v62, v4
	v_mul_f32_e32 v62, v66, v5
	v_add_f32_e32 v68, v58, v68
	v_add_f32_e32 v69, v57, v55
	v_fmac_f32_e32 v3, v66, v2
	ds_read_b128 v[55:58], v44 offset:4288
	v_add_f32_e32 v72, v63, v61
	v_fma_f32 v2, v65, v4, -v62
	v_mul_f32_e32 v63, v65, v5
	s_waitcnt lgkmcnt(1)
	v_mul_f32_e32 v5, v7, v52
	v_add_f32_e32 v67, v67, v3
	v_mul_f32_e32 v65, v6, v52
	v_add_f32_e32 v73, v64, v2
	v_fmac_f32_e32 v63, v66, v4
	v_fma_f32 v64, v6, v51, -v5
	ds_read2_b64 v[2:5], v48 offset0:32 offset1:48
	v_mul_f32_e32 v66, v7, v54
	v_mul_f32_e32 v74, v6, v54
	v_add_f32_e32 v71, v60, v59
	ds_read_b128 v[59:62], v44 offset:208
	v_fmac_f32_e32 v65, v7, v51
	v_fma_f32 v6, v6, v53, -v66
	v_fmac_f32_e32 v74, v7, v53
	v_add_f32_e32 v70, v70, v64
	v_add_f32_e32 v31, v31, v63
	s_waitcnt lgkmcnt(2)
	v_mul_f32_e32 v75, v56, v52
	v_mul_f32_e32 v7, v55, v52
	;; [unrolled: 1-line block ×3, first 2 shown]
	v_add_f32_e32 v6, v69, v6
	v_add_f32_e32 v71, v71, v74
	v_fma_f32 v69, v55, v51, -v75
	v_fmac_f32_e32 v7, v56, v51
	v_mul_f32_e32 v74, v55, v54
	v_fma_f32 v51, v55, v53, -v52
	v_add_f32_e32 v68, v68, v65
	s_waitcnt lgkmcnt(1)
	v_mul_f32_e32 v52, v9, v3
	v_add_f32_e32 v55, v72, v69
	v_fmac_f32_e32 v74, v56, v53
	v_add_f32_e32 v56, v73, v51
	v_add_f32_e32 v7, v67, v7
	v_fma_f32 v69, v8, v2, -v52
	ds_read2_b64 v[51:54], v48 offset0:64 offset1:80
	v_mul_f32_e32 v67, v8, v3
	v_mul_f32_e32 v72, v9, v5
	ds_read_b128 v[63:66], v44 offset:4304
	v_add_f32_e32 v69, v70, v69
	v_mul_f32_e32 v70, v8, v5
	v_fmac_f32_e32 v67, v9, v2
	v_fma_f32 v8, v8, v4, -v72
	v_mul_f32_e32 v72, v58, v3
	v_mul_f32_e32 v3, v57, v3
	v_fmac_f32_e32 v70, v9, v4
	v_add_f32_e32 v67, v68, v67
	v_add_f32_e32 v6, v6, v8
	v_fma_f32 v8, v57, v2, -v72
	v_fmac_f32_e32 v3, v58, v2
	v_mul_f32_e32 v2, v58, v5
	v_mul_f32_e32 v68, v57, v5
	v_add_f32_e32 v9, v71, v70
	v_add_f32_e32 v8, v55, v8
	;; [unrolled: 1-line block ×3, first 2 shown]
	v_fma_f32 v55, v57, v4, -v2
	s_waitcnt lgkmcnt(1)
	v_mul_f32_e32 v57, v60, v52
	v_fmac_f32_e32 v68, v58, v4
	ds_read2_b64 v[2:5], v48 offset0:96 offset1:112
	v_mul_f32_e32 v70, v59, v54
	v_add_f32_e32 v55, v56, v55
	v_fma_f32 v56, v59, v51, -v57
	v_mul_f32_e32 v57, v60, v54
	v_mul_f32_e32 v58, v59, v52
	v_fmac_f32_e32 v70, v60, v53
	v_add_f32_e32 v31, v31, v74
	v_add_f32_e32 v56, v69, v56
	v_fma_f32 v57, v59, v53, -v57
	s_waitcnt lgkmcnt(1)
	v_mul_f32_e32 v59, v64, v52
	v_mul_f32_e32 v52, v63, v52
	v_fmac_f32_e32 v58, v60, v51
	v_add_f32_e32 v60, v9, v70
	v_add_f32_e32 v57, v6, v57
	v_mul_f32_e32 v6, v64, v54
	v_fma_f32 v9, v63, v51, -v59
	v_fmac_f32_e32 v52, v64, v51
	v_mul_f32_e32 v59, v63, v54
	v_add_f32_e32 v31, v31, v68
	v_fma_f32 v6, v63, v53, -v6
	s_waitcnt lgkmcnt(0)
	v_mul_f32_e32 v51, v62, v3
	v_add_f32_e32 v58, v67, v58
	v_add_f32_e32 v63, v8, v9
	;; [unrolled: 1-line block ×3, first 2 shown]
	v_fmac_f32_e32 v59, v64, v53
	v_add_f32_e32 v64, v55, v6
	v_fma_f32 v55, v61, v2, -v51
	ds_read_b128 v[6:9], v44 offset:224
	ds_read2_b64 v[51:54], v48 offset0:128 offset1:144
	v_mul_f32_e32 v68, v61, v3
	v_mul_f32_e32 v69, v62, v5
	v_add_f32_e32 v31, v31, v59
	v_mul_f32_e32 v59, v61, v5
	s_add_u32 s16, s16, 32
	v_fmac_f32_e32 v68, v62, v2
	v_fma_f32 v61, v61, v4, -v69
	v_add_f32_e32 v69, v56, v55
	v_mul_f32_e32 v55, v66, v3
	v_fmac_f32_e32 v59, v62, v4
	v_add_f32_e32 v68, v58, v68
	v_add_f32_e32 v70, v57, v61
	v_mul_f32_e32 v3, v65, v3
	v_fma_f32 v61, v65, v2, -v55
	v_add_f32_e32 v71, v60, v59
	v_mul_f32_e32 v59, v66, v5
	ds_read_b128 v[55:58], v44 offset:4320
	v_fmac_f32_e32 v3, v66, v2
	v_add_f32_e32 v72, v63, v61
	v_mul_f32_e32 v63, v65, v5
	v_fma_f32 v2, v65, v4, -v59
	s_waitcnt lgkmcnt(1)
	v_mul_f32_e32 v5, v7, v52
	v_add_f32_e32 v67, v67, v3
	v_mul_f32_e32 v65, v7, v54
	v_fmac_f32_e32 v63, v66, v4
	v_add_f32_e32 v73, v64, v2
	v_fma_f32 v64, v6, v51, -v5
	ds_read2_b64 v[2:5], v48 offset0:160 offset1:176
	ds_read_b128 v[59:62], v44 offset:240
	v_mul_f32_e32 v74, v6, v52
	v_mul_f32_e32 v75, v6, v54
	v_fma_f32 v6, v6, v53, -v65
	v_add_f32_e32 v69, v69, v64
	v_add_f32_e32 v31, v31, v63
	v_fmac_f32_e32 v74, v7, v51
	v_fmac_f32_e32 v75, v7, v53
	s_waitcnt lgkmcnt(2)
	v_mul_f32_e32 v76, v56, v52
	v_mul_f32_e32 v7, v55, v52
	v_add_f32_e32 v6, v70, v6
	v_mul_f32_e32 v70, v56, v54
	v_add_f32_e32 v68, v68, v74
	v_fma_f32 v52, v55, v51, -v76
	v_fmac_f32_e32 v7, v56, v51
	v_mul_f32_e32 v74, v55, v54
	v_fma_f32 v51, v55, v53, -v70
	ds_read_b128 v[63:66], v44 offset:4336
	v_add_f32_e32 v72, v72, v52
	s_waitcnt lgkmcnt(2)
	v_mul_f32_e32 v52, v9, v3
	v_add_f32_e32 v7, v67, v7
	v_fmac_f32_e32 v74, v56, v53
	v_mul_f32_e32 v55, v8, v3
	v_add_f32_e32 v56, v73, v51
	v_fma_f32 v67, v8, v2, -v52
	ds_read2_b64 v[51:54], v48 offset0:192 offset1:208
	v_mul_f32_e32 v70, v9, v5
	v_fmac_f32_e32 v55, v9, v2
	v_add_f32_e32 v71, v71, v75
	v_add_f32_e32 v67, v69, v67
	v_mul_f32_e32 v69, v8, v5
	v_fma_f32 v8, v8, v4, -v70
	v_add_f32_e32 v55, v68, v55
	v_mul_f32_e32 v68, v58, v3
	v_mul_f32_e32 v3, v57, v3
	v_fmac_f32_e32 v69, v9, v4
	v_add_f32_e32 v6, v6, v8
	v_mul_f32_e32 v8, v58, v5
	v_fma_f32 v9, v57, v2, -v68
	v_fmac_f32_e32 v3, v58, v2
	v_add_f32_e32 v68, v71, v69
	v_mul_f32_e32 v69, v57, v5
	v_fma_f32 v2, v57, v4, -v8
	v_add_f32_e32 v8, v72, v9
	v_add_f32_e32 v7, v7, v3
	s_waitcnt lgkmcnt(0)
	v_mul_f32_e32 v9, v60, v52
	v_fmac_f32_e32 v69, v58, v4
	v_add_f32_e32 v56, v56, v2
	ds_read2_b64 v[2:5], v48 offset0:224 offset1:240
	v_mul_f32_e32 v57, v59, v52
	v_fma_f32 v9, v59, v51, -v9
	v_mul_f32_e32 v58, v60, v54
	v_add_f32_e32 v31, v31, v74
	v_add_co_ci_u32_e64 v37, null, 0, v37, s5
	v_fmac_f32_e32 v57, v60, v51
	v_add_f32_e32 v9, v67, v9
	v_mul_f32_e32 v67, v64, v52
	v_fma_f32 v58, v59, v53, -v58
	v_mul_f32_e32 v52, v63, v52
	v_add_f32_e32 v55, v55, v57
	v_add_f32_e32 v31, v31, v69
	v_fma_f32 v57, v63, v51, -v67
	v_mul_f32_e32 v69, v59, v54
	v_add_f32_e32 v6, v6, v58
	v_mul_f32_e32 v58, v64, v54
	v_fmac_f32_e32 v52, v64, v51
	v_add_f32_e32 v8, v8, v57
	v_mul_f32_e32 v51, v63, v54
	s_waitcnt lgkmcnt(0)
	v_mul_f32_e32 v57, v62, v3
	v_fmac_f32_e32 v69, v60, v53
	v_fma_f32 v54, v63, v53, -v58
	v_add_f32_e32 v7, v7, v52
	v_fmac_f32_e32 v51, v64, v53
	v_fma_f32 v52, v61, v2, -v57
	v_mul_f32_e32 v53, v62, v5
	v_mul_f32_e32 v58, v61, v3
	v_add_f32_e32 v60, v56, v54
	v_mul_f32_e32 v63, v61, v5
	v_add_f32_e32 v31, v31, v51
	v_add_f32_e32 v56, v9, v52
	v_fma_f32 v9, v61, v4, -v53
	v_mul_f32_e32 v51, v66, v3
	v_mul_f32_e32 v3, v65, v3
	v_mul_f32_e32 v52, v66, v5
	v_mul_f32_e32 v5, v65, v5
	v_add_f32_e32 v59, v68, v69
	v_fmac_f32_e32 v58, v62, v2
	v_fmac_f32_e32 v63, v62, v4
	v_add_f32_e32 v54, v6, v9
	v_fma_f32 v6, v65, v2, -v51
	v_fmac_f32_e32 v3, v66, v2
	v_fma_f32 v2, v65, v4, -v52
	v_fmac_f32_e32 v5, v66, v4
	v_add_f32_e32 v57, v55, v58
	v_add_f32_e32 v55, v59, v63
	v_add_f32_e32 v52, v8, v6
	v_add_f32_e32 v53, v7, v3
	v_add_f32_e32 v51, v60, v2
	v_add_f32_e32 v31, v31, v5
	s_addc_u32 s17, s17, 0
	s_sub_i32 s6, s16, 32
	s_cmp_ge_i32 s6, s37
	s_barrier
	buffer_gl0_inv
	s_cbranch_scc1 .LBB73_55
.LBB73_7:                               ;   Parent Loop BB73_4 Depth=1
                                        ; =>  This Inner Loop Header: Depth=2
	v_add_co_u32 v2, s5, v1, s16
	v_add_co_ci_u32_e64 v3, null, 0, s17, s5
	v_cmp_eq_u64_e64 s8, s[16:17], v[18:19]
	v_cmp_le_i64_e64 s6, s[10:11], v[2:3]
	v_cmp_gt_i64_e64 s5, v[2:3], v[12:13]
	s_and_b32 s23, s28, s8
	v_add_co_u32 v4, s8, v38, v26
	v_add_co_ci_u32_e64 v5, null, v39, v27, s8
	s_or_b32 s9, s6, s5
	s_or_b32 s8, s9, s23
	s_nor_b32 s8, s0, s8
	s_and_saveexec_b32 s9, s8
	s_xor_b32 s8, exec_lo, s9
	s_cbranch_execz .LBB73_9
; %bb.8:                                ;   in Loop: Header=BB73_7 Depth=2
	global_load_dwordx2 v[6:7], v[4:5], off
	s_waitcnt vmcnt(0)
	ds_write_b64 v43, v[6:7]
.LBB73_9:                               ;   in Loop: Header=BB73_7 Depth=2
	s_or_saveexec_b32 s8, s8
	s_xor_b32 s22, s23, -1
	s_xor_b32 exec_lo, exec_lo, s8
	s_cbranch_execz .LBB73_15
; %bb.10:                               ;   in Loop: Header=BB73_7 Depth=2
	s_and_saveexec_b32 s9, s22
	s_xor_b32 s9, exec_lo, s9
; %bb.11:                               ;   in Loop: Header=BB73_7 Depth=2
	v_mov_b32_e32 v6, v11
	v_mov_b32_e32 v7, v11
	ds_write_b64 v43, v[6:7]
; %bb.12:                               ;   in Loop: Header=BB73_7 Depth=2
	s_andn2_saveexec_b32 s9, s9
; %bb.13:                               ;   in Loop: Header=BB73_7 Depth=2
	ds_write_b64 v43, v[10:11]
; %bb.14:                               ;   in Loop: Header=BB73_7 Depth=2
	s_or_b32 exec_lo, exec_lo, s9
.LBB73_15:                              ;   in Loop: Header=BB73_7 Depth=2
	s_or_b32 exec_lo, exec_lo, s8
	v_cmp_eq_u64_e64 s8, s[16:17], v[22:23]
	v_cmp_lt_i64_e64 s9, v[14:15], v[2:3]
	s_and_b32 s8, s28, s8
	s_or_b32 s6, s6, s9
	s_or_b32 s6, s6, s8
	s_nor_b32 s6, s1, s6
	s_and_saveexec_b32 s9, s6
	s_xor_b32 s6, exec_lo, s9
	s_cbranch_execz .LBB73_17
; %bb.16:                               ;   in Loop: Header=BB73_7 Depth=2
	global_load_dwordx2 v[4:5], v[4:5], off offset:128
	s_waitcnt vmcnt(0)
	ds_write_b64 v43, v[4:5] offset:128
.LBB73_17:                              ;   in Loop: Header=BB73_7 Depth=2
	s_andn2_saveexec_b32 s6, s6
	s_cbranch_execz .LBB73_23
; %bb.18:                               ;   in Loop: Header=BB73_7 Depth=2
	s_xor_b32 s8, s8, -1
	s_and_saveexec_b32 s9, s8
	s_xor_b32 s8, exec_lo, s9
; %bb.19:                               ;   in Loop: Header=BB73_7 Depth=2
	v_mov_b32_e32 v4, v11
	v_mov_b32_e32 v5, v11
	ds_write_b64 v43, v[4:5] offset:128
; %bb.20:                               ;   in Loop: Header=BB73_7 Depth=2
	s_andn2_saveexec_b32 s8, s8
; %bb.21:                               ;   in Loop: Header=BB73_7 Depth=2
	ds_write_b64 v43, v[10:11] offset:128
; %bb.22:                               ;   in Loop: Header=BB73_7 Depth=2
	s_or_b32 exec_lo, exec_lo, s8
.LBB73_23:                              ;   in Loop: Header=BB73_7 Depth=2
	s_or_b32 exec_lo, exec_lo, s6
	v_add_co_u32 v2, s6, v2, 16
	v_add_co_ci_u32_e64 v3, null, 0, v3, s6
	v_cmp_eq_u64_e64 s8, s[16:17], v[24:25]
	v_cmp_le_i64_e64 s6, s[10:11], v[2:3]
	v_cmp_gt_i64_e64 s9, v[2:3], v[12:13]
	s_and_b32 s26, s28, s8
	v_add_co_u32 v2, s8, v40, v26
	v_add_co_ci_u32_e64 v3, null, v41, v27, s8
	s_or_b32 s9, s6, s9
	s_or_b32 s8, s9, s26
	s_nor_b32 s8, s0, s8
	s_and_saveexec_b32 s9, s8
	s_xor_b32 s8, exec_lo, s9
	s_cbranch_execz .LBB73_25
; %bb.24:                               ;   in Loop: Header=BB73_7 Depth=2
	global_load_dwordx2 v[4:5], v[2:3], off
	s_waitcnt vmcnt(0)
	ds_write_b64 v43, v[4:5] offset:4096
.LBB73_25:                              ;   in Loop: Header=BB73_7 Depth=2
	s_andn2_saveexec_b32 s8, s8
	s_cbranch_execz .LBB73_31
; %bb.26:                               ;   in Loop: Header=BB73_7 Depth=2
	s_xor_b32 s9, s26, -1
	s_and_saveexec_b32 s26, s9
	s_xor_b32 s9, exec_lo, s26
; %bb.27:                               ;   in Loop: Header=BB73_7 Depth=2
	v_mov_b32_e32 v4, v11
	v_mov_b32_e32 v5, v11
	ds_write_b64 v43, v[4:5] offset:4096
; %bb.28:                               ;   in Loop: Header=BB73_7 Depth=2
	s_andn2_saveexec_b32 s9, s9
; %bb.29:                               ;   in Loop: Header=BB73_7 Depth=2
	ds_write_b64 v43, v[10:11] offset:4096
; %bb.30:                               ;   in Loop: Header=BB73_7 Depth=2
	s_or_b32 exec_lo, exec_lo, s9
.LBB73_31:                              ;   in Loop: Header=BB73_7 Depth=2
	s_or_b32 exec_lo, exec_lo, s8
	s_or_b32 s5, s6, s5
	s_or_b32 s5, s5, s23
	s_nor_b32 s5, s1, s5
	s_and_saveexec_b32 s6, s5
	s_xor_b32 s5, exec_lo, s6
	s_cbranch_execz .LBB73_33
; %bb.32:                               ;   in Loop: Header=BB73_7 Depth=2
	global_load_dwordx2 v[2:3], v[2:3], off offset:128
	s_waitcnt vmcnt(0)
	ds_write_b64 v43, v[2:3] offset:4224
.LBB73_33:                              ;   in Loop: Header=BB73_7 Depth=2
	s_andn2_saveexec_b32 s5, s5
	s_cbranch_execz .LBB73_39
; %bb.34:                               ;   in Loop: Header=BB73_7 Depth=2
	s_and_saveexec_b32 s6, s22
	s_xor_b32 s6, exec_lo, s6
; %bb.35:                               ;   in Loop: Header=BB73_7 Depth=2
	v_mov_b32_e32 v2, v11
	v_mov_b32_e32 v3, v11
	ds_write_b64 v43, v[2:3] offset:4224
; %bb.36:                               ;   in Loop: Header=BB73_7 Depth=2
	s_andn2_saveexec_b32 s6, s6
; %bb.37:                               ;   in Loop: Header=BB73_7 Depth=2
	ds_write_b64 v43, v[10:11] offset:4224
; %bb.38:                               ;   in Loop: Header=BB73_7 Depth=2
	s_or_b32 exec_lo, exec_lo, s6
.LBB73_39:                              ;   in Loop: Header=BB73_7 Depth=2
	s_or_b32 exec_lo, exec_lo, s5
	v_add_co_u32 v2, s5, v0, s16
	v_add_co_ci_u32_e64 v3, null, 0, s17, s5
	v_cmp_gt_i64_e64 s5, s[10:11], v[2:3]
	s_and_b32 s6, vcc_lo, s5
	s_xor_b32 s6, s6, -1
	s_and_saveexec_b32 s8, s6
	s_xor_b32 s6, exec_lo, s8
; %bb.40:                               ;   in Loop: Header=BB73_7 Depth=2
	v_mov_b32_e32 v4, v11
	v_mov_b32_e32 v5, v11
	ds_write_b64 v45, v[4:5]
; %bb.41:                               ;   in Loop: Header=BB73_7 Depth=2
	s_andn2_saveexec_b32 s6, s6
	s_cbranch_execz .LBB73_43
; %bb.42:                               ;   in Loop: Header=BB73_7 Depth=2
	global_load_dwordx2 v[4:5], v[34:35], off offset:-128
	s_waitcnt vmcnt(0)
	ds_write_b64 v45, v[4:5]
.LBB73_43:                              ;   in Loop: Header=BB73_7 Depth=2
	s_or_b32 exec_lo, exec_lo, s6
	v_cmp_gt_i64_e64 s6, s[18:19], v[2:3]
	s_and_b32 s8, vcc_lo, s6
	s_xor_b32 s8, s8, -1
	s_and_saveexec_b32 s9, s8
	s_xor_b32 s8, exec_lo, s9
; %bb.44:                               ;   in Loop: Header=BB73_7 Depth=2
	v_mov_b32_e32 v2, v11
	v_mov_b32_e32 v3, v11
	ds_write_b64 v45, v[2:3] offset:128
; %bb.45:                               ;   in Loop: Header=BB73_7 Depth=2
	s_andn2_saveexec_b32 s8, s8
	s_cbranch_execz .LBB73_47
; %bb.46:                               ;   in Loop: Header=BB73_7 Depth=2
	global_load_dwordx2 v[2:3], v[34:35], off
	s_waitcnt vmcnt(0)
	ds_write_b64 v45, v[2:3] offset:128
.LBB73_47:                              ;   in Loop: Header=BB73_7 Depth=2
	s_or_b32 exec_lo, exec_lo, s8
	s_and_b32 s5, s4, s5
	s_xor_b32 s5, s5, -1
	s_and_saveexec_b32 s8, s5
	s_xor_b32 s5, exec_lo, s8
; %bb.48:                               ;   in Loop: Header=BB73_7 Depth=2
	v_mov_b32_e32 v2, v11
	v_mov_b32_e32 v3, v11
	ds_write_b64 v45, v[2:3] offset:4096
; %bb.49:                               ;   in Loop: Header=BB73_7 Depth=2
	s_andn2_saveexec_b32 s5, s5
	s_cbranch_execz .LBB73_51
; %bb.50:                               ;   in Loop: Header=BB73_7 Depth=2
	global_load_dwordx2 v[2:3], v[36:37], off offset:-128
	s_waitcnt vmcnt(0)
	ds_write_b64 v45, v[2:3] offset:4096
.LBB73_51:                              ;   in Loop: Header=BB73_7 Depth=2
	s_or_b32 exec_lo, exec_lo, s5
	s_and_b32 s5, s4, s6
	s_xor_b32 s5, s5, -1
	s_and_saveexec_b32 s6, s5
	s_xor_b32 s5, exec_lo, s6
; %bb.52:                               ;   in Loop: Header=BB73_7 Depth=2
	v_mov_b32_e32 v2, v11
	v_mov_b32_e32 v3, v11
	ds_write_b64 v45, v[2:3] offset:4224
; %bb.53:                               ;   in Loop: Header=BB73_7 Depth=2
	s_andn2_saveexec_b32 s5, s5
	s_cbranch_execz .LBB73_6
; %bb.54:                               ;   in Loop: Header=BB73_7 Depth=2
	global_load_dwordx2 v[2:3], v[36:37], off
	s_waitcnt vmcnt(0)
	ds_write_b64 v45, v[2:3] offset:4224
	s_branch .LBB73_6
.LBB73_55:                              ;   in Loop: Header=BB73_4 Depth=1
	v_mul_lo_u32 v4, s41, v49
	v_mul_lo_u32 v5, s40, v50
	v_mad_u64_u32 v[2:3], null, s40, v49, 0
	v_cmp_gt_i32_e32 vcc_lo, s30, v49
	v_add3_u32 v3, v3, v5, v4
	v_lshlrev_b64 v[2:3], 3, v[2:3]
	v_add_co_u32 v2, s4, s35, v2
	v_add_co_ci_u32_e64 v3, null, s36, v3, s4
	s_and_b32 s4, s2, vcc_lo
	s_and_saveexec_b32 s5, s4
	s_cbranch_execz .LBB73_57
; %bb.56:                               ;   in Loop: Header=BB73_4 Depth=1
	v_add_co_u32 v4, s4, v2, v26
	v_add_co_ci_u32_e64 v5, null, v3, v27, s4
	v_mul_f32_e32 v8, s33, v57
	v_mul_f32_e32 v9, s31, v57
	global_load_dwordx2 v[6:7], v[4:5], off
	v_fma_f32 v8, v56, s31, -v8
	v_fmac_f32_e32 v9, s33, v56
	s_waitcnt vmcnt(0)
	v_add_f32_e32 v6, v6, v8
	v_add_f32_e32 v7, v9, v7
	global_store_dwordx2 v[4:5], v[6:7], off
.LBB73_57:                              ;   in Loop: Header=BB73_4 Depth=1
	s_or_b32 exec_lo, exec_lo, s5
	s_and_b32 s5, s3, vcc_lo
	s_and_saveexec_b32 s4, s5
	s_cbranch_execz .LBB73_59
; %bb.58:                               ;   in Loop: Header=BB73_4 Depth=1
	v_add_co_u32 v2, vcc_lo, v2, v32
	v_add_co_ci_u32_e64 v3, null, v3, v33, vcc_lo
	v_mul_f32_e32 v6, s33, v55
	v_mul_f32_e32 v7, s31, v55
	global_load_dwordx2 v[4:5], v[2:3], off
	v_fma_f32 v6, v54, s31, -v6
	v_fmac_f32_e32 v7, s33, v54
	s_waitcnt vmcnt(0)
	v_add_f32_e32 v4, v4, v6
	v_add_f32_e32 v5, v7, v5
	global_store_dwordx2 v[2:3], v[4:5], off
.LBB73_59:                              ;   in Loop: Header=BB73_4 Depth=1
	s_or_b32 exec_lo, exec_lo, s4
	v_add_nc_u32_e32 v4, 16, v49
	v_ashrrev_i32_e32 v5, 31, v4
	v_mul_lo_u32 v6, s41, v4
	v_mad_u64_u32 v[2:3], null, s40, v4, 0
	v_cmp_gt_i32_e32 vcc_lo, s30, v4
	v_mul_lo_u32 v5, s40, v5
	v_add3_u32 v3, v3, v5, v6
	v_lshlrev_b64 v[2:3], 3, v[2:3]
	v_add_co_u32 v2, s4, s35, v2
	v_add_co_ci_u32_e64 v3, null, s36, v3, s4
	s_and_b32 s4, s2, vcc_lo
	s_and_saveexec_b32 s5, s4
	s_cbranch_execz .LBB73_61
; %bb.60:                               ;   in Loop: Header=BB73_4 Depth=1
	v_add_co_u32 v4, s4, v2, v26
	v_add_co_ci_u32_e64 v5, null, v3, v27, s4
	v_mul_f32_e32 v8, s33, v53
	v_mul_f32_e32 v9, s31, v53
	global_load_dwordx2 v[6:7], v[4:5], off
	v_fma_f32 v8, v52, s31, -v8
	v_fmac_f32_e32 v9, s33, v52
	s_waitcnt vmcnt(0)
	v_add_f32_e32 v6, v6, v8
	v_add_f32_e32 v7, v9, v7
	global_store_dwordx2 v[4:5], v[6:7], off
.LBB73_61:                              ;   in Loop: Header=BB73_4 Depth=1
	s_or_b32 exec_lo, exec_lo, s5
	s_and_b32 s5, s3, vcc_lo
	s_and_saveexec_b32 s4, s5
	s_cbranch_execz .LBB73_3
; %bb.62:                               ;   in Loop: Header=BB73_4 Depth=1
	v_add_co_u32 v2, vcc_lo, v2, v32
	v_add_co_ci_u32_e64 v3, null, v3, v33, vcc_lo
	v_mul_f32_e32 v6, s33, v31
	v_mul_f32_e32 v7, s31, v31
	global_load_dwordx2 v[4:5], v[2:3], off
	v_fma_f32 v6, v51, s31, -v6
	v_fmac_f32_e32 v7, s33, v51
	s_waitcnt vmcnt(0)
	v_add_f32_e32 v4, v4, v6
	v_add_f32_e32 v5, v7, v5
	global_store_dwordx2 v[2:3], v[4:5], off
	s_branch .LBB73_3
.LBB73_63:
	s_endpgm
	.section	.rodata,"a",@progbits
	.p2align	6, 0x0
	.amdhsa_kernel _ZL30rocblas_trmm_outofplace_kernelI19rocblas_complex_numIfELi32ELi2ELb1ELb0ELb0ELb0ES1_KS1_S1_Ev17rocblas_diagonal_iiT6_lPT7_lllS6_lllPT8_llli
		.amdhsa_group_segment_fixed_size 16384
		.amdhsa_private_segment_fixed_size 0
		.amdhsa_kernarg_size 392
		.amdhsa_user_sgpr_count 6
		.amdhsa_user_sgpr_private_segment_buffer 1
		.amdhsa_user_sgpr_dispatch_ptr 0
		.amdhsa_user_sgpr_queue_ptr 0
		.amdhsa_user_sgpr_kernarg_segment_ptr 1
		.amdhsa_user_sgpr_dispatch_id 0
		.amdhsa_user_sgpr_flat_scratch_init 0
		.amdhsa_user_sgpr_private_segment_size 0
		.amdhsa_wavefront_size32 1
		.amdhsa_uses_dynamic_stack 0
		.amdhsa_system_sgpr_private_segment_wavefront_offset 0
		.amdhsa_system_sgpr_workgroup_id_x 1
		.amdhsa_system_sgpr_workgroup_id_y 1
		.amdhsa_system_sgpr_workgroup_id_z 1
		.amdhsa_system_sgpr_workgroup_info 0
		.amdhsa_system_vgpr_workitem_id 1
		.amdhsa_next_free_vgpr 88
		.amdhsa_next_free_sgpr 48
		.amdhsa_reserve_vcc 1
		.amdhsa_reserve_flat_scratch 0
		.amdhsa_float_round_mode_32 0
		.amdhsa_float_round_mode_16_64 0
		.amdhsa_float_denorm_mode_32 3
		.amdhsa_float_denorm_mode_16_64 3
		.amdhsa_dx10_clamp 1
		.amdhsa_ieee_mode 1
		.amdhsa_fp16_overflow 0
		.amdhsa_workgroup_processor_mode 1
		.amdhsa_memory_ordered 1
		.amdhsa_forward_progress 1
		.amdhsa_shared_vgpr_count 0
		.amdhsa_exception_fp_ieee_invalid_op 0
		.amdhsa_exception_fp_denorm_src 0
		.amdhsa_exception_fp_ieee_div_zero 0
		.amdhsa_exception_fp_ieee_overflow 0
		.amdhsa_exception_fp_ieee_underflow 0
		.amdhsa_exception_fp_ieee_inexact 0
		.amdhsa_exception_int_div_zero 0
	.end_amdhsa_kernel
	.section	.text._ZL30rocblas_trmm_outofplace_kernelI19rocblas_complex_numIfELi32ELi2ELb1ELb0ELb0ELb0ES1_KS1_S1_Ev17rocblas_diagonal_iiT6_lPT7_lllS6_lllPT8_llli,"axG",@progbits,_ZL30rocblas_trmm_outofplace_kernelI19rocblas_complex_numIfELi32ELi2ELb1ELb0ELb0ELb0ES1_KS1_S1_Ev17rocblas_diagonal_iiT6_lPT7_lllS6_lllPT8_llli,comdat
.Lfunc_end73:
	.size	_ZL30rocblas_trmm_outofplace_kernelI19rocblas_complex_numIfELi32ELi2ELb1ELb0ELb0ELb0ES1_KS1_S1_Ev17rocblas_diagonal_iiT6_lPT7_lllS6_lllPT8_llli, .Lfunc_end73-_ZL30rocblas_trmm_outofplace_kernelI19rocblas_complex_numIfELi32ELi2ELb1ELb0ELb0ELb0ES1_KS1_S1_Ev17rocblas_diagonal_iiT6_lPT7_lllS6_lllPT8_llli
                                        ; -- End function
	.set _ZL30rocblas_trmm_outofplace_kernelI19rocblas_complex_numIfELi32ELi2ELb1ELb0ELb0ELb0ES1_KS1_S1_Ev17rocblas_diagonal_iiT6_lPT7_lllS6_lllPT8_llli.num_vgpr, 88
	.set _ZL30rocblas_trmm_outofplace_kernelI19rocblas_complex_numIfELi32ELi2ELb1ELb0ELb0ELb0ES1_KS1_S1_Ev17rocblas_diagonal_iiT6_lPT7_lllS6_lllPT8_llli.num_agpr, 0
	.set _ZL30rocblas_trmm_outofplace_kernelI19rocblas_complex_numIfELi32ELi2ELb1ELb0ELb0ELb0ES1_KS1_S1_Ev17rocblas_diagonal_iiT6_lPT7_lllS6_lllPT8_llli.numbered_sgpr, 48
	.set _ZL30rocblas_trmm_outofplace_kernelI19rocblas_complex_numIfELi32ELi2ELb1ELb0ELb0ELb0ES1_KS1_S1_Ev17rocblas_diagonal_iiT6_lPT7_lllS6_lllPT8_llli.num_named_barrier, 0
	.set _ZL30rocblas_trmm_outofplace_kernelI19rocblas_complex_numIfELi32ELi2ELb1ELb0ELb0ELb0ES1_KS1_S1_Ev17rocblas_diagonal_iiT6_lPT7_lllS6_lllPT8_llli.private_seg_size, 0
	.set _ZL30rocblas_trmm_outofplace_kernelI19rocblas_complex_numIfELi32ELi2ELb1ELb0ELb0ELb0ES1_KS1_S1_Ev17rocblas_diagonal_iiT6_lPT7_lllS6_lllPT8_llli.uses_vcc, 1
	.set _ZL30rocblas_trmm_outofplace_kernelI19rocblas_complex_numIfELi32ELi2ELb1ELb0ELb0ELb0ES1_KS1_S1_Ev17rocblas_diagonal_iiT6_lPT7_lllS6_lllPT8_llli.uses_flat_scratch, 0
	.set _ZL30rocblas_trmm_outofplace_kernelI19rocblas_complex_numIfELi32ELi2ELb1ELb0ELb0ELb0ES1_KS1_S1_Ev17rocblas_diagonal_iiT6_lPT7_lllS6_lllPT8_llli.has_dyn_sized_stack, 0
	.set _ZL30rocblas_trmm_outofplace_kernelI19rocblas_complex_numIfELi32ELi2ELb1ELb0ELb0ELb0ES1_KS1_S1_Ev17rocblas_diagonal_iiT6_lPT7_lllS6_lllPT8_llli.has_recursion, 0
	.set _ZL30rocblas_trmm_outofplace_kernelI19rocblas_complex_numIfELi32ELi2ELb1ELb0ELb0ELb0ES1_KS1_S1_Ev17rocblas_diagonal_iiT6_lPT7_lllS6_lllPT8_llli.has_indirect_call, 0
	.section	.AMDGPU.csdata,"",@progbits
; Kernel info:
; codeLenInByte = 6532
; TotalNumSgprs: 50
; NumVgprs: 88
; ScratchSize: 0
; MemoryBound: 1
; FloatMode: 240
; IeeeMode: 1
; LDSByteSize: 16384 bytes/workgroup (compile time only)
; SGPRBlocks: 0
; VGPRBlocks: 10
; NumSGPRsForWavesPerEU: 50
; NumVGPRsForWavesPerEU: 88
; Occupancy: 10
; WaveLimiterHint : 0
; COMPUTE_PGM_RSRC2:SCRATCH_EN: 0
; COMPUTE_PGM_RSRC2:USER_SGPR: 6
; COMPUTE_PGM_RSRC2:TRAP_HANDLER: 0
; COMPUTE_PGM_RSRC2:TGID_X_EN: 1
; COMPUTE_PGM_RSRC2:TGID_Y_EN: 1
; COMPUTE_PGM_RSRC2:TGID_Z_EN: 1
; COMPUTE_PGM_RSRC2:TIDIG_COMP_CNT: 1
	.section	.text._ZL30rocblas_trmm_outofplace_kernelI19rocblas_complex_numIfELi32ELi2ELb1ELb1ELb0ELb0EPKS1_S2_S1_Ev17rocblas_diagonal_iiT6_lPT7_lllS7_lllPT8_llli,"axG",@progbits,_ZL30rocblas_trmm_outofplace_kernelI19rocblas_complex_numIfELi32ELi2ELb1ELb1ELb0ELb0EPKS1_S2_S1_Ev17rocblas_diagonal_iiT6_lPT7_lllS7_lllPT8_llli,comdat
	.globl	_ZL30rocblas_trmm_outofplace_kernelI19rocblas_complex_numIfELi32ELi2ELb1ELb1ELb0ELb0EPKS1_S2_S1_Ev17rocblas_diagonal_iiT6_lPT7_lllS7_lllPT8_llli ; -- Begin function _ZL30rocblas_trmm_outofplace_kernelI19rocblas_complex_numIfELi32ELi2ELb1ELb1ELb0ELb0EPKS1_S2_S1_Ev17rocblas_diagonal_iiT6_lPT7_lllS7_lllPT8_llli
	.p2align	8
	.type	_ZL30rocblas_trmm_outofplace_kernelI19rocblas_complex_numIfELi32ELi2ELb1ELb1ELb0ELb0EPKS1_S2_S1_Ev17rocblas_diagonal_iiT6_lPT7_lllS7_lllPT8_llli,@function
_ZL30rocblas_trmm_outofplace_kernelI19rocblas_complex_numIfELi32ELi2ELb1ELb1ELb0ELb0EPKS1_S2_S1_Ev17rocblas_diagonal_iiT6_lPT7_lllS7_lllPT8_llli: ; @_ZL30rocblas_trmm_outofplace_kernelI19rocblas_complex_numIfELi32ELi2ELb1ELb1ELb0ELb0EPKS1_S2_S1_Ev17rocblas_diagonal_iiT6_lPT7_lllS7_lllPT8_llli
; %bb.0:
	s_load_dwordx16 s[12:27], s[4:5], 0x10
	s_waitcnt lgkmcnt(0)
	s_mul_i32 s0, s15, s8
	s_mul_hi_u32 s1, s14, s8
	s_add_i32 s1, s1, s0
	s_mul_i32 s0, s14, s8
	s_lshl_b64 s[0:1], s[0:1], 3
	s_add_u32 s0, s12, s0
	s_addc_u32 s1, s13, s1
	s_load_dwordx2 s[10:11], s[0:1], 0x0
	s_waitcnt lgkmcnt(0)
	s_or_b32 s0, s10, s11
	s_bitset0_b32 s0, 31
	s_cmp_eq_u32 s0, 0
	s_cbranch_scc1 .LBB74_64
; %bb.1:
	s_load_dwordx4 s[12:15], s[4:5], 0x0
	s_waitcnt lgkmcnt(0)
	s_add_i32 s0, s14, -1
	s_ashr_i32 s1, s0, 31
	s_lshr_b32 s1, s1, 27
	s_add_i32 s0, s0, s1
	s_ashr_i32 s15, s0, 5
	s_cmp_gt_i32 s7, s15
	s_cbranch_scc1 .LBB74_64
; %bb.2:
	s_clause 0x1
	s_load_dwordx4 s[28:31], s[4:5], 0x70
	s_load_dwordx8 s[36:43], s[4:5], 0x50
	s_mul_i32 s1, s23, s8
	s_mul_hi_u32 s2, s22, s8
	s_mul_i32 s0, s22, s8
	s_add_i32 s1, s2, s1
	s_load_dword s33, s[4:5], 0x8c
	s_lshl_b64 s[34:35], s[0:1], 3
	v_lshlrev_b32_e32 v2, 8, v1
	s_add_u32 s0, s16, s34
	s_addc_u32 s1, s17, s35
	s_lshl_b64 s[46:47], s[18:19], 3
	v_lshlrev_b32_e32 v42, 3, v0
	s_add_u32 s3, s0, s46
	s_addc_u32 s4, s1, s47
	v_add_nc_u32_e32 v43, 0x2000, v2
	s_mov_b32 s22, s13
	v_add_nc_u32_e32 v44, v42, v2
	v_lshl_add_u32 v30, s7, 5, v1
	v_mov_b32_e32 v33, 0
	s_waitcnt lgkmcnt(0)
	s_mul_i32 s1, s31, s8
	s_mul_hi_u32 s2, s30, s8
	s_mul_i32 s0, s30, s8
	s_add_i32 s1, s2, s1
	v_add_nc_u32_e32 v45, v43, v42
	s_lshl_b64 s[0:1], s[0:1], 3
	v_mov_b32_e32 v32, 1.0
	s_add_u32 s2, s40, s0
	s_addc_u32 s5, s41, s1
	s_lshl_b64 s[0:1], s[42:43], 3
	v_add_nc_u32_e32 v46, 0x1000, v42
	s_add_u32 s40, s2, s0
	s_addc_u32 s41, s5, s1
	s_lshl_b32 s0, s6, 5
	v_add_nc_u32_e32 v47, 0x1800, v42
	v_add_nc_u32_e32 v10, s0, v1
	;; [unrolled: 1-line block ×3, first 2 shown]
	s_sub_i32 s42, s13, s0
	s_cmp_gt_i32 s42, 0
	v_ashrrev_i32_e32 v11, 31, v10
	v_mul_lo_u32 v0, s21, v10
	v_mad_u64_u32 v[2:3], null, s20, v10, 0
	v_ashrrev_i32_e32 v13, 31, v12
	v_mul_lo_u32 v4, s20, v11
	v_add_co_u32 v16, vcc_lo, v12, 16
	s_cselect_b32 s43, -1, 0
	v_add_co_ci_u32_e64 v17, null, 0, v13, vcc_lo
	s_cmpk_eq_i32 s12, 0x84
	v_add_nc_u32_e32 v14, 16, v12
	v_add3_u32 v3, v3, v4, v0
	s_cselect_b32 s44, -1, 0
	s_ashr_i32 s23, s13, 31
	s_ashr_i32 s45, s14, 31
	s_lshl_b64 s[18:19], s[20:21], 8
	v_lshlrev_b64 v[2:3], 3, v[2:3]
	s_add_u32 s30, s13, -16
	s_addc_u32 s31, s23, -1
	v_cmp_le_i64_e64 s2, s[22:23], v[16:17]
	v_lshlrev_b64 v[28:29], 3, v[12:13]
	v_cmp_le_i32_e64 s0, s13, v12
	v_add_co_u32 v18, vcc_lo, s3, v2
	v_add_co_ci_u32_e64 v19, null, s4, v3, vcc_lo
	v_sub_co_u32 v20, vcc_lo, v12, v10
	v_lshlrev_b64 v[2:3], 3, v[10:11]
	v_sub_co_ci_u32_e64 v21, null, v13, v11, vcc_lo
	v_add_co_u32 v22, vcc_lo, v20, 16
	s_add_u32 s4, s16, s46
	v_add_co_ci_u32_e64 v23, null, 0, v21, vcc_lo
	v_add_co_u32 v0, vcc_lo, 0x80, v2
	v_add_co_ci_u32_e64 v2, null, 0, v3, vcc_lo
	s_addc_u32 s5, s17, s47
	s_add_u32 s4, s4, s34
	s_addc_u32 s5, s5, s35
	v_mul_lo_u32 v2, s20, v2
	v_mad_u64_u32 v[24:25], null, s20, v0, s[4:5]
	v_mul_lo_u32 v0, s21, v0
	s_mul_i32 s4, s39, s8
	s_mul_hi_u32 s5, s38, s8
	v_add_co_u32 v26, vcc_lo, v20, -16
	s_add_i32 s5, s5, s4
	s_mul_i32 s4, s38, s8
	s_lshl_b64 s[8:9], s[26:27], 3
	s_lshl_b64 s[4:5], s[4:5], 3
	v_cmp_gt_i32_e64 s1, s13, v12
	s_add_u32 s4, s4, s8
	s_addc_u32 s5, s5, s9
	v_cmp_gt_i32_e64 s3, s13, v14
	v_ashrrev_i32_e32 v15, 31, v14
	v_add_co_ci_u32_e64 v27, null, -1, v21, vcc_lo
	v_add3_u32 v25, v0, v25, v2
	s_add_u32 s12, s24, s4
	v_add_nc_u32_e32 v0, 0x800, v42
	s_addc_u32 s13, s25, s5
	s_add_u32 s16, s12, 0x80
	s_addc_u32 s17, s13, 0
	s_lshl_b64 s[20:21], s[36:37], 3
	s_lshl_b32 s26, s33, 5
	s_branch .LBB74_4
.LBB74_3:                               ;   in Loop: Header=BB74_4 Depth=1
	s_or_b32 exec_lo, exec_lo, s4
	v_add_nc_u32_e32 v30, s26, v30
	s_add_i32 s7, s33, s7
	s_cmp_le_i32 s7, s15
	s_cbranch_scc0 .LBB74_64
.LBB74_4:                               ; =>This Loop Header: Depth=1
                                        ;     Child Loop BB74_7 Depth 2
	v_lshl_add_u32 v48, s7, 5, v1
	s_andn2_b32 vcc_lo, exec_lo, s43
	v_ashrrev_i32_e32 v49, 31, v48
	s_cbranch_vccnz .LBB74_55
; %bb.5:                                ;   in Loop: Header=BB74_4 Depth=1
	v_ashrrev_i32_e32 v31, 31, v30
	v_mad_u64_u32 v[34:35], null, s20, v30, s[16:17]
	v_mul_lo_u32 v4, s21, v30
	v_mov_b32_e32 v39, v19
	v_lshlrev_b64 v[2:3], 3, v[30:31]
	v_mul_lo_u32 v7, s20, v31
	v_mov_b32_e32 v41, v25
	v_mov_b32_e32 v31, 0
	;; [unrolled: 1-line block ×4, first 2 shown]
	v_add_co_u32 v5, vcc_lo, 0x80, v2
	v_add_co_ci_u32_e64 v6, null, 0, v3, vcc_lo
	v_sub_co_u32 v2, vcc_lo, s14, v48
	v_mul_lo_u32 v8, s37, v5
	v_mul_lo_u32 v6, s36, v6
	v_mad_u64_u32 v[36:37], null, s36, v5, s[12:13]
	v_sub_co_ci_u32_e64 v3, null, s45, v49, vcc_lo
	v_add3_u32 v35, v4, v35, v7
	v_mov_b32_e32 v50, 0
	v_mov_b32_e32 v52, 0
	v_cmp_lt_i64_e64 s4, 16, v[2:3]
	v_add3_u32 v37, v8, v37, v6
	v_mov_b32_e32 v51, 0
	v_mov_b32_e32 v54, 0
	v_mov_b32_e32 v53, 0
	v_mov_b32_e32 v56, 0
	v_mov_b32_e32 v55, 0
	s_mov_b64 s[24:25], 0
	v_cmp_lt_i64_e32 vcc_lo, 0, v[2:3]
	s_branch .LBB74_7
.LBB74_6:                               ;   in Loop: Header=BB74_7 Depth=2
	s_or_b32 exec_lo, exec_lo, s5
	s_waitcnt lgkmcnt(0)
	s_barrier
	buffer_gl0_inv
	ds_read_b128 v[57:60], v43
	ds_read2_b64 v[61:64], v42 offset1:16
	ds_read_b128 v[65:68], v43 offset:4096
	ds_read_b128 v[69:72], v43 offset:16
	;; [unrolled: 1-line block ×4, first 2 shown]
	ds_read2_b64 v[73:76], v42 offset0:32 offset1:48
	ds_read_b128 v[77:80], v43 offset:4112
	v_add_co_u32 v40, s5, v40, s18
	v_add_co_ci_u32_e64 v41, null, s19, v41, s5
	v_add_co_u32 v34, s5, 0x100, v34
	v_add_co_ci_u32_e64 v35, null, 0, v35, s5
	;; [unrolled: 2-line block ×3, first 2 shown]
	v_add_co_u32 v36, s5, 0x100, v36
	s_waitcnt lgkmcnt(6)
	v_mul_f32_e32 v81, v58, v62
	v_mul_f32_e32 v82, v57, v62
	;; [unrolled: 1-line block ×4, first 2 shown]
	s_waitcnt lgkmcnt(5)
	v_mul_f32_e32 v85, v66, v62
	v_mul_f32_e32 v62, v65, v62
	;; [unrolled: 1-line block ×3, first 2 shown]
	v_fma_f32 v81, v57, v61, -v81
	v_fmac_f32_e32 v82, v58, v61
	v_fma_f32 v57, v57, v63, -v83
	v_fmac_f32_e32 v84, v58, v63
	;; [unrolled: 2-line block ×3, first 2 shown]
	v_fma_f32 v61, v65, v63, -v86
	v_mul_f32_e32 v64, v65, v64
	v_add_f32_e32 v57, v53, v57
	v_add_f32_e32 v58, v51, v58
	;; [unrolled: 1-line block ×3, first 2 shown]
	s_waitcnt lgkmcnt(1)
	v_mul_f32_e32 v65, v60, v74
	v_add_f32_e32 v61, v50, v61
	ds_read2_b64 v[50:53], v42 offset0:64 offset1:80
	v_add_f32_e32 v55, v55, v81
	v_fmac_f32_e32 v64, v66, v63
	v_mul_f32_e32 v63, v59, v74
	v_fma_f32 v65, v59, v73, -v65
	v_mul_f32_e32 v66, v60, v76
	v_add_f32_e32 v56, v56, v82
	v_add_f32_e32 v31, v31, v64
	v_fmac_f32_e32 v63, v60, v73
	v_mul_f32_e32 v64, v59, v76
	v_add_f32_e32 v65, v55, v65
	v_fma_f32 v55, v59, v75, -v66
	v_mul_f32_e32 v59, v68, v74
	v_add_f32_e32 v54, v54, v84
	v_add_f32_e32 v63, v56, v63
	v_fmac_f32_e32 v64, v60, v75
	v_mul_f32_e32 v56, v67, v74
	v_add_f32_e32 v60, v57, v55
	v_fma_f32 v55, v67, v73, -v59
	v_mul_f32_e32 v57, v68, v76
	v_add_f32_e32 v59, v54, v64
	v_fmac_f32_e32 v56, v68, v73
	v_mul_f32_e32 v64, v67, v76
	v_add_f32_e32 v58, v58, v55
	v_fma_f32 v54, v67, v75, -v57
	s_waitcnt lgkmcnt(0)
	v_mul_f32_e32 v55, v70, v51
	v_add_f32_e32 v62, v62, v56
	v_fmac_f32_e32 v64, v68, v75
	v_mul_f32_e32 v66, v69, v51
	v_add_f32_e32 v61, v61, v54
	v_fma_f32 v67, v69, v50, -v55
	v_mul_f32_e32 v68, v70, v53
	ds_read2_b64 v[54:57], v42 offset0:96 offset1:112
	v_fmac_f32_e32 v66, v70, v50
	v_add_f32_e32 v31, v31, v64
	v_add_f32_e32 v64, v65, v67
	v_fma_f32 v67, v69, v52, -v68
	v_mul_f32_e32 v65, v69, v53
	v_add_f32_e32 v63, v63, v66
	v_mul_f32_e32 v66, v78, v51
	v_mul_f32_e32 v51, v77, v51
	v_add_f32_e32 v60, v60, v67
	v_mul_f32_e32 v67, v78, v53
	v_fmac_f32_e32 v65, v70, v52
	v_fma_f32 v66, v77, v50, -v66
	v_fmac_f32_e32 v51, v78, v50
	v_mul_f32_e32 v68, v77, v53
	v_fma_f32 v50, v77, v52, -v67
	v_add_f32_e32 v59, v59, v65
	v_add_f32_e32 v65, v58, v66
	;; [unrolled: 1-line block ×3, first 2 shown]
	v_fmac_f32_e32 v68, v78, v52
	s_waitcnt lgkmcnt(0)
	v_mul_f32_e32 v58, v72, v55
	v_add_f32_e32 v66, v61, v50
	ds_read2_b64 v[50:53], v42 offset0:128 offset1:144
	v_mul_f32_e32 v61, v71, v55
	v_mul_f32_e32 v67, v72, v57
	v_fma_f32 v58, v71, v54, -v58
	v_add_f32_e32 v31, v31, v68
	v_mul_f32_e32 v68, v71, v57
	v_fmac_f32_e32 v61, v72, v54
	v_fma_f32 v67, v71, v56, -v67
	v_add_f32_e32 v64, v64, v58
	v_mul_f32_e32 v58, v80, v55
	v_fmac_f32_e32 v68, v72, v56
	v_mul_f32_e32 v55, v79, v55
	v_mul_f32_e32 v70, v80, v57
	v_add_f32_e32 v63, v63, v61
	v_fma_f32 v69, v79, v54, -v58
	v_add_f32_e32 v67, v60, v67
	v_add_f32_e32 v68, v59, v68
	ds_read_b128 v[58:61], v43 offset:4128
	v_fmac_f32_e32 v55, v80, v54
	v_add_f32_e32 v69, v65, v69
	v_mul_f32_e32 v65, v79, v57
	v_fma_f32 v54, v79, v56, -v70
	s_waitcnt lgkmcnt(1)
	v_mul_f32_e32 v57, v7, v51
	v_add_f32_e32 v70, v62, v55
	v_mul_f32_e32 v62, v6, v51
	v_fmac_f32_e32 v65, v80, v56
	v_add_f32_e32 v66, v66, v54
	v_fma_f32 v71, v6, v50, -v57
	ds_read2_b64 v[54:57], v42 offset0:160 offset1:176
	v_fmac_f32_e32 v62, v7, v50
	v_mul_f32_e32 v72, v7, v53
	v_mul_f32_e32 v73, v6, v53
	v_add_f32_e32 v31, v31, v65
	v_add_f32_e32 v71, v64, v71
	;; [unrolled: 1-line block ×3, first 2 shown]
	v_fma_f32 v6, v6, v52, -v72
	ds_read_b128 v[62:65], v43 offset:4144
	s_waitcnt lgkmcnt(2)
	v_mul_f32_e32 v72, v59, v51
	v_fmac_f32_e32 v73, v7, v52
	v_mul_f32_e32 v7, v58, v51
	v_mul_f32_e32 v51, v59, v53
	v_add_f32_e32 v6, v67, v6
	v_fma_f32 v67, v58, v50, -v72
	v_mul_f32_e32 v72, v58, v53
	v_fmac_f32_e32 v7, v59, v50
	v_fma_f32 v50, v58, v52, -v51
	v_add_f32_e32 v68, v68, v73
	v_add_f32_e32 v58, v69, v67
	s_waitcnt lgkmcnt(1)
	v_mul_f32_e32 v51, v9, v55
	v_fmac_f32_e32 v72, v59, v52
	v_add_f32_e32 v59, v66, v50
	v_mul_f32_e32 v69, v9, v57
	v_add_f32_e32 v7, v70, v7
	v_fma_f32 v67, v8, v54, -v51
	ds_read2_b64 v[50:53], v42 offset0:192 offset1:208
	v_mul_f32_e32 v66, v8, v55
	v_mul_f32_e32 v70, v8, v57
	v_fma_f32 v8, v8, v56, -v69
	v_mul_f32_e32 v69, v61, v55
	v_mul_f32_e32 v55, v60, v55
	v_add_f32_e32 v67, v71, v67
	v_fmac_f32_e32 v66, v9, v54
	v_add_f32_e32 v71, v6, v8
	v_fma_f32 v6, v60, v54, -v69
	v_fmac_f32_e32 v55, v61, v54
	v_mul_f32_e32 v8, v61, v57
	v_fmac_f32_e32 v70, v9, v56
	v_mul_f32_e32 v57, v60, v57
	v_add_f32_e32 v58, v58, v6
	v_add_f32_e32 v55, v7, v55
	v_fma_f32 v60, v60, v56, -v8
	ds_read2_b64 v[6:9], v42 offset0:224 offset1:240
	v_add_f32_e32 v54, v68, v70
	v_fmac_f32_e32 v57, v61, v56
	s_waitcnt lgkmcnt(1)
	v_mul_f32_e32 v68, v3, v51
	v_mul_f32_e32 v56, v2, v51
	v_add_f32_e32 v66, v74, v66
	v_add_f32_e32 v59, v59, v60
	v_mul_f32_e32 v61, v3, v53
	v_fma_f32 v60, v2, v50, -v68
	v_fmac_f32_e32 v56, v3, v50
	v_mul_f32_e32 v68, v2, v53
	v_add_f32_e32 v31, v31, v72
	v_fma_f32 v2, v2, v52, -v61
	v_add_f32_e32 v60, v67, v60
	v_add_f32_e32 v61, v66, v56
	v_fmac_f32_e32 v68, v3, v52
	v_mul_f32_e32 v3, v63, v51
	v_mul_f32_e32 v51, v62, v51
	;; [unrolled: 1-line block ×4, first 2 shown]
	s_waitcnt lgkmcnt(0)
	v_mul_f32_e32 v53, v5, v7
	v_fma_f32 v3, v62, v50, -v3
	v_fmac_f32_e32 v51, v63, v50
	v_fma_f32 v50, v62, v52, -v56
	v_add_f32_e32 v31, v31, v57
	v_add_f32_e32 v66, v54, v68
	;; [unrolled: 1-line block ×4, first 2 shown]
	v_fmac_f32_e32 v67, v63, v52
	v_add_f32_e32 v63, v59, v50
	v_fma_f32 v3, v4, v6, -v53
	ds_read_b128 v[50:53], v43 offset:64
	ds_read2_b64 v[54:57], v0 offset1:16
	v_mul_f32_e32 v59, v4, v7
	v_mul_f32_e32 v68, v5, v9
	v_add_f32_e32 v2, v71, v2
	v_add_f32_e32 v31, v31, v67
	v_mul_f32_e32 v67, v4, v9
	v_fmac_f32_e32 v59, v5, v6
	v_add_f32_e32 v69, v60, v3
	v_fma_f32 v3, v4, v8, -v68
	v_mul_f32_e32 v4, v65, v7
	v_mul_f32_e32 v7, v64, v7
	;; [unrolled: 1-line block ×3, first 2 shown]
	v_add_f32_e32 v68, v61, v59
	v_fmac_f32_e32 v67, v5, v8
	v_add_f32_e32 v70, v2, v3
	v_fma_f32 v59, v64, v6, -v4
	v_fmac_f32_e32 v7, v65, v6
	ds_read_b128 v[2:5], v43 offset:4160
	v_fma_f32 v6, v64, v8, -v60
	v_mul_f32_e32 v64, v64, v9
	s_waitcnt lgkmcnt(1)
	v_mul_f32_e32 v9, v51, v55
	v_add_f32_e32 v71, v62, v7
	v_mul_f32_e32 v62, v50, v55
	v_add_f32_e32 v72, v63, v6
	v_fmac_f32_e32 v64, v65, v8
	v_fma_f32 v63, v50, v54, -v9
	ds_read2_b64 v[6:9], v0 offset0:32 offset1:48
	v_mul_f32_e32 v65, v51, v57
	v_mul_f32_e32 v73, v50, v57
	v_add_f32_e32 v66, v66, v67
	v_add_f32_e32 v67, v58, v59
	ds_read_b128 v[58:61], v43 offset:80
	v_fmac_f32_e32 v62, v51, v54
	v_fma_f32 v50, v50, v56, -v65
	v_fmac_f32_e32 v73, v51, v56
	v_add_f32_e32 v69, v69, v63
	v_add_f32_e32 v31, v31, v64
	s_waitcnt lgkmcnt(2)
	v_mul_f32_e32 v74, v3, v55
	v_mul_f32_e32 v51, v2, v55
	;; [unrolled: 1-line block ×3, first 2 shown]
	v_add_f32_e32 v50, v70, v50
	v_add_f32_e32 v66, v66, v73
	v_fma_f32 v70, v2, v54, -v74
	v_fmac_f32_e32 v51, v3, v54
	v_mul_f32_e32 v73, v2, v57
	v_fma_f32 v2, v2, v56, -v55
	s_waitcnt lgkmcnt(1)
	v_mul_f32_e32 v54, v53, v7
	v_add_f32_e32 v67, v67, v70
	v_add_f32_e32 v51, v71, v51
	v_fmac_f32_e32 v73, v3, v56
	v_add_f32_e32 v70, v72, v2
	v_mul_f32_e32 v2, v52, v7
	v_fma_f32 v3, v52, v6, -v54
	ds_read2_b64 v[54:57], v0 offset0:64 offset1:80
	v_mul_f32_e32 v71, v53, v9
	v_add_f32_e32 v68, v68, v62
	v_fmac_f32_e32 v2, v53, v6
	v_add_f32_e32 v69, v69, v3
	v_mul_f32_e32 v3, v52, v9
	v_fma_f32 v52, v52, v8, -v71
	v_mul_f32_e32 v71, v5, v7
	v_mul_f32_e32 v7, v4, v7
	ds_read_b128 v[62:65], v43 offset:4176
	v_add_f32_e32 v68, v68, v2
	v_fmac_f32_e32 v3, v53, v8
	v_fma_f32 v2, v4, v6, -v71
	v_fmac_f32_e32 v7, v5, v6
	v_mul_f32_e32 v6, v5, v9
	v_mul_f32_e32 v9, v4, v9
	v_add_f32_e32 v50, v50, v52
	v_add_f32_e32 v52, v66, v3
	;; [unrolled: 1-line block ×3, first 2 shown]
	v_fma_f32 v6, v4, v8, -v6
	v_fmac_f32_e32 v9, v5, v8
	ds_read2_b64 v[2:5], v0 offset0:96 offset1:112
	v_add_f32_e32 v31, v31, v73
	v_add_f32_e32 v7, v51, v7
	s_waitcnt lgkmcnt(2)
	v_mul_f32_e32 v51, v59, v55
	v_mul_f32_e32 v8, v58, v55
	;; [unrolled: 1-line block ×3, first 2 shown]
	v_add_f32_e32 v31, v31, v9
	v_mul_f32_e32 v67, v58, v57
	v_fma_f32 v51, v58, v54, -v51
	v_fmac_f32_e32 v8, v59, v54
	v_fma_f32 v9, v58, v56, -v66
	v_add_f32_e32 v6, v70, v6
	v_fmac_f32_e32 v67, v59, v56
	v_add_f32_e32 v69, v69, v51
	v_add_f32_e32 v58, v68, v8
	s_waitcnt lgkmcnt(1)
	v_mul_f32_e32 v8, v63, v55
	v_mul_f32_e32 v51, v62, v55
	v_add_f32_e32 v55, v50, v9
	v_mul_f32_e32 v9, v63, v57
	v_add_f32_e32 v59, v52, v67
	v_fma_f32 v8, v62, v54, -v8
	v_fmac_f32_e32 v51, v63, v54
	v_mul_f32_e32 v54, v62, v57
	v_fma_f32 v9, v62, v56, -v9
	s_waitcnt lgkmcnt(0)
	v_mul_f32_e32 v50, v61, v3
	v_add_f32_e32 v62, v53, v8
	v_add_f32_e32 v66, v7, v51
	v_fmac_f32_e32 v54, v63, v56
	v_add_f32_e32 v63, v6, v9
	v_fma_f32 v56, v60, v2, -v50
	ds_read_b128 v[6:9], v43 offset:96
	ds_read2_b64 v[50:53], v0 offset0:128 offset1:144
	v_mul_f32_e32 v57, v60, v3
	v_mul_f32_e32 v67, v61, v5
	v_add_f32_e32 v31, v31, v54
	v_mul_f32_e32 v54, v60, v5
	v_add_f32_e32 v68, v69, v56
	v_fmac_f32_e32 v57, v61, v2
	v_fma_f32 v56, v60, v4, -v67
	v_mul_f32_e32 v60, v65, v3
	v_fmac_f32_e32 v54, v61, v4
	v_mul_f32_e32 v3, v64, v3
	v_add_f32_e32 v67, v58, v57
	v_add_f32_e32 v69, v55, v56
	v_fma_f32 v58, v64, v2, -v60
	v_mul_f32_e32 v60, v65, v5
	v_add_f32_e32 v70, v59, v54
	v_fmac_f32_e32 v3, v65, v2
	ds_read_b128 v[54:57], v43 offset:4192
	v_add_f32_e32 v71, v62, v58
	v_fma_f32 v2, v64, v4, -v60
	v_mul_f32_e32 v62, v64, v5
	s_waitcnt lgkmcnt(1)
	v_mul_f32_e32 v5, v7, v51
	v_add_f32_e32 v66, v66, v3
	v_mul_f32_e32 v64, v6, v51
	v_add_f32_e32 v72, v63, v2
	v_fmac_f32_e32 v62, v65, v4
	v_fma_f32 v63, v6, v50, -v5
	ds_read2_b64 v[2:5], v0 offset0:160 offset1:176
	v_mul_f32_e32 v65, v7, v53
	v_mul_f32_e32 v73, v6, v53
	ds_read_b128 v[58:61], v43 offset:112
	v_fmac_f32_e32 v64, v7, v50
	v_add_f32_e32 v68, v68, v63
	v_fma_f32 v6, v6, v52, -v65
	v_fmac_f32_e32 v73, v7, v52
	v_add_f32_e32 v31, v31, v62
	v_add_f32_e32 v67, v67, v64
	s_waitcnt lgkmcnt(2)
	v_mul_f32_e32 v74, v55, v51
	v_mul_f32_e32 v7, v54, v51
	;; [unrolled: 1-line block ×3, first 2 shown]
	v_add_f32_e32 v6, v69, v6
	v_add_f32_e32 v70, v70, v73
	v_fma_f32 v69, v54, v50, -v74
	v_fmac_f32_e32 v7, v55, v50
	v_mul_f32_e32 v73, v54, v53
	v_fma_f32 v50, v54, v52, -v51
	ds_read_b128 v[62:65], v43 offset:4208
	s_waitcnt lgkmcnt(2)
	v_mul_f32_e32 v51, v9, v3
	v_add_f32_e32 v54, v71, v69
	v_fmac_f32_e32 v73, v55, v52
	v_add_f32_e32 v55, v72, v50
	v_add_f32_e32 v7, v66, v7
	v_fma_f32 v69, v8, v2, -v51
	ds_read2_b64 v[50:53], v0 offset0:192 offset1:208
	v_mul_f32_e32 v66, v8, v3
	v_mul_f32_e32 v71, v9, v5
	v_add_f32_e32 v31, v31, v73
	v_add_f32_e32 v68, v68, v69
	v_mul_f32_e32 v69, v8, v5
	v_fmac_f32_e32 v66, v9, v2
	v_fma_f32 v8, v8, v4, -v71
	v_mul_f32_e32 v71, v57, v3
	v_mul_f32_e32 v3, v56, v3
	v_fmac_f32_e32 v69, v9, v4
	v_add_f32_e32 v66, v67, v66
	v_add_f32_e32 v6, v6, v8
	v_fma_f32 v8, v56, v2, -v71
	v_fmac_f32_e32 v3, v57, v2
	v_mul_f32_e32 v2, v57, v5
	v_mul_f32_e32 v67, v56, v5
	v_add_f32_e32 v9, v70, v69
	v_add_f32_e32 v8, v54, v8
	;; [unrolled: 1-line block ×3, first 2 shown]
	v_fma_f32 v54, v56, v4, -v2
	s_waitcnt lgkmcnt(0)
	v_mul_f32_e32 v56, v59, v51
	v_fmac_f32_e32 v67, v57, v4
	ds_read2_b64 v[2:5], v0 offset0:224 offset1:240
	v_mul_f32_e32 v69, v58, v53
	v_add_f32_e32 v54, v55, v54
	v_fma_f32 v55, v58, v50, -v56
	v_mul_f32_e32 v56, v59, v53
	v_mul_f32_e32 v57, v58, v51
	v_fmac_f32_e32 v69, v59, v52
	v_add_f32_e32 v31, v31, v67
	v_add_f32_e32 v55, v68, v55
	v_fma_f32 v56, v58, v52, -v56
	v_mul_f32_e32 v58, v63, v51
	v_mul_f32_e32 v51, v62, v51
	v_fmac_f32_e32 v57, v59, v50
	v_add_f32_e32 v59, v9, v69
	v_add_f32_e32 v56, v6, v56
	v_mul_f32_e32 v6, v63, v53
	v_fma_f32 v9, v62, v50, -v58
	v_fmac_f32_e32 v51, v63, v50
	v_mul_f32_e32 v58, v62, v53
	v_add_f32_e32 v57, v66, v57
	v_fma_f32 v6, v62, v52, -v6
	s_waitcnt lgkmcnt(0)
	v_mul_f32_e32 v50, v61, v3
	v_add_f32_e32 v62, v8, v9
	v_add_f32_e32 v66, v7, v51
	v_fmac_f32_e32 v58, v63, v52
	v_add_f32_e32 v63, v54, v6
	v_fma_f32 v54, v60, v2, -v50
	ds_read_b128 v[6:9], v43 offset:128
	ds_read2_b64 v[50:53], v46 offset1:16
	v_mul_f32_e32 v67, v60, v3
	v_mul_f32_e32 v68, v61, v5
	v_add_f32_e32 v31, v31, v58
	v_mul_f32_e32 v58, v60, v5
	v_add_f32_e32 v69, v55, v54
	v_mul_f32_e32 v55, v65, v3
	v_fmac_f32_e32 v67, v61, v2
	v_fma_f32 v54, v60, v4, -v68
	v_fmac_f32_e32 v58, v61, v4
	v_mul_f32_e32 v3, v64, v3
	v_fma_f32 v60, v64, v2, -v55
	v_mul_f32_e32 v61, v65, v5
	v_add_f32_e32 v67, v57, v67
	v_add_f32_e32 v68, v56, v54
	v_fmac_f32_e32 v3, v65, v2
	ds_read_b128 v[54:57], v43 offset:4224
	v_add_f32_e32 v71, v62, v60
	v_fma_f32 v2, v64, v4, -v61
	v_mul_f32_e32 v62, v64, v5
	s_waitcnt lgkmcnt(1)
	v_mul_f32_e32 v5, v7, v51
	v_add_f32_e32 v66, v66, v3
	v_mul_f32_e32 v64, v6, v51
	v_add_f32_e32 v72, v63, v2
	v_fmac_f32_e32 v62, v65, v4
	v_fma_f32 v63, v6, v50, -v5
	ds_read2_b64 v[2:5], v46 offset0:32 offset1:48
	v_mul_f32_e32 v65, v7, v53
	v_mul_f32_e32 v73, v6, v53
	v_add_f32_e32 v70, v59, v58
	ds_read_b128 v[58:61], v43 offset:144
	v_fmac_f32_e32 v64, v7, v50
	v_fma_f32 v6, v6, v52, -v65
	v_fmac_f32_e32 v73, v7, v52
	v_add_f32_e32 v69, v69, v63
	v_add_f32_e32 v31, v31, v62
	s_waitcnt lgkmcnt(2)
	v_mul_f32_e32 v74, v55, v51
	v_mul_f32_e32 v7, v54, v51
	;; [unrolled: 1-line block ×3, first 2 shown]
	v_add_f32_e32 v6, v68, v6
	v_add_f32_e32 v70, v70, v73
	v_fma_f32 v68, v54, v50, -v74
	v_fmac_f32_e32 v7, v55, v50
	v_mul_f32_e32 v73, v54, v53
	v_fma_f32 v50, v54, v52, -v51
	v_add_f32_e32 v67, v67, v64
	s_waitcnt lgkmcnt(1)
	v_mul_f32_e32 v51, v9, v3
	v_add_f32_e32 v54, v71, v68
	v_fmac_f32_e32 v73, v55, v52
	v_add_f32_e32 v55, v72, v50
	v_add_f32_e32 v7, v66, v7
	v_fma_f32 v68, v8, v2, -v51
	ds_read2_b64 v[50:53], v46 offset0:64 offset1:80
	v_mul_f32_e32 v66, v8, v3
	v_mul_f32_e32 v71, v9, v5
	ds_read_b128 v[62:65], v43 offset:4240
	v_add_f32_e32 v68, v69, v68
	v_mul_f32_e32 v69, v8, v5
	v_fmac_f32_e32 v66, v9, v2
	v_fma_f32 v8, v8, v4, -v71
	v_mul_f32_e32 v71, v57, v3
	v_mul_f32_e32 v3, v56, v3
	v_fmac_f32_e32 v69, v9, v4
	v_add_f32_e32 v66, v67, v66
	v_add_f32_e32 v6, v6, v8
	v_fma_f32 v8, v56, v2, -v71
	v_fmac_f32_e32 v3, v57, v2
	v_mul_f32_e32 v2, v57, v5
	v_mul_f32_e32 v67, v56, v5
	v_add_f32_e32 v9, v70, v69
	v_add_f32_e32 v8, v54, v8
	;; [unrolled: 1-line block ×3, first 2 shown]
	v_fma_f32 v54, v56, v4, -v2
	s_waitcnt lgkmcnt(1)
	v_mul_f32_e32 v56, v59, v51
	v_fmac_f32_e32 v67, v57, v4
	ds_read2_b64 v[2:5], v46 offset0:96 offset1:112
	v_mul_f32_e32 v69, v58, v53
	v_add_f32_e32 v54, v55, v54
	v_fma_f32 v55, v58, v50, -v56
	v_mul_f32_e32 v56, v59, v53
	v_mul_f32_e32 v57, v58, v51
	v_fmac_f32_e32 v69, v59, v52
	v_add_f32_e32 v31, v31, v73
	v_add_f32_e32 v55, v68, v55
	v_fma_f32 v56, v58, v52, -v56
	s_waitcnt lgkmcnt(1)
	v_mul_f32_e32 v58, v63, v51
	v_mul_f32_e32 v51, v62, v51
	v_fmac_f32_e32 v57, v59, v50
	v_add_f32_e32 v59, v9, v69
	v_add_f32_e32 v56, v6, v56
	v_mul_f32_e32 v6, v63, v53
	v_fma_f32 v9, v62, v50, -v58
	v_fmac_f32_e32 v51, v63, v50
	v_mul_f32_e32 v58, v62, v53
	v_add_f32_e32 v57, v66, v57
	v_fma_f32 v6, v62, v52, -v6
	s_waitcnt lgkmcnt(0)
	v_mul_f32_e32 v50, v61, v3
	v_add_f32_e32 v62, v8, v9
	v_add_f32_e32 v66, v7, v51
	v_fmac_f32_e32 v58, v63, v52
	v_add_f32_e32 v63, v54, v6
	v_fma_f32 v54, v60, v2, -v50
	ds_read_b128 v[6:9], v43 offset:160
	ds_read2_b64 v[50:53], v46 offset0:128 offset1:144
	v_add_f32_e32 v31, v31, v67
	v_mul_f32_e32 v67, v60, v3
	v_mul_f32_e32 v68, v61, v5
	v_add_f32_e32 v69, v55, v54
	v_mul_f32_e32 v55, v65, v3
	v_add_f32_e32 v31, v31, v58
	v_mul_f32_e32 v58, v60, v5
	v_fmac_f32_e32 v67, v61, v2
	v_fma_f32 v54, v60, v4, -v68
	v_mul_f32_e32 v3, v64, v3
	v_fma_f32 v60, v64, v2, -v55
	v_fmac_f32_e32 v58, v61, v4
	v_mul_f32_e32 v61, v65, v5
	v_add_f32_e32 v67, v57, v67
	v_add_f32_e32 v68, v56, v54
	v_fmac_f32_e32 v3, v65, v2
	ds_read_b128 v[54:57], v43 offset:4256
	v_add_f32_e32 v71, v62, v60
	v_fma_f32 v2, v64, v4, -v61
	v_mul_f32_e32 v62, v64, v5
	s_waitcnt lgkmcnt(1)
	v_mul_f32_e32 v5, v7, v51
	v_add_f32_e32 v66, v66, v3
	v_mul_f32_e32 v64, v6, v51
	v_add_f32_e32 v72, v63, v2
	v_fmac_f32_e32 v62, v65, v4
	v_fma_f32 v63, v6, v50, -v5
	ds_read2_b64 v[2:5], v46 offset0:160 offset1:176
	v_mul_f32_e32 v65, v7, v53
	v_mul_f32_e32 v73, v6, v53
	v_add_f32_e32 v70, v59, v58
	ds_read_b128 v[58:61], v43 offset:176
	v_fmac_f32_e32 v64, v7, v50
	v_fma_f32 v6, v6, v52, -v65
	v_fmac_f32_e32 v73, v7, v52
	v_add_f32_e32 v69, v69, v63
	v_add_f32_e32 v31, v31, v62
	s_waitcnt lgkmcnt(2)
	v_mul_f32_e32 v74, v55, v51
	v_mul_f32_e32 v7, v54, v51
	;; [unrolled: 1-line block ×3, first 2 shown]
	v_add_f32_e32 v6, v68, v6
	v_add_f32_e32 v70, v70, v73
	v_fma_f32 v68, v54, v50, -v74
	v_fmac_f32_e32 v7, v55, v50
	v_mul_f32_e32 v73, v54, v53
	v_fma_f32 v50, v54, v52, -v51
	v_add_f32_e32 v67, v67, v64
	s_waitcnt lgkmcnt(1)
	v_mul_f32_e32 v51, v9, v3
	v_add_f32_e32 v54, v71, v68
	v_fmac_f32_e32 v73, v55, v52
	v_add_f32_e32 v55, v72, v50
	v_add_f32_e32 v7, v66, v7
	v_fma_f32 v68, v8, v2, -v51
	ds_read2_b64 v[50:53], v46 offset0:192 offset1:208
	v_mul_f32_e32 v66, v8, v3
	v_mul_f32_e32 v71, v9, v5
	ds_read_b128 v[62:65], v43 offset:4272
	v_add_f32_e32 v68, v69, v68
	v_mul_f32_e32 v69, v8, v5
	v_fmac_f32_e32 v66, v9, v2
	v_fma_f32 v8, v8, v4, -v71
	v_mul_f32_e32 v71, v57, v3
	v_mul_f32_e32 v3, v56, v3
	v_fmac_f32_e32 v69, v9, v4
	v_add_f32_e32 v66, v67, v66
	v_add_f32_e32 v6, v6, v8
	v_fma_f32 v8, v56, v2, -v71
	v_fmac_f32_e32 v3, v57, v2
	v_mul_f32_e32 v2, v57, v5
	v_mul_f32_e32 v67, v56, v5
	v_add_f32_e32 v9, v70, v69
	v_add_f32_e32 v8, v54, v8
	;; [unrolled: 1-line block ×3, first 2 shown]
	v_fma_f32 v54, v56, v4, -v2
	s_waitcnt lgkmcnt(1)
	v_mul_f32_e32 v56, v59, v51
	v_fmac_f32_e32 v67, v57, v4
	ds_read2_b64 v[2:5], v46 offset0:224 offset1:240
	v_mul_f32_e32 v69, v58, v53
	v_add_f32_e32 v54, v55, v54
	v_fma_f32 v55, v58, v50, -v56
	v_mul_f32_e32 v56, v59, v53
	v_mul_f32_e32 v57, v58, v51
	v_fmac_f32_e32 v69, v59, v52
	v_add_f32_e32 v31, v31, v73
	v_add_f32_e32 v55, v68, v55
	v_fma_f32 v56, v58, v52, -v56
	s_waitcnt lgkmcnt(1)
	v_mul_f32_e32 v58, v63, v51
	v_mul_f32_e32 v51, v62, v51
	v_fmac_f32_e32 v57, v59, v50
	v_add_f32_e32 v59, v9, v69
	v_add_f32_e32 v56, v6, v56
	v_mul_f32_e32 v6, v63, v53
	v_fma_f32 v9, v62, v50, -v58
	v_fmac_f32_e32 v51, v63, v50
	v_mul_f32_e32 v58, v62, v53
	v_add_f32_e32 v57, v66, v57
	v_fma_f32 v6, v62, v52, -v6
	s_waitcnt lgkmcnt(0)
	v_mul_f32_e32 v50, v61, v3
	v_add_f32_e32 v62, v8, v9
	v_add_f32_e32 v66, v7, v51
	v_fmac_f32_e32 v58, v63, v52
	v_add_f32_e32 v63, v54, v6
	v_fma_f32 v54, v60, v2, -v50
	ds_read_b128 v[6:9], v43 offset:192
	ds_read2_b64 v[50:53], v47 offset1:16
	v_add_f32_e32 v31, v31, v67
	v_mul_f32_e32 v67, v60, v3
	v_mul_f32_e32 v68, v61, v5
	v_add_f32_e32 v69, v55, v54
	v_mul_f32_e32 v55, v65, v3
	v_add_f32_e32 v31, v31, v58
	v_mul_f32_e32 v58, v60, v5
	v_fmac_f32_e32 v67, v61, v2
	v_fma_f32 v54, v60, v4, -v68
	v_mul_f32_e32 v3, v64, v3
	v_fma_f32 v60, v64, v2, -v55
	v_fmac_f32_e32 v58, v61, v4
	v_mul_f32_e32 v61, v65, v5
	v_add_f32_e32 v67, v57, v67
	v_add_f32_e32 v68, v56, v54
	v_fmac_f32_e32 v3, v65, v2
	ds_read_b128 v[54:57], v43 offset:4288
	v_add_f32_e32 v71, v62, v60
	v_fma_f32 v2, v64, v4, -v61
	v_mul_f32_e32 v62, v64, v5
	s_waitcnt lgkmcnt(1)
	v_mul_f32_e32 v5, v7, v51
	v_add_f32_e32 v66, v66, v3
	v_mul_f32_e32 v64, v6, v51
	v_add_f32_e32 v72, v63, v2
	v_fmac_f32_e32 v62, v65, v4
	v_fma_f32 v63, v6, v50, -v5
	ds_read2_b64 v[2:5], v47 offset0:32 offset1:48
	v_mul_f32_e32 v65, v7, v53
	v_mul_f32_e32 v73, v6, v53
	v_add_f32_e32 v70, v59, v58
	ds_read_b128 v[58:61], v43 offset:208
	v_fmac_f32_e32 v64, v7, v50
	v_fma_f32 v6, v6, v52, -v65
	v_fmac_f32_e32 v73, v7, v52
	v_add_f32_e32 v69, v69, v63
	v_add_f32_e32 v31, v31, v62
	s_waitcnt lgkmcnt(2)
	v_mul_f32_e32 v74, v55, v51
	v_mul_f32_e32 v7, v54, v51
	;; [unrolled: 1-line block ×3, first 2 shown]
	v_add_f32_e32 v6, v68, v6
	v_add_f32_e32 v70, v70, v73
	v_fma_f32 v68, v54, v50, -v74
	v_fmac_f32_e32 v7, v55, v50
	v_mul_f32_e32 v73, v54, v53
	v_fma_f32 v50, v54, v52, -v51
	v_add_f32_e32 v67, v67, v64
	s_waitcnt lgkmcnt(1)
	v_mul_f32_e32 v51, v9, v3
	v_add_f32_e32 v54, v71, v68
	v_fmac_f32_e32 v73, v55, v52
	v_add_f32_e32 v55, v72, v50
	v_add_f32_e32 v7, v66, v7
	v_fma_f32 v68, v8, v2, -v51
	ds_read2_b64 v[50:53], v47 offset0:64 offset1:80
	v_mul_f32_e32 v66, v8, v3
	v_mul_f32_e32 v71, v9, v5
	ds_read_b128 v[62:65], v43 offset:4304
	v_add_f32_e32 v68, v69, v68
	v_mul_f32_e32 v69, v8, v5
	v_fmac_f32_e32 v66, v9, v2
	v_fma_f32 v8, v8, v4, -v71
	v_mul_f32_e32 v71, v57, v3
	v_mul_f32_e32 v3, v56, v3
	v_fmac_f32_e32 v69, v9, v4
	v_add_f32_e32 v66, v67, v66
	v_add_f32_e32 v6, v6, v8
	v_fma_f32 v8, v56, v2, -v71
	v_fmac_f32_e32 v3, v57, v2
	v_mul_f32_e32 v2, v57, v5
	v_mul_f32_e32 v67, v56, v5
	v_add_f32_e32 v9, v70, v69
	v_add_f32_e32 v8, v54, v8
	;; [unrolled: 1-line block ×3, first 2 shown]
	v_fma_f32 v54, v56, v4, -v2
	s_waitcnt lgkmcnt(1)
	v_mul_f32_e32 v56, v59, v51
	v_fmac_f32_e32 v67, v57, v4
	ds_read2_b64 v[2:5], v47 offset0:96 offset1:112
	v_mul_f32_e32 v69, v58, v53
	v_add_f32_e32 v54, v55, v54
	v_fma_f32 v55, v58, v50, -v56
	v_mul_f32_e32 v56, v59, v53
	v_mul_f32_e32 v57, v58, v51
	v_fmac_f32_e32 v69, v59, v52
	v_add_f32_e32 v31, v31, v73
	v_add_f32_e32 v55, v68, v55
	v_fma_f32 v56, v58, v52, -v56
	s_waitcnt lgkmcnt(1)
	v_mul_f32_e32 v58, v63, v51
	v_mul_f32_e32 v51, v62, v51
	v_fmac_f32_e32 v57, v59, v50
	v_add_f32_e32 v59, v9, v69
	v_add_f32_e32 v56, v6, v56
	v_mul_f32_e32 v6, v63, v53
	v_fma_f32 v9, v62, v50, -v58
	v_fmac_f32_e32 v51, v63, v50
	v_mul_f32_e32 v58, v62, v53
	v_add_f32_e32 v31, v31, v67
	v_fma_f32 v6, v62, v52, -v6
	s_waitcnt lgkmcnt(0)
	v_mul_f32_e32 v50, v61, v3
	v_add_f32_e32 v57, v66, v57
	v_add_f32_e32 v62, v8, v9
	;; [unrolled: 1-line block ×3, first 2 shown]
	v_fmac_f32_e32 v58, v63, v52
	v_add_f32_e32 v63, v54, v6
	v_fma_f32 v54, v60, v2, -v50
	ds_read_b128 v[6:9], v43 offset:224
	ds_read2_b64 v[50:53], v47 offset0:128 offset1:144
	v_mul_f32_e32 v67, v60, v3
	v_mul_f32_e32 v68, v61, v5
	v_add_f32_e32 v31, v31, v58
	v_mul_f32_e32 v58, v60, v5
	v_add_co_ci_u32_e64 v37, null, 0, v37, s5
	v_fmac_f32_e32 v67, v61, v2
	v_fma_f32 v60, v60, v4, -v68
	v_add_f32_e32 v68, v55, v54
	v_mul_f32_e32 v54, v65, v3
	v_fmac_f32_e32 v58, v61, v4
	v_add_f32_e32 v67, v57, v67
	v_add_f32_e32 v69, v56, v60
	v_mul_f32_e32 v3, v64, v3
	v_fma_f32 v60, v64, v2, -v54
	v_add_f32_e32 v70, v59, v58
	v_mul_f32_e32 v58, v65, v5
	ds_read_b128 v[54:57], v43 offset:4320
	v_fmac_f32_e32 v3, v65, v2
	v_add_f32_e32 v71, v62, v60
	v_mul_f32_e32 v62, v64, v5
	v_fma_f32 v2, v64, v4, -v58
	s_waitcnt lgkmcnt(1)
	v_mul_f32_e32 v5, v7, v51
	v_add_f32_e32 v66, v66, v3
	v_mul_f32_e32 v64, v7, v53
	v_fmac_f32_e32 v62, v65, v4
	v_add_f32_e32 v72, v63, v2
	v_fma_f32 v63, v6, v50, -v5
	ds_read2_b64 v[2:5], v47 offset0:160 offset1:176
	ds_read_b128 v[58:61], v43 offset:240
	v_mul_f32_e32 v73, v6, v51
	v_mul_f32_e32 v74, v6, v53
	v_fma_f32 v6, v6, v52, -v64
	v_add_f32_e32 v68, v68, v63
	v_add_f32_e32 v31, v31, v62
	v_fmac_f32_e32 v73, v7, v50
	v_fmac_f32_e32 v74, v7, v52
	s_waitcnt lgkmcnt(2)
	v_mul_f32_e32 v75, v55, v51
	v_mul_f32_e32 v7, v54, v51
	v_add_f32_e32 v6, v69, v6
	v_mul_f32_e32 v69, v55, v53
	v_add_f32_e32 v67, v67, v73
	v_fma_f32 v51, v54, v50, -v75
	v_fmac_f32_e32 v7, v55, v50
	v_mul_f32_e32 v73, v54, v53
	v_fma_f32 v50, v54, v52, -v69
	ds_read_b128 v[62:65], v43 offset:4336
	v_add_f32_e32 v71, v71, v51
	s_waitcnt lgkmcnt(2)
	v_mul_f32_e32 v51, v9, v3
	v_add_f32_e32 v7, v66, v7
	v_fmac_f32_e32 v73, v55, v52
	v_mul_f32_e32 v54, v8, v3
	v_add_f32_e32 v55, v72, v50
	v_fma_f32 v66, v8, v2, -v51
	ds_read2_b64 v[50:53], v47 offset0:192 offset1:208
	v_mul_f32_e32 v69, v9, v5
	v_fmac_f32_e32 v54, v9, v2
	v_add_f32_e32 v70, v70, v74
	v_add_f32_e32 v66, v68, v66
	v_mul_f32_e32 v68, v8, v5
	v_fma_f32 v8, v8, v4, -v69
	v_add_f32_e32 v54, v67, v54
	v_mul_f32_e32 v67, v57, v3
	v_mul_f32_e32 v3, v56, v3
	v_fmac_f32_e32 v68, v9, v4
	v_add_f32_e32 v6, v6, v8
	v_mul_f32_e32 v8, v57, v5
	v_fma_f32 v9, v56, v2, -v67
	v_fmac_f32_e32 v3, v57, v2
	v_add_f32_e32 v67, v70, v68
	v_mul_f32_e32 v68, v56, v5
	v_fma_f32 v2, v56, v4, -v8
	v_add_f32_e32 v8, v71, v9
	v_add_f32_e32 v7, v7, v3
	s_waitcnt lgkmcnt(0)
	v_mul_f32_e32 v9, v59, v51
	v_fmac_f32_e32 v68, v57, v4
	v_add_f32_e32 v55, v55, v2
	ds_read2_b64 v[2:5], v47 offset0:224 offset1:240
	v_mul_f32_e32 v56, v58, v51
	v_fma_f32 v9, v58, v50, -v9
	v_mul_f32_e32 v57, v59, v53
	v_add_f32_e32 v31, v31, v73
	s_add_u32 s24, s24, 32
	v_fmac_f32_e32 v56, v59, v50
	v_add_f32_e32 v9, v66, v9
	v_mul_f32_e32 v66, v63, v51
	v_fma_f32 v57, v58, v52, -v57
	v_mul_f32_e32 v51, v62, v51
	v_add_f32_e32 v54, v54, v56
	v_add_f32_e32 v31, v31, v68
	v_fma_f32 v56, v62, v50, -v66
	v_mul_f32_e32 v68, v58, v53
	v_add_f32_e32 v6, v6, v57
	v_mul_f32_e32 v57, v63, v53
	v_fmac_f32_e32 v51, v63, v50
	v_add_f32_e32 v8, v8, v56
	v_mul_f32_e32 v50, v62, v53
	s_waitcnt lgkmcnt(0)
	v_mul_f32_e32 v56, v61, v3
	v_fmac_f32_e32 v68, v59, v52
	v_fma_f32 v53, v62, v52, -v57
	v_add_f32_e32 v7, v7, v51
	v_fmac_f32_e32 v50, v63, v52
	v_fma_f32 v51, v60, v2, -v56
	v_mul_f32_e32 v52, v61, v5
	v_mul_f32_e32 v57, v60, v3
	v_add_f32_e32 v59, v55, v53
	v_mul_f32_e32 v62, v60, v5
	v_add_f32_e32 v31, v31, v50
	v_add_f32_e32 v55, v9, v51
	v_fma_f32 v9, v60, v4, -v52
	v_mul_f32_e32 v50, v65, v3
	v_mul_f32_e32 v3, v64, v3
	;; [unrolled: 1-line block ×4, first 2 shown]
	v_add_f32_e32 v58, v67, v68
	v_fmac_f32_e32 v57, v61, v2
	v_fmac_f32_e32 v62, v61, v4
	v_add_f32_e32 v53, v6, v9
	v_fma_f32 v6, v64, v2, -v50
	v_fmac_f32_e32 v3, v65, v2
	v_fma_f32 v2, v64, v4, -v51
	v_fmac_f32_e32 v5, v65, v4
	v_add_f32_e32 v56, v54, v57
	v_add_f32_e32 v54, v58, v62
	;; [unrolled: 1-line block ×6, first 2 shown]
	s_addc_u32 s25, s25, 0
	s_cmp_ge_i32 s24, s42
	s_barrier
	buffer_gl0_inv
	s_cbranch_scc1 .LBB74_56
.LBB74_7:                               ;   Parent Loop BB74_4 Depth=1
                                        ; =>  This Inner Loop Header: Depth=2
	v_add_co_u32 v2, s5, v10, s24
	v_add_co_ci_u32_e64 v3, null, s25, v11, s5
	v_cmp_eq_u64_e64 s8, s[24:25], v[20:21]
	v_cmp_le_i64_e64 s6, s[22:23], v[2:3]
	v_cmp_lt_i64_e64 s5, v[2:3], v[12:13]
	s_and_b32 s34, s44, s8
	v_add_co_u32 v4, s8, v38, v28
	v_add_co_ci_u32_e64 v5, null, v39, v29, s8
	s_or_b32 s9, s6, s5
	s_or_b32 s8, s9, s34
	s_nor_b32 s8, s0, s8
	s_and_saveexec_b32 s9, s8
	s_xor_b32 s8, exec_lo, s9
	s_cbranch_execz .LBB74_9
; %bb.8:                                ;   in Loop: Header=BB74_7 Depth=2
	global_load_dwordx2 v[6:7], v[4:5], off
	s_waitcnt vmcnt(0)
	ds_write_b64 v44, v[6:7]
.LBB74_9:                               ;   in Loop: Header=BB74_7 Depth=2
	s_or_saveexec_b32 s8, s8
	s_xor_b32 s27, s34, -1
	s_xor_b32 exec_lo, exec_lo, s8
	s_cbranch_execz .LBB74_15
; %bb.10:                               ;   in Loop: Header=BB74_7 Depth=2
	s_and_saveexec_b32 s9, s27
	s_xor_b32 s9, exec_lo, s9
; %bb.11:                               ;   in Loop: Header=BB74_7 Depth=2
	v_mov_b32_e32 v6, v33
	v_mov_b32_e32 v7, v33
	ds_write_b64 v44, v[6:7]
; %bb.12:                               ;   in Loop: Header=BB74_7 Depth=2
	s_andn2_saveexec_b32 s9, s9
; %bb.13:                               ;   in Loop: Header=BB74_7 Depth=2
	ds_write_b64 v44, v[32:33]
; %bb.14:                               ;   in Loop: Header=BB74_7 Depth=2
	s_or_b32 exec_lo, exec_lo, s9
.LBB74_15:                              ;   in Loop: Header=BB74_7 Depth=2
	s_or_b32 exec_lo, exec_lo, s8
	v_cmp_eq_u64_e64 s8, s[24:25], v[22:23]
	v_cmp_gt_i64_e64 s9, v[16:17], v[2:3]
	s_and_b32 s8, s44, s8
	s_or_b32 s6, s6, s9
	s_or_b32 s6, s6, s8
	s_nor_b32 s6, s2, s6
	s_and_saveexec_b32 s9, s6
	s_xor_b32 s6, exec_lo, s9
	s_cbranch_execz .LBB74_17
; %bb.16:                               ;   in Loop: Header=BB74_7 Depth=2
	global_load_dwordx2 v[4:5], v[4:5], off offset:128
	s_waitcnt vmcnt(0)
	ds_write_b64 v44, v[4:5] offset:128
.LBB74_17:                              ;   in Loop: Header=BB74_7 Depth=2
	s_andn2_saveexec_b32 s6, s6
	s_cbranch_execz .LBB74_23
; %bb.18:                               ;   in Loop: Header=BB74_7 Depth=2
	s_xor_b32 s8, s8, -1
	s_and_saveexec_b32 s9, s8
	s_xor_b32 s8, exec_lo, s9
; %bb.19:                               ;   in Loop: Header=BB74_7 Depth=2
	v_mov_b32_e32 v4, v33
	v_mov_b32_e32 v5, v33
	ds_write_b64 v44, v[4:5] offset:128
; %bb.20:                               ;   in Loop: Header=BB74_7 Depth=2
	s_andn2_saveexec_b32 s8, s8
; %bb.21:                               ;   in Loop: Header=BB74_7 Depth=2
	ds_write_b64 v44, v[32:33] offset:128
; %bb.22:                               ;   in Loop: Header=BB74_7 Depth=2
	s_or_b32 exec_lo, exec_lo, s8
.LBB74_23:                              ;   in Loop: Header=BB74_7 Depth=2
	s_or_b32 exec_lo, exec_lo, s6
	v_add_co_u32 v2, s6, v2, 16
	v_add_co_ci_u32_e64 v3, null, 0, v3, s6
	v_cmp_eq_u64_e64 s8, s[24:25], v[26:27]
	v_cmp_le_i64_e64 s6, s[22:23], v[2:3]
	v_cmp_lt_i64_e64 s9, v[2:3], v[12:13]
	s_and_b32 s35, s44, s8
	v_add_co_u32 v2, s8, v40, v28
	v_add_co_ci_u32_e64 v3, null, v41, v29, s8
	s_or_b32 s9, s6, s9
	s_or_b32 s8, s9, s35
	s_nor_b32 s8, s0, s8
	s_and_saveexec_b32 s9, s8
	s_xor_b32 s8, exec_lo, s9
	s_cbranch_execz .LBB74_25
; %bb.24:                               ;   in Loop: Header=BB74_7 Depth=2
	global_load_dwordx2 v[4:5], v[2:3], off
	s_waitcnt vmcnt(0)
	ds_write_b64 v44, v[4:5] offset:4096
.LBB74_25:                              ;   in Loop: Header=BB74_7 Depth=2
	s_andn2_saveexec_b32 s8, s8
	s_cbranch_execz .LBB74_31
; %bb.26:                               ;   in Loop: Header=BB74_7 Depth=2
	s_xor_b32 s9, s35, -1
	s_and_saveexec_b32 s35, s9
	s_xor_b32 s9, exec_lo, s35
; %bb.27:                               ;   in Loop: Header=BB74_7 Depth=2
	v_mov_b32_e32 v4, v33
	v_mov_b32_e32 v5, v33
	ds_write_b64 v44, v[4:5] offset:4096
; %bb.28:                               ;   in Loop: Header=BB74_7 Depth=2
	s_andn2_saveexec_b32 s9, s9
; %bb.29:                               ;   in Loop: Header=BB74_7 Depth=2
	ds_write_b64 v44, v[32:33] offset:4096
; %bb.30:                               ;   in Loop: Header=BB74_7 Depth=2
	s_or_b32 exec_lo, exec_lo, s9
.LBB74_31:                              ;   in Loop: Header=BB74_7 Depth=2
	s_or_b32 exec_lo, exec_lo, s8
	s_or_b32 s5, s6, s5
	s_or_b32 s5, s5, s34
	s_nor_b32 s5, s2, s5
	s_and_saveexec_b32 s6, s5
	s_xor_b32 s5, exec_lo, s6
	s_cbranch_execz .LBB74_33
; %bb.32:                               ;   in Loop: Header=BB74_7 Depth=2
	global_load_dwordx2 v[2:3], v[2:3], off offset:128
	s_waitcnt vmcnt(0)
	ds_write_b64 v44, v[2:3] offset:4224
.LBB74_33:                              ;   in Loop: Header=BB74_7 Depth=2
	s_andn2_saveexec_b32 s5, s5
	s_cbranch_execz .LBB74_39
; %bb.34:                               ;   in Loop: Header=BB74_7 Depth=2
	s_and_saveexec_b32 s6, s27
	s_xor_b32 s6, exec_lo, s6
; %bb.35:                               ;   in Loop: Header=BB74_7 Depth=2
	v_mov_b32_e32 v2, v33
	v_mov_b32_e32 v3, v33
	ds_write_b64 v44, v[2:3] offset:4224
; %bb.36:                               ;   in Loop: Header=BB74_7 Depth=2
	s_andn2_saveexec_b32 s6, s6
; %bb.37:                               ;   in Loop: Header=BB74_7 Depth=2
	ds_write_b64 v44, v[32:33] offset:4224
; %bb.38:                               ;   in Loop: Header=BB74_7 Depth=2
	s_or_b32 exec_lo, exec_lo, s6
.LBB74_39:                              ;   in Loop: Header=BB74_7 Depth=2
	s_or_b32 exec_lo, exec_lo, s5
	v_add_co_u32 v2, s5, v12, s24
	v_add_co_ci_u32_e64 v3, null, s25, v13, s5
	v_cmp_gt_i64_e64 s5, s[22:23], v[2:3]
	s_and_b32 s6, vcc_lo, s5
	s_xor_b32 s6, s6, -1
	s_and_saveexec_b32 s8, s6
	s_xor_b32 s6, exec_lo, s8
; %bb.40:                               ;   in Loop: Header=BB74_7 Depth=2
	v_mov_b32_e32 v4, v33
	v_mov_b32_e32 v5, v33
	ds_write_b64 v45, v[4:5]
; %bb.41:                               ;   in Loop: Header=BB74_7 Depth=2
	s_or_saveexec_b32 s8, s6
	v_add_co_u32 v4, s6, v34, v28
	v_add_co_ci_u32_e64 v5, null, v35, v29, s6
	s_xor_b32 exec_lo, exec_lo, s8
	s_cbranch_execz .LBB74_43
; %bb.42:                               ;   in Loop: Header=BB74_7 Depth=2
	global_load_dwordx2 v[6:7], v[4:5], off offset:-128
	s_waitcnt vmcnt(0)
	ds_write_b64 v45, v[6:7]
.LBB74_43:                              ;   in Loop: Header=BB74_7 Depth=2
	s_or_b32 exec_lo, exec_lo, s8
	v_cmp_gt_i64_e64 s6, s[30:31], v[2:3]
	s_and_b32 s8, vcc_lo, s6
	s_xor_b32 s8, s8, -1
	s_and_saveexec_b32 s9, s8
	s_xor_b32 s8, exec_lo, s9
; %bb.44:                               ;   in Loop: Header=BB74_7 Depth=2
	v_mov_b32_e32 v2, v33
	v_mov_b32_e32 v3, v33
                                        ; implicit-def: $vgpr4_vgpr5
	ds_write_b64 v45, v[2:3] offset:128
; %bb.45:                               ;   in Loop: Header=BB74_7 Depth=2
	s_andn2_saveexec_b32 s8, s8
	s_cbranch_execz .LBB74_47
; %bb.46:                               ;   in Loop: Header=BB74_7 Depth=2
	global_load_dwordx2 v[2:3], v[4:5], off
	s_waitcnt vmcnt(0)
	ds_write_b64 v45, v[2:3] offset:128
.LBB74_47:                              ;   in Loop: Header=BB74_7 Depth=2
	s_or_b32 exec_lo, exec_lo, s8
	s_and_b32 s5, s4, s5
	s_xor_b32 s5, s5, -1
	s_and_saveexec_b32 s8, s5
	s_xor_b32 s5, exec_lo, s8
; %bb.48:                               ;   in Loop: Header=BB74_7 Depth=2
	v_mov_b32_e32 v2, v33
	v_mov_b32_e32 v3, v33
	ds_write_b64 v45, v[2:3] offset:4096
; %bb.49:                               ;   in Loop: Header=BB74_7 Depth=2
	s_or_saveexec_b32 s8, s5
	v_add_co_u32 v2, s5, v36, v28
	v_add_co_ci_u32_e64 v3, null, v37, v29, s5
	s_xor_b32 exec_lo, exec_lo, s8
	s_cbranch_execz .LBB74_51
; %bb.50:                               ;   in Loop: Header=BB74_7 Depth=2
	global_load_dwordx2 v[4:5], v[2:3], off
	s_waitcnt vmcnt(0)
	ds_write_b64 v45, v[4:5] offset:4096
.LBB74_51:                              ;   in Loop: Header=BB74_7 Depth=2
	s_or_b32 exec_lo, exec_lo, s8
	s_and_b32 s5, s4, s6
	s_xor_b32 s5, s5, -1
	s_and_saveexec_b32 s6, s5
	s_xor_b32 s5, exec_lo, s6
; %bb.52:                               ;   in Loop: Header=BB74_7 Depth=2
	v_mov_b32_e32 v2, v33
	v_mov_b32_e32 v3, v33
	ds_write_b64 v45, v[2:3] offset:4224
                                        ; implicit-def: $vgpr2_vgpr3
; %bb.53:                               ;   in Loop: Header=BB74_7 Depth=2
	s_andn2_saveexec_b32 s5, s5
	s_cbranch_execz .LBB74_6
; %bb.54:                               ;   in Loop: Header=BB74_7 Depth=2
	global_load_dwordx2 v[2:3], v[2:3], off offset:128
	s_waitcnt vmcnt(0)
	ds_write_b64 v45, v[2:3] offset:4224
	s_branch .LBB74_6
.LBB74_55:                              ;   in Loop: Header=BB74_4 Depth=1
	v_mov_b32_e32 v55, 0
	v_mov_b32_e32 v56, 0
	;; [unrolled: 1-line block ×8, first 2 shown]
.LBB74_56:                              ;   in Loop: Header=BB74_4 Depth=1
	v_mul_lo_u32 v4, s29, v48
	v_mul_lo_u32 v5, s28, v49
	v_mad_u64_u32 v[2:3], null, s28, v48, 0
	v_cmp_gt_i32_e32 vcc_lo, s14, v48
	v_add3_u32 v3, v3, v5, v4
	v_lshlrev_b64 v[2:3], 3, v[2:3]
	v_add_co_u32 v2, s4, s40, v2
	v_add_co_ci_u32_e64 v3, null, s41, v3, s4
	s_and_b32 s4, s1, vcc_lo
	s_and_saveexec_b32 s5, s4
	s_cbranch_execz .LBB74_58
; %bb.57:                               ;   in Loop: Header=BB74_4 Depth=1
	v_add_co_u32 v4, s4, v2, v28
	v_add_co_ci_u32_e64 v5, null, v3, v29, s4
	v_mul_f32_e32 v8, s11, v56
	v_mul_f32_e32 v9, s10, v56
	global_load_dwordx2 v[6:7], v[4:5], off
	v_fma_f32 v8, v55, s10, -v8
	v_fmac_f32_e32 v9, s11, v55
	s_waitcnt vmcnt(0)
	v_add_f32_e32 v6, v6, v8
	v_add_f32_e32 v7, v9, v7
	global_store_dwordx2 v[4:5], v[6:7], off
.LBB74_58:                              ;   in Loop: Header=BB74_4 Depth=1
	s_or_b32 exec_lo, exec_lo, s5
	s_and_b32 s5, s3, vcc_lo
	s_and_saveexec_b32 s4, s5
	s_cbranch_execz .LBB74_60
; %bb.59:                               ;   in Loop: Header=BB74_4 Depth=1
	v_lshlrev_b64 v[4:5], 3, v[14:15]
	v_mul_f32_e32 v6, s11, v54
	v_mul_f32_e32 v7, s10, v54
	v_fma_f32 v6, v53, s10, -v6
	v_add_co_u32 v2, vcc_lo, v2, v4
	v_add_co_ci_u32_e64 v3, null, v3, v5, vcc_lo
	v_fmac_f32_e32 v7, s11, v53
	global_load_dwordx2 v[4:5], v[2:3], off
	s_waitcnt vmcnt(0)
	v_add_f32_e32 v4, v4, v6
	v_add_f32_e32 v5, v7, v5
	global_store_dwordx2 v[2:3], v[4:5], off
.LBB74_60:                              ;   in Loop: Header=BB74_4 Depth=1
	s_or_b32 exec_lo, exec_lo, s4
	v_add_nc_u32_e32 v4, 16, v48
	v_ashrrev_i32_e32 v5, 31, v4
	v_mul_lo_u32 v6, s29, v4
	v_mad_u64_u32 v[2:3], null, s28, v4, 0
	v_cmp_gt_i32_e32 vcc_lo, s14, v4
	v_mul_lo_u32 v5, s28, v5
	v_add3_u32 v3, v3, v5, v6
	v_lshlrev_b64 v[2:3], 3, v[2:3]
	v_add_co_u32 v2, s4, s40, v2
	v_add_co_ci_u32_e64 v3, null, s41, v3, s4
	s_and_b32 s4, s1, vcc_lo
	s_and_saveexec_b32 s5, s4
	s_cbranch_execz .LBB74_62
; %bb.61:                               ;   in Loop: Header=BB74_4 Depth=1
	v_add_co_u32 v4, s4, v2, v28
	v_add_co_ci_u32_e64 v5, null, v3, v29, s4
	v_mul_f32_e32 v8, s11, v52
	v_mul_f32_e32 v9, s10, v52
	global_load_dwordx2 v[6:7], v[4:5], off
	v_fma_f32 v8, v51, s10, -v8
	v_fmac_f32_e32 v9, s11, v51
	s_waitcnt vmcnt(0)
	v_add_f32_e32 v6, v6, v8
	v_add_f32_e32 v7, v9, v7
	global_store_dwordx2 v[4:5], v[6:7], off
.LBB74_62:                              ;   in Loop: Header=BB74_4 Depth=1
	s_or_b32 exec_lo, exec_lo, s5
	s_and_b32 s5, s3, vcc_lo
	s_and_saveexec_b32 s4, s5
	s_cbranch_execz .LBB74_3
; %bb.63:                               ;   in Loop: Header=BB74_4 Depth=1
	v_lshlrev_b64 v[4:5], 3, v[14:15]
	v_mul_f32_e32 v6, s11, v31
	v_mul_f32_e32 v7, s10, v31
	v_fma_f32 v6, v50, s10, -v6
	v_add_co_u32 v2, vcc_lo, v2, v4
	v_add_co_ci_u32_e64 v3, null, v3, v5, vcc_lo
	v_fmac_f32_e32 v7, s11, v50
	global_load_dwordx2 v[4:5], v[2:3], off
	s_waitcnt vmcnt(0)
	v_add_f32_e32 v4, v4, v6
	v_add_f32_e32 v5, v7, v5
	global_store_dwordx2 v[2:3], v[4:5], off
	s_branch .LBB74_3
.LBB74_64:
	s_endpgm
	.section	.rodata,"a",@progbits
	.p2align	6, 0x0
	.amdhsa_kernel _ZL30rocblas_trmm_outofplace_kernelI19rocblas_complex_numIfELi32ELi2ELb1ELb1ELb0ELb0EPKS1_S2_S1_Ev17rocblas_diagonal_iiT6_lPT7_lllS7_lllPT8_llli
		.amdhsa_group_segment_fixed_size 16384
		.amdhsa_private_segment_fixed_size 0
		.amdhsa_kernarg_size 392
		.amdhsa_user_sgpr_count 6
		.amdhsa_user_sgpr_private_segment_buffer 1
		.amdhsa_user_sgpr_dispatch_ptr 0
		.amdhsa_user_sgpr_queue_ptr 0
		.amdhsa_user_sgpr_kernarg_segment_ptr 1
		.amdhsa_user_sgpr_dispatch_id 0
		.amdhsa_user_sgpr_flat_scratch_init 0
		.amdhsa_user_sgpr_private_segment_size 0
		.amdhsa_wavefront_size32 1
		.amdhsa_uses_dynamic_stack 0
		.amdhsa_system_sgpr_private_segment_wavefront_offset 0
		.amdhsa_system_sgpr_workgroup_id_x 1
		.amdhsa_system_sgpr_workgroup_id_y 1
		.amdhsa_system_sgpr_workgroup_id_z 1
		.amdhsa_system_sgpr_workgroup_info 0
		.amdhsa_system_vgpr_workitem_id 1
		.amdhsa_next_free_vgpr 87
		.amdhsa_next_free_sgpr 48
		.amdhsa_reserve_vcc 1
		.amdhsa_reserve_flat_scratch 0
		.amdhsa_float_round_mode_32 0
		.amdhsa_float_round_mode_16_64 0
		.amdhsa_float_denorm_mode_32 3
		.amdhsa_float_denorm_mode_16_64 3
		.amdhsa_dx10_clamp 1
		.amdhsa_ieee_mode 1
		.amdhsa_fp16_overflow 0
		.amdhsa_workgroup_processor_mode 1
		.amdhsa_memory_ordered 1
		.amdhsa_forward_progress 1
		.amdhsa_shared_vgpr_count 0
		.amdhsa_exception_fp_ieee_invalid_op 0
		.amdhsa_exception_fp_denorm_src 0
		.amdhsa_exception_fp_ieee_div_zero 0
		.amdhsa_exception_fp_ieee_overflow 0
		.amdhsa_exception_fp_ieee_underflow 0
		.amdhsa_exception_fp_ieee_inexact 0
		.amdhsa_exception_int_div_zero 0
	.end_amdhsa_kernel
	.section	.text._ZL30rocblas_trmm_outofplace_kernelI19rocblas_complex_numIfELi32ELi2ELb1ELb1ELb0ELb0EPKS1_S2_S1_Ev17rocblas_diagonal_iiT6_lPT7_lllS7_lllPT8_llli,"axG",@progbits,_ZL30rocblas_trmm_outofplace_kernelI19rocblas_complex_numIfELi32ELi2ELb1ELb1ELb0ELb0EPKS1_S2_S1_Ev17rocblas_diagonal_iiT6_lPT7_lllS7_lllPT8_llli,comdat
.Lfunc_end74:
	.size	_ZL30rocblas_trmm_outofplace_kernelI19rocblas_complex_numIfELi32ELi2ELb1ELb1ELb0ELb0EPKS1_S2_S1_Ev17rocblas_diagonal_iiT6_lPT7_lllS7_lllPT8_llli, .Lfunc_end74-_ZL30rocblas_trmm_outofplace_kernelI19rocblas_complex_numIfELi32ELi2ELb1ELb1ELb0ELb0EPKS1_S2_S1_Ev17rocblas_diagonal_iiT6_lPT7_lllS7_lllPT8_llli
                                        ; -- End function
	.set _ZL30rocblas_trmm_outofplace_kernelI19rocblas_complex_numIfELi32ELi2ELb1ELb1ELb0ELb0EPKS1_S2_S1_Ev17rocblas_diagonal_iiT6_lPT7_lllS7_lllPT8_llli.num_vgpr, 87
	.set _ZL30rocblas_trmm_outofplace_kernelI19rocblas_complex_numIfELi32ELi2ELb1ELb1ELb0ELb0EPKS1_S2_S1_Ev17rocblas_diagonal_iiT6_lPT7_lllS7_lllPT8_llli.num_agpr, 0
	.set _ZL30rocblas_trmm_outofplace_kernelI19rocblas_complex_numIfELi32ELi2ELb1ELb1ELb0ELb0EPKS1_S2_S1_Ev17rocblas_diagonal_iiT6_lPT7_lllS7_lllPT8_llli.numbered_sgpr, 48
	.set _ZL30rocblas_trmm_outofplace_kernelI19rocblas_complex_numIfELi32ELi2ELb1ELb1ELb0ELb0EPKS1_S2_S1_Ev17rocblas_diagonal_iiT6_lPT7_lllS7_lllPT8_llli.num_named_barrier, 0
	.set _ZL30rocblas_trmm_outofplace_kernelI19rocblas_complex_numIfELi32ELi2ELb1ELb1ELb0ELb0EPKS1_S2_S1_Ev17rocblas_diagonal_iiT6_lPT7_lllS7_lllPT8_llli.private_seg_size, 0
	.set _ZL30rocblas_trmm_outofplace_kernelI19rocblas_complex_numIfELi32ELi2ELb1ELb1ELb0ELb0EPKS1_S2_S1_Ev17rocblas_diagonal_iiT6_lPT7_lllS7_lllPT8_llli.uses_vcc, 1
	.set _ZL30rocblas_trmm_outofplace_kernelI19rocblas_complex_numIfELi32ELi2ELb1ELb1ELb0ELb0EPKS1_S2_S1_Ev17rocblas_diagonal_iiT6_lPT7_lllS7_lllPT8_llli.uses_flat_scratch, 0
	.set _ZL30rocblas_trmm_outofplace_kernelI19rocblas_complex_numIfELi32ELi2ELb1ELb1ELb0ELb0EPKS1_S2_S1_Ev17rocblas_diagonal_iiT6_lPT7_lllS7_lllPT8_llli.has_dyn_sized_stack, 0
	.set _ZL30rocblas_trmm_outofplace_kernelI19rocblas_complex_numIfELi32ELi2ELb1ELb1ELb0ELb0EPKS1_S2_S1_Ev17rocblas_diagonal_iiT6_lPT7_lllS7_lllPT8_llli.has_recursion, 0
	.set _ZL30rocblas_trmm_outofplace_kernelI19rocblas_complex_numIfELi32ELi2ELb1ELb1ELb0ELb0EPKS1_S2_S1_Ev17rocblas_diagonal_iiT6_lPT7_lllS7_lllPT8_llli.has_indirect_call, 0
	.section	.AMDGPU.csdata,"",@progbits
; Kernel info:
; codeLenInByte = 6636
; TotalNumSgprs: 50
; NumVgprs: 87
; ScratchSize: 0
; MemoryBound: 1
; FloatMode: 240
; IeeeMode: 1
; LDSByteSize: 16384 bytes/workgroup (compile time only)
; SGPRBlocks: 0
; VGPRBlocks: 10
; NumSGPRsForWavesPerEU: 50
; NumVGPRsForWavesPerEU: 87
; Occupancy: 10
; WaveLimiterHint : 0
; COMPUTE_PGM_RSRC2:SCRATCH_EN: 0
; COMPUTE_PGM_RSRC2:USER_SGPR: 6
; COMPUTE_PGM_RSRC2:TRAP_HANDLER: 0
; COMPUTE_PGM_RSRC2:TGID_X_EN: 1
; COMPUTE_PGM_RSRC2:TGID_Y_EN: 1
; COMPUTE_PGM_RSRC2:TGID_Z_EN: 1
; COMPUTE_PGM_RSRC2:TIDIG_COMP_CNT: 1
	.section	.text._ZL30rocblas_trmm_outofplace_kernelI19rocblas_complex_numIfELi32ELi2ELb1ELb1ELb0ELb0ES1_KS1_S1_Ev17rocblas_diagonal_iiT6_lPT7_lllS6_lllPT8_llli,"axG",@progbits,_ZL30rocblas_trmm_outofplace_kernelI19rocblas_complex_numIfELi32ELi2ELb1ELb1ELb0ELb0ES1_KS1_S1_Ev17rocblas_diagonal_iiT6_lPT7_lllS6_lllPT8_llli,comdat
	.globl	_ZL30rocblas_trmm_outofplace_kernelI19rocblas_complex_numIfELi32ELi2ELb1ELb1ELb0ELb0ES1_KS1_S1_Ev17rocblas_diagonal_iiT6_lPT7_lllS6_lllPT8_llli ; -- Begin function _ZL30rocblas_trmm_outofplace_kernelI19rocblas_complex_numIfELi32ELi2ELb1ELb1ELb0ELb0ES1_KS1_S1_Ev17rocblas_diagonal_iiT6_lPT7_lllS6_lllPT8_llli
	.p2align	8
	.type	_ZL30rocblas_trmm_outofplace_kernelI19rocblas_complex_numIfELi32ELi2ELb1ELb1ELb0ELb0ES1_KS1_S1_Ev17rocblas_diagonal_iiT6_lPT7_lllS6_lllPT8_llli,@function
_ZL30rocblas_trmm_outofplace_kernelI19rocblas_complex_numIfELi32ELi2ELb1ELb1ELb0ELb0ES1_KS1_S1_Ev17rocblas_diagonal_iiT6_lPT7_lllS6_lllPT8_llli: ; @_ZL30rocblas_trmm_outofplace_kernelI19rocblas_complex_numIfELi32ELi2ELb1ELb1ELb0ELb0ES1_KS1_S1_Ev17rocblas_diagonal_iiT6_lPT7_lllS6_lllPT8_llli
; %bb.0:
	s_clause 0x1
	s_load_dwordx4 s[28:31], s[4:5], 0x0
	s_load_dword s33, s[4:5], 0x10
	s_waitcnt lgkmcnt(0)
	s_or_b32 s0, s31, s33
	s_bitset0_b32 s0, 31
	s_cmp_eq_u32 s0, 0
	s_cbranch_scc1 .LBB75_64
; %bb.1:
	s_add_i32 s0, s30, -1
	s_ashr_i32 s1, s0, 31
	s_lshr_b32 s1, s1, 27
	s_add_i32 s0, s0, s1
	s_ashr_i32 s34, s0, 5
	s_cmp_gt_i32 s7, s34
	s_cbranch_scc1 .LBB75_64
; %bb.2:
	s_clause 0x1
	s_load_dwordx16 s[12:27], s[4:5], 0x20
	s_load_dwordx8 s[36:43], s[4:5], 0x60
	v_lshlrev_b32_e32 v2, 8, v1
	v_lshlrev_b32_e32 v42, 3, v0
	s_mov_b32 s10, s29
	v_lshl_add_u32 v30, s7, 5, v1
	v_mov_b32_e32 v33, 0
	v_add_nc_u32_e32 v44, 0x2000, v2
	v_add_nc_u32_e32 v43, v42, v2
	v_mov_b32_e32 v32, 1.0
	v_add_nc_u32_e32 v45, 0x800, v42
	v_add_nc_u32_e32 v46, 0x1000, v42
	;; [unrolled: 1-line block ×3, first 2 shown]
	s_mov_b32 s35, s30
	s_waitcnt lgkmcnt(0)
	s_mul_i32 s1, s19, s8
	s_mul_hi_u32 s2, s18, s8
	s_mul_i32 s0, s18, s8
	s_add_i32 s1, s2, s1
	s_mul_i32 s2, s43, s8
	s_lshl_b64 s[44:45], s[0:1], 3
	s_mul_hi_u32 s1, s42, s8
	s_add_u32 s3, s12, s44
	s_addc_u32 s9, s13, s45
	s_lshl_b64 s[46:47], s[14:15], 3
	s_mul_i32 s0, s42, s8
	s_add_u32 s48, s3, s46
	s_addc_u32 s9, s9, s47
	s_add_i32 s1, s1, s2
	s_load_dword s42, s[4:5], 0x8c
	s_lshl_b64 s[0:1], s[0:1], 3
	s_add_u32 s2, s36, s0
	s_addc_u32 s3, s37, s1
	s_lshl_b64 s[0:1], s[38:39], 3
	s_add_u32 s36, s2, s0
	s_addc_u32 s37, s3, s1
	s_lshl_b32 s0, s6, 5
	v_add_nc_u32_e32 v10, s0, v1
	v_add_nc_u32_e32 v12, s0, v0
	s_sub_i32 s38, s29, s0
	v_add_nc_u32_e32 v0, v44, v42
	s_cmp_gt_i32 s38, 0
	v_ashrrev_i32_e32 v11, 31, v10
	v_mul_lo_u32 v4, s17, v10
	v_mad_u64_u32 v[2:3], null, s16, v10, 0
	v_ashrrev_i32_e32 v13, 31, v12
	v_mul_lo_u32 v5, s16, v11
	v_add_co_u32 v16, vcc_lo, v12, 16
	s_cselect_b32 s39, -1, 0
	v_add_co_ci_u32_e64 v17, null, 0, v13, vcc_lo
	v_sub_co_u32 v18, vcc_lo, v12, v10
	v_add3_u32 v3, v3, v5, v4
	v_lshlrev_b64 v[4:5], 3, v[10:11]
	v_sub_co_ci_u32_e64 v19, null, v13, v11, vcc_lo
	s_cmpk_eq_i32 s28, 0x84
	v_lshlrev_b64 v[2:3], 3, v[2:3]
	s_cselect_b32 s28, -1, 0
	s_ashr_i32 s11, s29, 31
	s_ashr_i32 s43, s30, 31
	s_lshl_b64 s[14:15], s[16:17], 8
	s_add_u32 s18, s29, -16
	v_add_co_u32 v20, vcc_lo, s48, v2
	v_add_co_ci_u32_e64 v21, null, s9, v3, vcc_lo
	v_add_co_u32 v22, vcc_lo, v18, 16
	v_add_co_ci_u32_e64 v23, null, 0, v19, vcc_lo
	v_add_co_u32 v2, vcc_lo, 0x80, v4
	s_addc_u32 s19, s11, -1
	v_add_co_ci_u32_e64 v3, null, 0, v5, vcc_lo
	s_add_u32 s4, s12, s46
	s_addc_u32 s5, s13, s47
	s_add_u32 s4, s4, s44
	s_addc_u32 s5, s5, s45
	v_mul_lo_u32 v3, s16, v3
	v_mad_u64_u32 v[24:25], null, s16, v2, s[4:5]
	v_mul_lo_u32 v2, s17, v2
	s_mul_i32 s4, s27, s8
	s_mul_hi_u32 s5, s26, s8
	v_add_nc_u32_e32 v14, 16, v12
	s_add_i32 s5, s5, s4
	s_mul_i32 s4, s26, s8
	s_lshl_b64 s[8:9], s[22:23], 3
	s_lshl_b64 s[4:5], s[4:5], 3
	v_add_co_u32 v26, vcc_lo, v18, -16
	s_add_u32 s4, s4, s8
	v_cmp_le_i64_e64 s3, s[10:11], v[16:17]
	v_lshlrev_b64 v[28:29], 3, v[12:13]
	s_addc_u32 s5, s5, s9
	v_cmp_le_i32_e64 s0, s29, v12
	v_cmp_gt_i32_e64 s1, s29, v12
	v_cmp_gt_i32_e64 s2, s29, v14
	v_ashrrev_i32_e32 v15, 31, v14
	v_add_co_ci_u32_e64 v27, null, -1, v19, vcc_lo
	v_add3_u32 v25, v2, v25, v3
	s_add_u32 s12, s20, s4
	s_addc_u32 s13, s21, s5
	s_add_u32 s16, s12, 0x80
	s_addc_u32 s17, s13, 0
	s_lshl_b64 s[20:21], s[24:25], 3
	s_waitcnt lgkmcnt(0)
	s_lshl_b32 s26, s42, 5
	s_branch .LBB75_4
.LBB75_3:                               ;   in Loop: Header=BB75_4 Depth=1
	s_or_b32 exec_lo, exec_lo, s4
	v_add_nc_u32_e32 v30, s26, v30
	s_add_i32 s7, s42, s7
	s_cmp_le_i32 s7, s34
	s_cbranch_scc0 .LBB75_64
.LBB75_4:                               ; =>This Loop Header: Depth=1
                                        ;     Child Loop BB75_7 Depth 2
	v_lshl_add_u32 v48, s7, 5, v1
	s_andn2_b32 vcc_lo, exec_lo, s39
	v_ashrrev_i32_e32 v49, 31, v48
	s_cbranch_vccnz .LBB75_55
; %bb.5:                                ;   in Loop: Header=BB75_4 Depth=1
	v_ashrrev_i32_e32 v31, 31, v30
	v_mad_u64_u32 v[34:35], null, s20, v30, s[16:17]
	v_mul_lo_u32 v4, s21, v30
	v_mov_b32_e32 v39, v21
	v_lshlrev_b64 v[2:3], 3, v[30:31]
	v_mul_lo_u32 v7, s20, v31
	v_mov_b32_e32 v41, v25
	v_mov_b32_e32 v31, 0
	;; [unrolled: 1-line block ×4, first 2 shown]
	v_add_co_u32 v5, vcc_lo, 0x80, v2
	v_add_co_ci_u32_e64 v6, null, 0, v3, vcc_lo
	v_sub_co_u32 v2, vcc_lo, s35, v48
	v_mul_lo_u32 v8, s25, v5
	v_mul_lo_u32 v6, s24, v6
	v_mad_u64_u32 v[36:37], null, s24, v5, s[12:13]
	v_sub_co_ci_u32_e64 v3, null, s43, v49, vcc_lo
	v_add3_u32 v35, v4, v35, v7
	v_mov_b32_e32 v50, 0
	v_mov_b32_e32 v52, 0
	v_cmp_lt_i64_e64 s4, 16, v[2:3]
	v_add3_u32 v37, v8, v37, v6
	v_mov_b32_e32 v51, 0
	v_mov_b32_e32 v54, 0
	;; [unrolled: 1-line block ×5, first 2 shown]
	s_mov_b64 s[22:23], 0
	v_cmp_lt_i64_e32 vcc_lo, 0, v[2:3]
	s_branch .LBB75_7
.LBB75_6:                               ;   in Loop: Header=BB75_7 Depth=2
	s_or_b32 exec_lo, exec_lo, s5
	s_waitcnt lgkmcnt(0)
	s_barrier
	buffer_gl0_inv
	ds_read_b128 v[57:60], v44
	ds_read2_b64 v[61:64], v42 offset1:16
	ds_read_b128 v[65:68], v44 offset:4096
	ds_read_b128 v[69:72], v44 offset:16
	;; [unrolled: 1-line block ×4, first 2 shown]
	ds_read2_b64 v[73:76], v42 offset0:32 offset1:48
	ds_read_b128 v[77:80], v44 offset:4112
	v_add_co_u32 v40, s5, v40, s14
	v_add_co_ci_u32_e64 v41, null, s15, v41, s5
	v_add_co_u32 v34, s5, 0x100, v34
	v_add_co_ci_u32_e64 v35, null, 0, v35, s5
	;; [unrolled: 2-line block ×3, first 2 shown]
	v_add_co_u32 v36, s5, 0x100, v36
	s_waitcnt lgkmcnt(6)
	v_mul_f32_e32 v81, v58, v62
	v_mul_f32_e32 v82, v57, v62
	;; [unrolled: 1-line block ×4, first 2 shown]
	s_waitcnt lgkmcnt(5)
	v_mul_f32_e32 v85, v66, v62
	v_mul_f32_e32 v62, v65, v62
	;; [unrolled: 1-line block ×3, first 2 shown]
	v_fma_f32 v81, v57, v61, -v81
	v_fmac_f32_e32 v82, v58, v61
	v_fma_f32 v57, v57, v63, -v83
	v_fmac_f32_e32 v84, v58, v63
	v_fma_f32 v58, v65, v61, -v85
	v_fmac_f32_e32 v62, v66, v61
	v_fma_f32 v61, v65, v63, -v86
	v_mul_f32_e32 v64, v65, v64
	v_add_f32_e32 v57, v53, v57
	v_add_f32_e32 v58, v51, v58
	;; [unrolled: 1-line block ×3, first 2 shown]
	s_waitcnt lgkmcnt(1)
	v_mul_f32_e32 v65, v60, v74
	v_add_f32_e32 v61, v50, v61
	ds_read2_b64 v[50:53], v42 offset0:64 offset1:80
	v_add_f32_e32 v55, v55, v81
	v_fmac_f32_e32 v64, v66, v63
	v_mul_f32_e32 v63, v59, v74
	v_fma_f32 v65, v59, v73, -v65
	v_mul_f32_e32 v66, v60, v76
	v_add_f32_e32 v56, v56, v82
	v_add_f32_e32 v31, v31, v64
	v_fmac_f32_e32 v63, v60, v73
	v_mul_f32_e32 v64, v59, v76
	v_add_f32_e32 v65, v55, v65
	v_fma_f32 v55, v59, v75, -v66
	v_mul_f32_e32 v59, v68, v74
	v_add_f32_e32 v54, v54, v84
	v_add_f32_e32 v63, v56, v63
	v_fmac_f32_e32 v64, v60, v75
	v_mul_f32_e32 v56, v67, v74
	v_add_f32_e32 v60, v57, v55
	v_fma_f32 v55, v67, v73, -v59
	v_mul_f32_e32 v57, v68, v76
	v_add_f32_e32 v59, v54, v64
	v_fmac_f32_e32 v56, v68, v73
	v_mul_f32_e32 v64, v67, v76
	v_add_f32_e32 v58, v58, v55
	v_fma_f32 v54, v67, v75, -v57
	s_waitcnt lgkmcnt(0)
	v_mul_f32_e32 v55, v70, v51
	v_add_f32_e32 v62, v62, v56
	v_fmac_f32_e32 v64, v68, v75
	v_mul_f32_e32 v66, v69, v51
	v_add_f32_e32 v61, v61, v54
	v_fma_f32 v67, v69, v50, -v55
	v_mul_f32_e32 v68, v70, v53
	ds_read2_b64 v[54:57], v42 offset0:96 offset1:112
	v_fmac_f32_e32 v66, v70, v50
	v_add_f32_e32 v31, v31, v64
	v_add_f32_e32 v64, v65, v67
	v_fma_f32 v67, v69, v52, -v68
	v_mul_f32_e32 v65, v69, v53
	v_add_f32_e32 v63, v63, v66
	v_mul_f32_e32 v66, v78, v51
	v_mul_f32_e32 v51, v77, v51
	v_add_f32_e32 v60, v60, v67
	v_mul_f32_e32 v67, v78, v53
	v_fmac_f32_e32 v65, v70, v52
	v_fma_f32 v66, v77, v50, -v66
	v_fmac_f32_e32 v51, v78, v50
	v_mul_f32_e32 v68, v77, v53
	v_fma_f32 v50, v77, v52, -v67
	v_add_f32_e32 v59, v59, v65
	v_add_f32_e32 v65, v58, v66
	;; [unrolled: 1-line block ×3, first 2 shown]
	v_fmac_f32_e32 v68, v78, v52
	s_waitcnt lgkmcnt(0)
	v_mul_f32_e32 v58, v72, v55
	v_add_f32_e32 v66, v61, v50
	ds_read2_b64 v[50:53], v42 offset0:128 offset1:144
	v_mul_f32_e32 v61, v71, v55
	v_mul_f32_e32 v67, v72, v57
	v_fma_f32 v58, v71, v54, -v58
	v_add_f32_e32 v31, v31, v68
	v_mul_f32_e32 v68, v71, v57
	v_fmac_f32_e32 v61, v72, v54
	v_fma_f32 v67, v71, v56, -v67
	v_add_f32_e32 v64, v64, v58
	v_mul_f32_e32 v58, v80, v55
	v_fmac_f32_e32 v68, v72, v56
	v_mul_f32_e32 v55, v79, v55
	v_mul_f32_e32 v70, v80, v57
	v_add_f32_e32 v63, v63, v61
	v_fma_f32 v69, v79, v54, -v58
	v_add_f32_e32 v67, v60, v67
	v_add_f32_e32 v68, v59, v68
	ds_read_b128 v[58:61], v44 offset:4128
	v_fmac_f32_e32 v55, v80, v54
	v_add_f32_e32 v69, v65, v69
	v_mul_f32_e32 v65, v79, v57
	v_fma_f32 v54, v79, v56, -v70
	s_waitcnt lgkmcnt(1)
	v_mul_f32_e32 v57, v7, v51
	v_add_f32_e32 v70, v62, v55
	v_mul_f32_e32 v62, v6, v51
	v_fmac_f32_e32 v65, v80, v56
	v_add_f32_e32 v66, v66, v54
	v_fma_f32 v71, v6, v50, -v57
	ds_read2_b64 v[54:57], v42 offset0:160 offset1:176
	v_fmac_f32_e32 v62, v7, v50
	v_mul_f32_e32 v72, v7, v53
	v_mul_f32_e32 v73, v6, v53
	v_add_f32_e32 v31, v31, v65
	v_add_f32_e32 v71, v64, v71
	v_add_f32_e32 v74, v63, v62
	v_fma_f32 v6, v6, v52, -v72
	ds_read_b128 v[62:65], v44 offset:4144
	s_waitcnt lgkmcnt(2)
	v_mul_f32_e32 v72, v59, v51
	v_fmac_f32_e32 v73, v7, v52
	v_mul_f32_e32 v7, v58, v51
	v_mul_f32_e32 v51, v59, v53
	v_add_f32_e32 v6, v67, v6
	v_fma_f32 v67, v58, v50, -v72
	v_mul_f32_e32 v72, v58, v53
	v_fmac_f32_e32 v7, v59, v50
	v_fma_f32 v50, v58, v52, -v51
	v_add_f32_e32 v68, v68, v73
	v_add_f32_e32 v58, v69, v67
	s_waitcnt lgkmcnt(1)
	v_mul_f32_e32 v51, v9, v55
	v_fmac_f32_e32 v72, v59, v52
	v_add_f32_e32 v59, v66, v50
	v_mul_f32_e32 v69, v9, v57
	v_add_f32_e32 v7, v70, v7
	v_fma_f32 v67, v8, v54, -v51
	ds_read2_b64 v[50:53], v42 offset0:192 offset1:208
	v_mul_f32_e32 v66, v8, v55
	v_mul_f32_e32 v70, v8, v57
	v_fma_f32 v8, v8, v56, -v69
	v_mul_f32_e32 v69, v61, v55
	v_mul_f32_e32 v55, v60, v55
	v_add_f32_e32 v67, v71, v67
	v_fmac_f32_e32 v66, v9, v54
	v_add_f32_e32 v71, v6, v8
	v_fma_f32 v6, v60, v54, -v69
	v_fmac_f32_e32 v55, v61, v54
	v_mul_f32_e32 v8, v61, v57
	v_fmac_f32_e32 v70, v9, v56
	v_mul_f32_e32 v57, v60, v57
	v_add_f32_e32 v58, v58, v6
	v_add_f32_e32 v55, v7, v55
	v_fma_f32 v60, v60, v56, -v8
	ds_read2_b64 v[6:9], v42 offset0:224 offset1:240
	v_add_f32_e32 v54, v68, v70
	v_fmac_f32_e32 v57, v61, v56
	s_waitcnt lgkmcnt(1)
	v_mul_f32_e32 v68, v3, v51
	v_mul_f32_e32 v56, v2, v51
	v_add_f32_e32 v66, v74, v66
	v_add_f32_e32 v59, v59, v60
	v_mul_f32_e32 v61, v3, v53
	v_fma_f32 v60, v2, v50, -v68
	v_fmac_f32_e32 v56, v3, v50
	v_mul_f32_e32 v68, v2, v53
	v_add_f32_e32 v31, v31, v72
	v_fma_f32 v2, v2, v52, -v61
	v_add_f32_e32 v60, v67, v60
	v_add_f32_e32 v61, v66, v56
	v_fmac_f32_e32 v68, v3, v52
	v_mul_f32_e32 v3, v63, v51
	v_mul_f32_e32 v51, v62, v51
	;; [unrolled: 1-line block ×4, first 2 shown]
	s_waitcnt lgkmcnt(0)
	v_mul_f32_e32 v53, v5, v7
	v_fma_f32 v3, v62, v50, -v3
	v_fmac_f32_e32 v51, v63, v50
	v_fma_f32 v50, v62, v52, -v56
	v_add_f32_e32 v31, v31, v57
	v_add_f32_e32 v66, v54, v68
	;; [unrolled: 1-line block ×4, first 2 shown]
	v_fmac_f32_e32 v67, v63, v52
	v_add_f32_e32 v63, v59, v50
	v_fma_f32 v3, v4, v6, -v53
	ds_read_b128 v[50:53], v44 offset:64
	ds_read2_b64 v[54:57], v45 offset1:16
	v_mul_f32_e32 v59, v4, v7
	v_mul_f32_e32 v68, v5, v9
	v_add_f32_e32 v2, v71, v2
	v_add_f32_e32 v31, v31, v67
	v_mul_f32_e32 v67, v4, v9
	v_fmac_f32_e32 v59, v5, v6
	v_add_f32_e32 v69, v60, v3
	v_fma_f32 v3, v4, v8, -v68
	v_mul_f32_e32 v4, v65, v7
	v_mul_f32_e32 v7, v64, v7
	;; [unrolled: 1-line block ×3, first 2 shown]
	v_add_f32_e32 v68, v61, v59
	v_fmac_f32_e32 v67, v5, v8
	v_add_f32_e32 v70, v2, v3
	v_fma_f32 v59, v64, v6, -v4
	v_fmac_f32_e32 v7, v65, v6
	ds_read_b128 v[2:5], v44 offset:4160
	v_fma_f32 v6, v64, v8, -v60
	v_mul_f32_e32 v64, v64, v9
	s_waitcnt lgkmcnt(1)
	v_mul_f32_e32 v9, v51, v55
	v_add_f32_e32 v71, v62, v7
	v_mul_f32_e32 v62, v50, v55
	v_add_f32_e32 v72, v63, v6
	v_fmac_f32_e32 v64, v65, v8
	v_fma_f32 v63, v50, v54, -v9
	ds_read2_b64 v[6:9], v45 offset0:32 offset1:48
	v_mul_f32_e32 v65, v51, v57
	v_mul_f32_e32 v73, v50, v57
	v_add_f32_e32 v66, v66, v67
	v_add_f32_e32 v67, v58, v59
	ds_read_b128 v[58:61], v44 offset:80
	v_fmac_f32_e32 v62, v51, v54
	v_fma_f32 v50, v50, v56, -v65
	v_fmac_f32_e32 v73, v51, v56
	v_add_f32_e32 v69, v69, v63
	v_add_f32_e32 v31, v31, v64
	s_waitcnt lgkmcnt(2)
	v_mul_f32_e32 v74, v3, v55
	v_mul_f32_e32 v51, v2, v55
	;; [unrolled: 1-line block ×3, first 2 shown]
	v_add_f32_e32 v50, v70, v50
	v_add_f32_e32 v66, v66, v73
	v_fma_f32 v70, v2, v54, -v74
	v_fmac_f32_e32 v51, v3, v54
	v_mul_f32_e32 v73, v2, v57
	v_fma_f32 v2, v2, v56, -v55
	s_waitcnt lgkmcnt(1)
	v_mul_f32_e32 v54, v53, v7
	v_add_f32_e32 v67, v67, v70
	v_add_f32_e32 v51, v71, v51
	v_fmac_f32_e32 v73, v3, v56
	v_add_f32_e32 v70, v72, v2
	v_mul_f32_e32 v2, v52, v7
	v_fma_f32 v3, v52, v6, -v54
	ds_read2_b64 v[54:57], v45 offset0:64 offset1:80
	v_mul_f32_e32 v71, v53, v9
	v_add_f32_e32 v68, v68, v62
	v_fmac_f32_e32 v2, v53, v6
	v_add_f32_e32 v69, v69, v3
	v_mul_f32_e32 v3, v52, v9
	v_fma_f32 v52, v52, v8, -v71
	v_mul_f32_e32 v71, v5, v7
	v_mul_f32_e32 v7, v4, v7
	ds_read_b128 v[62:65], v44 offset:4176
	v_add_f32_e32 v68, v68, v2
	v_fmac_f32_e32 v3, v53, v8
	v_fma_f32 v2, v4, v6, -v71
	v_fmac_f32_e32 v7, v5, v6
	v_mul_f32_e32 v6, v5, v9
	v_mul_f32_e32 v9, v4, v9
	v_add_f32_e32 v50, v50, v52
	v_add_f32_e32 v52, v66, v3
	;; [unrolled: 1-line block ×3, first 2 shown]
	v_fma_f32 v6, v4, v8, -v6
	v_fmac_f32_e32 v9, v5, v8
	ds_read2_b64 v[2:5], v45 offset0:96 offset1:112
	v_add_f32_e32 v31, v31, v73
	v_add_f32_e32 v7, v51, v7
	s_waitcnt lgkmcnt(2)
	v_mul_f32_e32 v51, v59, v55
	v_mul_f32_e32 v8, v58, v55
	;; [unrolled: 1-line block ×3, first 2 shown]
	v_add_f32_e32 v31, v31, v9
	v_mul_f32_e32 v67, v58, v57
	v_fma_f32 v51, v58, v54, -v51
	v_fmac_f32_e32 v8, v59, v54
	v_fma_f32 v9, v58, v56, -v66
	v_add_f32_e32 v6, v70, v6
	v_fmac_f32_e32 v67, v59, v56
	v_add_f32_e32 v69, v69, v51
	v_add_f32_e32 v58, v68, v8
	s_waitcnt lgkmcnt(1)
	v_mul_f32_e32 v8, v63, v55
	v_mul_f32_e32 v51, v62, v55
	v_add_f32_e32 v55, v50, v9
	v_mul_f32_e32 v9, v63, v57
	v_add_f32_e32 v59, v52, v67
	v_fma_f32 v8, v62, v54, -v8
	v_fmac_f32_e32 v51, v63, v54
	v_mul_f32_e32 v54, v62, v57
	v_fma_f32 v9, v62, v56, -v9
	s_waitcnt lgkmcnt(0)
	v_mul_f32_e32 v50, v61, v3
	v_add_f32_e32 v62, v53, v8
	v_add_f32_e32 v66, v7, v51
	v_fmac_f32_e32 v54, v63, v56
	v_add_f32_e32 v63, v6, v9
	v_fma_f32 v56, v60, v2, -v50
	ds_read_b128 v[6:9], v44 offset:96
	ds_read2_b64 v[50:53], v45 offset0:128 offset1:144
	v_mul_f32_e32 v57, v60, v3
	v_mul_f32_e32 v67, v61, v5
	v_add_f32_e32 v31, v31, v54
	v_mul_f32_e32 v54, v60, v5
	v_add_f32_e32 v68, v69, v56
	v_fmac_f32_e32 v57, v61, v2
	v_fma_f32 v56, v60, v4, -v67
	v_mul_f32_e32 v60, v65, v3
	v_fmac_f32_e32 v54, v61, v4
	v_mul_f32_e32 v3, v64, v3
	v_add_f32_e32 v67, v58, v57
	v_add_f32_e32 v69, v55, v56
	v_fma_f32 v58, v64, v2, -v60
	v_mul_f32_e32 v60, v65, v5
	v_add_f32_e32 v70, v59, v54
	v_fmac_f32_e32 v3, v65, v2
	ds_read_b128 v[54:57], v44 offset:4192
	v_add_f32_e32 v71, v62, v58
	v_fma_f32 v2, v64, v4, -v60
	v_mul_f32_e32 v62, v64, v5
	s_waitcnt lgkmcnt(1)
	v_mul_f32_e32 v5, v7, v51
	v_add_f32_e32 v66, v66, v3
	v_mul_f32_e32 v64, v6, v51
	v_add_f32_e32 v72, v63, v2
	v_fmac_f32_e32 v62, v65, v4
	v_fma_f32 v63, v6, v50, -v5
	ds_read2_b64 v[2:5], v45 offset0:160 offset1:176
	v_mul_f32_e32 v65, v7, v53
	v_mul_f32_e32 v73, v6, v53
	ds_read_b128 v[58:61], v44 offset:112
	v_fmac_f32_e32 v64, v7, v50
	v_add_f32_e32 v68, v68, v63
	v_fma_f32 v6, v6, v52, -v65
	v_fmac_f32_e32 v73, v7, v52
	v_add_f32_e32 v31, v31, v62
	v_add_f32_e32 v67, v67, v64
	s_waitcnt lgkmcnt(2)
	v_mul_f32_e32 v74, v55, v51
	v_mul_f32_e32 v7, v54, v51
	;; [unrolled: 1-line block ×3, first 2 shown]
	v_add_f32_e32 v6, v69, v6
	v_add_f32_e32 v70, v70, v73
	v_fma_f32 v69, v54, v50, -v74
	v_fmac_f32_e32 v7, v55, v50
	v_mul_f32_e32 v73, v54, v53
	v_fma_f32 v50, v54, v52, -v51
	ds_read_b128 v[62:65], v44 offset:4208
	s_waitcnt lgkmcnt(2)
	v_mul_f32_e32 v51, v9, v3
	v_add_f32_e32 v54, v71, v69
	v_fmac_f32_e32 v73, v55, v52
	v_add_f32_e32 v55, v72, v50
	v_add_f32_e32 v7, v66, v7
	v_fma_f32 v69, v8, v2, -v51
	ds_read2_b64 v[50:53], v45 offset0:192 offset1:208
	v_mul_f32_e32 v66, v8, v3
	v_mul_f32_e32 v71, v9, v5
	v_add_f32_e32 v31, v31, v73
	v_add_f32_e32 v68, v68, v69
	v_mul_f32_e32 v69, v8, v5
	v_fmac_f32_e32 v66, v9, v2
	v_fma_f32 v8, v8, v4, -v71
	v_mul_f32_e32 v71, v57, v3
	v_mul_f32_e32 v3, v56, v3
	v_fmac_f32_e32 v69, v9, v4
	v_add_f32_e32 v66, v67, v66
	v_add_f32_e32 v6, v6, v8
	v_fma_f32 v8, v56, v2, -v71
	v_fmac_f32_e32 v3, v57, v2
	v_mul_f32_e32 v2, v57, v5
	v_mul_f32_e32 v67, v56, v5
	v_add_f32_e32 v9, v70, v69
	v_add_f32_e32 v8, v54, v8
	;; [unrolled: 1-line block ×3, first 2 shown]
	v_fma_f32 v54, v56, v4, -v2
	s_waitcnt lgkmcnt(0)
	v_mul_f32_e32 v56, v59, v51
	v_fmac_f32_e32 v67, v57, v4
	ds_read2_b64 v[2:5], v45 offset0:224 offset1:240
	v_mul_f32_e32 v69, v58, v53
	v_add_f32_e32 v54, v55, v54
	v_fma_f32 v55, v58, v50, -v56
	v_mul_f32_e32 v56, v59, v53
	v_mul_f32_e32 v57, v58, v51
	v_fmac_f32_e32 v69, v59, v52
	v_add_f32_e32 v31, v31, v67
	v_add_f32_e32 v55, v68, v55
	v_fma_f32 v56, v58, v52, -v56
	v_mul_f32_e32 v58, v63, v51
	v_mul_f32_e32 v51, v62, v51
	v_fmac_f32_e32 v57, v59, v50
	v_add_f32_e32 v59, v9, v69
	v_add_f32_e32 v56, v6, v56
	v_mul_f32_e32 v6, v63, v53
	v_fma_f32 v9, v62, v50, -v58
	v_fmac_f32_e32 v51, v63, v50
	v_mul_f32_e32 v58, v62, v53
	v_add_f32_e32 v57, v66, v57
	v_fma_f32 v6, v62, v52, -v6
	s_waitcnt lgkmcnt(0)
	v_mul_f32_e32 v50, v61, v3
	v_add_f32_e32 v62, v8, v9
	v_add_f32_e32 v66, v7, v51
	v_fmac_f32_e32 v58, v63, v52
	v_add_f32_e32 v63, v54, v6
	v_fma_f32 v54, v60, v2, -v50
	ds_read_b128 v[6:9], v44 offset:128
	ds_read2_b64 v[50:53], v46 offset1:16
	v_mul_f32_e32 v67, v60, v3
	v_mul_f32_e32 v68, v61, v5
	v_add_f32_e32 v31, v31, v58
	v_mul_f32_e32 v58, v60, v5
	v_add_f32_e32 v69, v55, v54
	v_mul_f32_e32 v55, v65, v3
	v_fmac_f32_e32 v67, v61, v2
	v_fma_f32 v54, v60, v4, -v68
	v_fmac_f32_e32 v58, v61, v4
	v_mul_f32_e32 v3, v64, v3
	v_fma_f32 v60, v64, v2, -v55
	v_mul_f32_e32 v61, v65, v5
	v_add_f32_e32 v67, v57, v67
	v_add_f32_e32 v68, v56, v54
	v_fmac_f32_e32 v3, v65, v2
	ds_read_b128 v[54:57], v44 offset:4224
	v_add_f32_e32 v71, v62, v60
	v_fma_f32 v2, v64, v4, -v61
	v_mul_f32_e32 v62, v64, v5
	s_waitcnt lgkmcnt(1)
	v_mul_f32_e32 v5, v7, v51
	v_add_f32_e32 v66, v66, v3
	v_mul_f32_e32 v64, v6, v51
	v_add_f32_e32 v72, v63, v2
	v_fmac_f32_e32 v62, v65, v4
	v_fma_f32 v63, v6, v50, -v5
	ds_read2_b64 v[2:5], v46 offset0:32 offset1:48
	v_mul_f32_e32 v65, v7, v53
	v_mul_f32_e32 v73, v6, v53
	v_add_f32_e32 v70, v59, v58
	ds_read_b128 v[58:61], v44 offset:144
	v_fmac_f32_e32 v64, v7, v50
	v_fma_f32 v6, v6, v52, -v65
	v_fmac_f32_e32 v73, v7, v52
	v_add_f32_e32 v69, v69, v63
	v_add_f32_e32 v31, v31, v62
	s_waitcnt lgkmcnt(2)
	v_mul_f32_e32 v74, v55, v51
	v_mul_f32_e32 v7, v54, v51
	;; [unrolled: 1-line block ×3, first 2 shown]
	v_add_f32_e32 v6, v68, v6
	v_add_f32_e32 v70, v70, v73
	v_fma_f32 v68, v54, v50, -v74
	v_fmac_f32_e32 v7, v55, v50
	v_mul_f32_e32 v73, v54, v53
	v_fma_f32 v50, v54, v52, -v51
	v_add_f32_e32 v67, v67, v64
	s_waitcnt lgkmcnt(1)
	v_mul_f32_e32 v51, v9, v3
	v_add_f32_e32 v54, v71, v68
	v_fmac_f32_e32 v73, v55, v52
	v_add_f32_e32 v55, v72, v50
	v_add_f32_e32 v7, v66, v7
	v_fma_f32 v68, v8, v2, -v51
	ds_read2_b64 v[50:53], v46 offset0:64 offset1:80
	v_mul_f32_e32 v66, v8, v3
	v_mul_f32_e32 v71, v9, v5
	ds_read_b128 v[62:65], v44 offset:4240
	v_add_f32_e32 v68, v69, v68
	v_mul_f32_e32 v69, v8, v5
	v_fmac_f32_e32 v66, v9, v2
	v_fma_f32 v8, v8, v4, -v71
	v_mul_f32_e32 v71, v57, v3
	v_mul_f32_e32 v3, v56, v3
	v_fmac_f32_e32 v69, v9, v4
	v_add_f32_e32 v66, v67, v66
	v_add_f32_e32 v6, v6, v8
	v_fma_f32 v8, v56, v2, -v71
	v_fmac_f32_e32 v3, v57, v2
	v_mul_f32_e32 v2, v57, v5
	v_mul_f32_e32 v67, v56, v5
	v_add_f32_e32 v9, v70, v69
	v_add_f32_e32 v8, v54, v8
	;; [unrolled: 1-line block ×3, first 2 shown]
	v_fma_f32 v54, v56, v4, -v2
	s_waitcnt lgkmcnt(1)
	v_mul_f32_e32 v56, v59, v51
	v_fmac_f32_e32 v67, v57, v4
	ds_read2_b64 v[2:5], v46 offset0:96 offset1:112
	v_mul_f32_e32 v69, v58, v53
	v_add_f32_e32 v54, v55, v54
	v_fma_f32 v55, v58, v50, -v56
	v_mul_f32_e32 v56, v59, v53
	v_mul_f32_e32 v57, v58, v51
	v_fmac_f32_e32 v69, v59, v52
	v_add_f32_e32 v31, v31, v73
	v_add_f32_e32 v55, v68, v55
	v_fma_f32 v56, v58, v52, -v56
	s_waitcnt lgkmcnt(1)
	v_mul_f32_e32 v58, v63, v51
	v_mul_f32_e32 v51, v62, v51
	v_fmac_f32_e32 v57, v59, v50
	v_add_f32_e32 v59, v9, v69
	v_add_f32_e32 v56, v6, v56
	v_mul_f32_e32 v6, v63, v53
	v_fma_f32 v9, v62, v50, -v58
	v_fmac_f32_e32 v51, v63, v50
	v_mul_f32_e32 v58, v62, v53
	v_add_f32_e32 v57, v66, v57
	v_fma_f32 v6, v62, v52, -v6
	s_waitcnt lgkmcnt(0)
	v_mul_f32_e32 v50, v61, v3
	v_add_f32_e32 v62, v8, v9
	v_add_f32_e32 v66, v7, v51
	v_fmac_f32_e32 v58, v63, v52
	v_add_f32_e32 v63, v54, v6
	v_fma_f32 v54, v60, v2, -v50
	ds_read_b128 v[6:9], v44 offset:160
	ds_read2_b64 v[50:53], v46 offset0:128 offset1:144
	v_add_f32_e32 v31, v31, v67
	v_mul_f32_e32 v67, v60, v3
	v_mul_f32_e32 v68, v61, v5
	v_add_f32_e32 v69, v55, v54
	v_mul_f32_e32 v55, v65, v3
	v_add_f32_e32 v31, v31, v58
	v_mul_f32_e32 v58, v60, v5
	v_fmac_f32_e32 v67, v61, v2
	v_fma_f32 v54, v60, v4, -v68
	v_mul_f32_e32 v3, v64, v3
	v_fma_f32 v60, v64, v2, -v55
	v_fmac_f32_e32 v58, v61, v4
	v_mul_f32_e32 v61, v65, v5
	v_add_f32_e32 v67, v57, v67
	v_add_f32_e32 v68, v56, v54
	v_fmac_f32_e32 v3, v65, v2
	ds_read_b128 v[54:57], v44 offset:4256
	v_add_f32_e32 v71, v62, v60
	v_fma_f32 v2, v64, v4, -v61
	v_mul_f32_e32 v62, v64, v5
	s_waitcnt lgkmcnt(1)
	v_mul_f32_e32 v5, v7, v51
	v_add_f32_e32 v66, v66, v3
	v_mul_f32_e32 v64, v6, v51
	v_add_f32_e32 v72, v63, v2
	v_fmac_f32_e32 v62, v65, v4
	v_fma_f32 v63, v6, v50, -v5
	ds_read2_b64 v[2:5], v46 offset0:160 offset1:176
	v_mul_f32_e32 v65, v7, v53
	v_mul_f32_e32 v73, v6, v53
	v_add_f32_e32 v70, v59, v58
	ds_read_b128 v[58:61], v44 offset:176
	v_fmac_f32_e32 v64, v7, v50
	v_fma_f32 v6, v6, v52, -v65
	v_fmac_f32_e32 v73, v7, v52
	v_add_f32_e32 v69, v69, v63
	v_add_f32_e32 v31, v31, v62
	s_waitcnt lgkmcnt(2)
	v_mul_f32_e32 v74, v55, v51
	v_mul_f32_e32 v7, v54, v51
	;; [unrolled: 1-line block ×3, first 2 shown]
	v_add_f32_e32 v6, v68, v6
	v_add_f32_e32 v70, v70, v73
	v_fma_f32 v68, v54, v50, -v74
	v_fmac_f32_e32 v7, v55, v50
	v_mul_f32_e32 v73, v54, v53
	v_fma_f32 v50, v54, v52, -v51
	v_add_f32_e32 v67, v67, v64
	s_waitcnt lgkmcnt(1)
	v_mul_f32_e32 v51, v9, v3
	v_add_f32_e32 v54, v71, v68
	v_fmac_f32_e32 v73, v55, v52
	v_add_f32_e32 v55, v72, v50
	v_add_f32_e32 v7, v66, v7
	v_fma_f32 v68, v8, v2, -v51
	ds_read2_b64 v[50:53], v46 offset0:192 offset1:208
	v_mul_f32_e32 v66, v8, v3
	v_mul_f32_e32 v71, v9, v5
	ds_read_b128 v[62:65], v44 offset:4272
	v_add_f32_e32 v68, v69, v68
	v_mul_f32_e32 v69, v8, v5
	v_fmac_f32_e32 v66, v9, v2
	v_fma_f32 v8, v8, v4, -v71
	v_mul_f32_e32 v71, v57, v3
	v_mul_f32_e32 v3, v56, v3
	v_fmac_f32_e32 v69, v9, v4
	v_add_f32_e32 v66, v67, v66
	v_add_f32_e32 v6, v6, v8
	v_fma_f32 v8, v56, v2, -v71
	v_fmac_f32_e32 v3, v57, v2
	v_mul_f32_e32 v2, v57, v5
	v_mul_f32_e32 v67, v56, v5
	v_add_f32_e32 v9, v70, v69
	v_add_f32_e32 v8, v54, v8
	;; [unrolled: 1-line block ×3, first 2 shown]
	v_fma_f32 v54, v56, v4, -v2
	s_waitcnt lgkmcnt(1)
	v_mul_f32_e32 v56, v59, v51
	v_fmac_f32_e32 v67, v57, v4
	ds_read2_b64 v[2:5], v46 offset0:224 offset1:240
	v_mul_f32_e32 v69, v58, v53
	v_add_f32_e32 v54, v55, v54
	v_fma_f32 v55, v58, v50, -v56
	v_mul_f32_e32 v56, v59, v53
	v_mul_f32_e32 v57, v58, v51
	v_fmac_f32_e32 v69, v59, v52
	v_add_f32_e32 v31, v31, v73
	v_add_f32_e32 v55, v68, v55
	v_fma_f32 v56, v58, v52, -v56
	s_waitcnt lgkmcnt(1)
	v_mul_f32_e32 v58, v63, v51
	v_mul_f32_e32 v51, v62, v51
	v_fmac_f32_e32 v57, v59, v50
	v_add_f32_e32 v59, v9, v69
	v_add_f32_e32 v56, v6, v56
	v_mul_f32_e32 v6, v63, v53
	v_fma_f32 v9, v62, v50, -v58
	v_fmac_f32_e32 v51, v63, v50
	v_mul_f32_e32 v58, v62, v53
	v_add_f32_e32 v57, v66, v57
	v_fma_f32 v6, v62, v52, -v6
	s_waitcnt lgkmcnt(0)
	v_mul_f32_e32 v50, v61, v3
	v_add_f32_e32 v62, v8, v9
	v_add_f32_e32 v66, v7, v51
	v_fmac_f32_e32 v58, v63, v52
	v_add_f32_e32 v63, v54, v6
	v_fma_f32 v54, v60, v2, -v50
	ds_read_b128 v[6:9], v44 offset:192
	ds_read2_b64 v[50:53], v47 offset1:16
	v_add_f32_e32 v31, v31, v67
	v_mul_f32_e32 v67, v60, v3
	v_mul_f32_e32 v68, v61, v5
	v_add_f32_e32 v69, v55, v54
	v_mul_f32_e32 v55, v65, v3
	v_add_f32_e32 v31, v31, v58
	v_mul_f32_e32 v58, v60, v5
	v_fmac_f32_e32 v67, v61, v2
	v_fma_f32 v54, v60, v4, -v68
	v_mul_f32_e32 v3, v64, v3
	v_fma_f32 v60, v64, v2, -v55
	v_fmac_f32_e32 v58, v61, v4
	v_mul_f32_e32 v61, v65, v5
	v_add_f32_e32 v67, v57, v67
	v_add_f32_e32 v68, v56, v54
	v_fmac_f32_e32 v3, v65, v2
	ds_read_b128 v[54:57], v44 offset:4288
	v_add_f32_e32 v71, v62, v60
	v_fma_f32 v2, v64, v4, -v61
	v_mul_f32_e32 v62, v64, v5
	s_waitcnt lgkmcnt(1)
	v_mul_f32_e32 v5, v7, v51
	v_add_f32_e32 v66, v66, v3
	v_mul_f32_e32 v64, v6, v51
	v_add_f32_e32 v72, v63, v2
	v_fmac_f32_e32 v62, v65, v4
	v_fma_f32 v63, v6, v50, -v5
	ds_read2_b64 v[2:5], v47 offset0:32 offset1:48
	v_mul_f32_e32 v65, v7, v53
	v_mul_f32_e32 v73, v6, v53
	v_add_f32_e32 v70, v59, v58
	ds_read_b128 v[58:61], v44 offset:208
	v_fmac_f32_e32 v64, v7, v50
	v_fma_f32 v6, v6, v52, -v65
	v_fmac_f32_e32 v73, v7, v52
	v_add_f32_e32 v69, v69, v63
	v_add_f32_e32 v31, v31, v62
	s_waitcnt lgkmcnt(2)
	v_mul_f32_e32 v74, v55, v51
	v_mul_f32_e32 v7, v54, v51
	;; [unrolled: 1-line block ×3, first 2 shown]
	v_add_f32_e32 v6, v68, v6
	v_add_f32_e32 v70, v70, v73
	v_fma_f32 v68, v54, v50, -v74
	v_fmac_f32_e32 v7, v55, v50
	v_mul_f32_e32 v73, v54, v53
	v_fma_f32 v50, v54, v52, -v51
	v_add_f32_e32 v67, v67, v64
	s_waitcnt lgkmcnt(1)
	v_mul_f32_e32 v51, v9, v3
	v_add_f32_e32 v54, v71, v68
	v_fmac_f32_e32 v73, v55, v52
	v_add_f32_e32 v55, v72, v50
	v_add_f32_e32 v7, v66, v7
	v_fma_f32 v68, v8, v2, -v51
	ds_read2_b64 v[50:53], v47 offset0:64 offset1:80
	v_mul_f32_e32 v66, v8, v3
	v_mul_f32_e32 v71, v9, v5
	ds_read_b128 v[62:65], v44 offset:4304
	v_add_f32_e32 v68, v69, v68
	v_mul_f32_e32 v69, v8, v5
	v_fmac_f32_e32 v66, v9, v2
	v_fma_f32 v8, v8, v4, -v71
	v_mul_f32_e32 v71, v57, v3
	v_mul_f32_e32 v3, v56, v3
	v_fmac_f32_e32 v69, v9, v4
	v_add_f32_e32 v66, v67, v66
	v_add_f32_e32 v6, v6, v8
	v_fma_f32 v8, v56, v2, -v71
	v_fmac_f32_e32 v3, v57, v2
	v_mul_f32_e32 v2, v57, v5
	v_mul_f32_e32 v67, v56, v5
	v_add_f32_e32 v9, v70, v69
	v_add_f32_e32 v8, v54, v8
	;; [unrolled: 1-line block ×3, first 2 shown]
	v_fma_f32 v54, v56, v4, -v2
	s_waitcnt lgkmcnt(1)
	v_mul_f32_e32 v56, v59, v51
	v_fmac_f32_e32 v67, v57, v4
	ds_read2_b64 v[2:5], v47 offset0:96 offset1:112
	v_mul_f32_e32 v69, v58, v53
	v_add_f32_e32 v54, v55, v54
	v_fma_f32 v55, v58, v50, -v56
	v_mul_f32_e32 v56, v59, v53
	v_mul_f32_e32 v57, v58, v51
	v_fmac_f32_e32 v69, v59, v52
	v_add_f32_e32 v31, v31, v73
	v_add_f32_e32 v55, v68, v55
	v_fma_f32 v56, v58, v52, -v56
	s_waitcnt lgkmcnt(1)
	v_mul_f32_e32 v58, v63, v51
	v_mul_f32_e32 v51, v62, v51
	v_fmac_f32_e32 v57, v59, v50
	v_add_f32_e32 v59, v9, v69
	v_add_f32_e32 v56, v6, v56
	v_mul_f32_e32 v6, v63, v53
	v_fma_f32 v9, v62, v50, -v58
	v_fmac_f32_e32 v51, v63, v50
	v_mul_f32_e32 v58, v62, v53
	v_add_f32_e32 v31, v31, v67
	v_fma_f32 v6, v62, v52, -v6
	s_waitcnt lgkmcnt(0)
	v_mul_f32_e32 v50, v61, v3
	v_add_f32_e32 v57, v66, v57
	v_add_f32_e32 v62, v8, v9
	;; [unrolled: 1-line block ×3, first 2 shown]
	v_fmac_f32_e32 v58, v63, v52
	v_add_f32_e32 v63, v54, v6
	v_fma_f32 v54, v60, v2, -v50
	ds_read_b128 v[6:9], v44 offset:224
	ds_read2_b64 v[50:53], v47 offset0:128 offset1:144
	v_mul_f32_e32 v67, v60, v3
	v_mul_f32_e32 v68, v61, v5
	v_add_f32_e32 v31, v31, v58
	v_mul_f32_e32 v58, v60, v5
	v_add_co_ci_u32_e64 v37, null, 0, v37, s5
	v_fmac_f32_e32 v67, v61, v2
	v_fma_f32 v60, v60, v4, -v68
	v_add_f32_e32 v68, v55, v54
	v_mul_f32_e32 v54, v65, v3
	v_fmac_f32_e32 v58, v61, v4
	v_add_f32_e32 v67, v57, v67
	v_add_f32_e32 v69, v56, v60
	v_mul_f32_e32 v3, v64, v3
	v_fma_f32 v60, v64, v2, -v54
	v_add_f32_e32 v70, v59, v58
	v_mul_f32_e32 v58, v65, v5
	ds_read_b128 v[54:57], v44 offset:4320
	v_fmac_f32_e32 v3, v65, v2
	v_add_f32_e32 v71, v62, v60
	v_mul_f32_e32 v62, v64, v5
	v_fma_f32 v2, v64, v4, -v58
	s_waitcnt lgkmcnt(1)
	v_mul_f32_e32 v5, v7, v51
	v_add_f32_e32 v66, v66, v3
	v_mul_f32_e32 v64, v7, v53
	v_fmac_f32_e32 v62, v65, v4
	v_add_f32_e32 v72, v63, v2
	v_fma_f32 v63, v6, v50, -v5
	ds_read2_b64 v[2:5], v47 offset0:160 offset1:176
	ds_read_b128 v[58:61], v44 offset:240
	v_mul_f32_e32 v73, v6, v51
	v_mul_f32_e32 v74, v6, v53
	v_fma_f32 v6, v6, v52, -v64
	v_add_f32_e32 v68, v68, v63
	v_add_f32_e32 v31, v31, v62
	v_fmac_f32_e32 v73, v7, v50
	v_fmac_f32_e32 v74, v7, v52
	s_waitcnt lgkmcnt(2)
	v_mul_f32_e32 v75, v55, v51
	v_mul_f32_e32 v7, v54, v51
	v_add_f32_e32 v6, v69, v6
	v_mul_f32_e32 v69, v55, v53
	v_add_f32_e32 v67, v67, v73
	v_fma_f32 v51, v54, v50, -v75
	v_fmac_f32_e32 v7, v55, v50
	v_mul_f32_e32 v73, v54, v53
	v_fma_f32 v50, v54, v52, -v69
	ds_read_b128 v[62:65], v44 offset:4336
	v_add_f32_e32 v71, v71, v51
	s_waitcnt lgkmcnt(2)
	v_mul_f32_e32 v51, v9, v3
	v_add_f32_e32 v7, v66, v7
	v_fmac_f32_e32 v73, v55, v52
	v_mul_f32_e32 v54, v8, v3
	v_add_f32_e32 v55, v72, v50
	v_fma_f32 v66, v8, v2, -v51
	ds_read2_b64 v[50:53], v47 offset0:192 offset1:208
	v_mul_f32_e32 v69, v9, v5
	v_fmac_f32_e32 v54, v9, v2
	v_add_f32_e32 v70, v70, v74
	v_add_f32_e32 v66, v68, v66
	v_mul_f32_e32 v68, v8, v5
	v_fma_f32 v8, v8, v4, -v69
	v_add_f32_e32 v54, v67, v54
	v_mul_f32_e32 v67, v57, v3
	v_mul_f32_e32 v3, v56, v3
	v_fmac_f32_e32 v68, v9, v4
	v_add_f32_e32 v6, v6, v8
	v_mul_f32_e32 v8, v57, v5
	v_fma_f32 v9, v56, v2, -v67
	v_fmac_f32_e32 v3, v57, v2
	v_add_f32_e32 v67, v70, v68
	v_mul_f32_e32 v68, v56, v5
	v_fma_f32 v2, v56, v4, -v8
	v_add_f32_e32 v8, v71, v9
	v_add_f32_e32 v7, v7, v3
	s_waitcnt lgkmcnt(0)
	v_mul_f32_e32 v9, v59, v51
	v_fmac_f32_e32 v68, v57, v4
	v_add_f32_e32 v55, v55, v2
	ds_read2_b64 v[2:5], v47 offset0:224 offset1:240
	v_mul_f32_e32 v56, v58, v51
	v_fma_f32 v9, v58, v50, -v9
	v_mul_f32_e32 v57, v59, v53
	v_add_f32_e32 v31, v31, v73
	s_add_u32 s22, s22, 32
	v_fmac_f32_e32 v56, v59, v50
	v_add_f32_e32 v9, v66, v9
	v_mul_f32_e32 v66, v63, v51
	v_fma_f32 v57, v58, v52, -v57
	v_mul_f32_e32 v51, v62, v51
	v_add_f32_e32 v54, v54, v56
	v_add_f32_e32 v31, v31, v68
	v_fma_f32 v56, v62, v50, -v66
	v_mul_f32_e32 v68, v58, v53
	v_add_f32_e32 v6, v6, v57
	v_mul_f32_e32 v57, v63, v53
	v_fmac_f32_e32 v51, v63, v50
	v_add_f32_e32 v8, v8, v56
	v_mul_f32_e32 v50, v62, v53
	s_waitcnt lgkmcnt(0)
	v_mul_f32_e32 v56, v61, v3
	v_fmac_f32_e32 v68, v59, v52
	v_fma_f32 v53, v62, v52, -v57
	v_add_f32_e32 v7, v7, v51
	v_fmac_f32_e32 v50, v63, v52
	v_fma_f32 v51, v60, v2, -v56
	v_mul_f32_e32 v52, v61, v5
	v_mul_f32_e32 v57, v60, v3
	v_add_f32_e32 v59, v55, v53
	v_mul_f32_e32 v62, v60, v5
	v_add_f32_e32 v31, v31, v50
	v_add_f32_e32 v55, v9, v51
	v_fma_f32 v9, v60, v4, -v52
	v_mul_f32_e32 v50, v65, v3
	v_mul_f32_e32 v3, v64, v3
	;; [unrolled: 1-line block ×4, first 2 shown]
	v_add_f32_e32 v58, v67, v68
	v_fmac_f32_e32 v57, v61, v2
	v_fmac_f32_e32 v62, v61, v4
	v_add_f32_e32 v53, v6, v9
	v_fma_f32 v6, v64, v2, -v50
	v_fmac_f32_e32 v3, v65, v2
	v_fma_f32 v2, v64, v4, -v51
	v_fmac_f32_e32 v5, v65, v4
	v_add_f32_e32 v56, v54, v57
	v_add_f32_e32 v54, v58, v62
	;; [unrolled: 1-line block ×6, first 2 shown]
	s_addc_u32 s23, s23, 0
	s_cmp_ge_i32 s22, s38
	s_barrier
	buffer_gl0_inv
	s_cbranch_scc1 .LBB75_56
.LBB75_7:                               ;   Parent Loop BB75_4 Depth=1
                                        ; =>  This Inner Loop Header: Depth=2
	v_add_co_u32 v2, s5, v10, s22
	v_add_co_ci_u32_e64 v3, null, s23, v11, s5
	v_cmp_eq_u64_e64 s8, s[22:23], v[18:19]
	v_cmp_le_i64_e64 s6, s[10:11], v[2:3]
	v_cmp_lt_i64_e64 s5, v[2:3], v[12:13]
	s_and_b32 s29, s28, s8
	v_add_co_u32 v4, s8, v38, v28
	v_add_co_ci_u32_e64 v5, null, v39, v29, s8
	s_or_b32 s9, s6, s5
	s_or_b32 s8, s9, s29
	s_nor_b32 s8, s0, s8
	s_and_saveexec_b32 s9, s8
	s_xor_b32 s8, exec_lo, s9
	s_cbranch_execz .LBB75_9
; %bb.8:                                ;   in Loop: Header=BB75_7 Depth=2
	global_load_dwordx2 v[6:7], v[4:5], off
	s_waitcnt vmcnt(0)
	ds_write_b64 v43, v[6:7]
.LBB75_9:                               ;   in Loop: Header=BB75_7 Depth=2
	s_or_saveexec_b32 s8, s8
	s_xor_b32 s27, s29, -1
	s_xor_b32 exec_lo, exec_lo, s8
	s_cbranch_execz .LBB75_15
; %bb.10:                               ;   in Loop: Header=BB75_7 Depth=2
	s_and_saveexec_b32 s9, s27
	s_xor_b32 s9, exec_lo, s9
; %bb.11:                               ;   in Loop: Header=BB75_7 Depth=2
	v_mov_b32_e32 v6, v33
	v_mov_b32_e32 v7, v33
	ds_write_b64 v43, v[6:7]
; %bb.12:                               ;   in Loop: Header=BB75_7 Depth=2
	s_andn2_saveexec_b32 s9, s9
; %bb.13:                               ;   in Loop: Header=BB75_7 Depth=2
	ds_write_b64 v43, v[32:33]
; %bb.14:                               ;   in Loop: Header=BB75_7 Depth=2
	s_or_b32 exec_lo, exec_lo, s9
.LBB75_15:                              ;   in Loop: Header=BB75_7 Depth=2
	s_or_b32 exec_lo, exec_lo, s8
	v_cmp_eq_u64_e64 s8, s[22:23], v[22:23]
	v_cmp_gt_i64_e64 s9, v[16:17], v[2:3]
	s_and_b32 s8, s28, s8
	s_or_b32 s6, s6, s9
	s_or_b32 s6, s6, s8
	s_nor_b32 s6, s3, s6
	s_and_saveexec_b32 s9, s6
	s_xor_b32 s6, exec_lo, s9
	s_cbranch_execz .LBB75_17
; %bb.16:                               ;   in Loop: Header=BB75_7 Depth=2
	global_load_dwordx2 v[4:5], v[4:5], off offset:128
	s_waitcnt vmcnt(0)
	ds_write_b64 v43, v[4:5] offset:128
.LBB75_17:                              ;   in Loop: Header=BB75_7 Depth=2
	s_andn2_saveexec_b32 s6, s6
	s_cbranch_execz .LBB75_23
; %bb.18:                               ;   in Loop: Header=BB75_7 Depth=2
	s_xor_b32 s8, s8, -1
	s_and_saveexec_b32 s9, s8
	s_xor_b32 s8, exec_lo, s9
; %bb.19:                               ;   in Loop: Header=BB75_7 Depth=2
	v_mov_b32_e32 v4, v33
	v_mov_b32_e32 v5, v33
	ds_write_b64 v43, v[4:5] offset:128
; %bb.20:                               ;   in Loop: Header=BB75_7 Depth=2
	s_andn2_saveexec_b32 s8, s8
; %bb.21:                               ;   in Loop: Header=BB75_7 Depth=2
	ds_write_b64 v43, v[32:33] offset:128
; %bb.22:                               ;   in Loop: Header=BB75_7 Depth=2
	s_or_b32 exec_lo, exec_lo, s8
.LBB75_23:                              ;   in Loop: Header=BB75_7 Depth=2
	s_or_b32 exec_lo, exec_lo, s6
	v_add_co_u32 v2, s6, v2, 16
	v_add_co_ci_u32_e64 v3, null, 0, v3, s6
	v_cmp_eq_u64_e64 s8, s[22:23], v[26:27]
	v_cmp_le_i64_e64 s6, s[10:11], v[2:3]
	v_cmp_lt_i64_e64 s9, v[2:3], v[12:13]
	s_and_b32 s44, s28, s8
	v_add_co_u32 v2, s8, v40, v28
	v_add_co_ci_u32_e64 v3, null, v41, v29, s8
	s_or_b32 s9, s6, s9
	s_or_b32 s8, s9, s44
	s_nor_b32 s8, s0, s8
	s_and_saveexec_b32 s9, s8
	s_xor_b32 s8, exec_lo, s9
	s_cbranch_execz .LBB75_25
; %bb.24:                               ;   in Loop: Header=BB75_7 Depth=2
	global_load_dwordx2 v[4:5], v[2:3], off
	s_waitcnt vmcnt(0)
	ds_write_b64 v43, v[4:5] offset:4096
.LBB75_25:                              ;   in Loop: Header=BB75_7 Depth=2
	s_andn2_saveexec_b32 s8, s8
	s_cbranch_execz .LBB75_31
; %bb.26:                               ;   in Loop: Header=BB75_7 Depth=2
	s_xor_b32 s9, s44, -1
	s_and_saveexec_b32 s44, s9
	s_xor_b32 s9, exec_lo, s44
; %bb.27:                               ;   in Loop: Header=BB75_7 Depth=2
	v_mov_b32_e32 v4, v33
	v_mov_b32_e32 v5, v33
	ds_write_b64 v43, v[4:5] offset:4096
; %bb.28:                               ;   in Loop: Header=BB75_7 Depth=2
	s_andn2_saveexec_b32 s9, s9
; %bb.29:                               ;   in Loop: Header=BB75_7 Depth=2
	ds_write_b64 v43, v[32:33] offset:4096
; %bb.30:                               ;   in Loop: Header=BB75_7 Depth=2
	s_or_b32 exec_lo, exec_lo, s9
.LBB75_31:                              ;   in Loop: Header=BB75_7 Depth=2
	s_or_b32 exec_lo, exec_lo, s8
	s_or_b32 s5, s6, s5
	s_or_b32 s5, s5, s29
	s_nor_b32 s5, s3, s5
	s_and_saveexec_b32 s6, s5
	s_xor_b32 s5, exec_lo, s6
	s_cbranch_execz .LBB75_33
; %bb.32:                               ;   in Loop: Header=BB75_7 Depth=2
	global_load_dwordx2 v[2:3], v[2:3], off offset:128
	s_waitcnt vmcnt(0)
	ds_write_b64 v43, v[2:3] offset:4224
.LBB75_33:                              ;   in Loop: Header=BB75_7 Depth=2
	s_andn2_saveexec_b32 s5, s5
	s_cbranch_execz .LBB75_39
; %bb.34:                               ;   in Loop: Header=BB75_7 Depth=2
	s_and_saveexec_b32 s6, s27
	s_xor_b32 s6, exec_lo, s6
; %bb.35:                               ;   in Loop: Header=BB75_7 Depth=2
	v_mov_b32_e32 v2, v33
	v_mov_b32_e32 v3, v33
	ds_write_b64 v43, v[2:3] offset:4224
; %bb.36:                               ;   in Loop: Header=BB75_7 Depth=2
	s_andn2_saveexec_b32 s6, s6
; %bb.37:                               ;   in Loop: Header=BB75_7 Depth=2
	ds_write_b64 v43, v[32:33] offset:4224
; %bb.38:                               ;   in Loop: Header=BB75_7 Depth=2
	s_or_b32 exec_lo, exec_lo, s6
.LBB75_39:                              ;   in Loop: Header=BB75_7 Depth=2
	s_or_b32 exec_lo, exec_lo, s5
	v_add_co_u32 v2, s5, v12, s22
	v_add_co_ci_u32_e64 v3, null, s23, v13, s5
	v_cmp_gt_i64_e64 s5, s[10:11], v[2:3]
	s_and_b32 s6, vcc_lo, s5
	s_xor_b32 s6, s6, -1
	s_and_saveexec_b32 s8, s6
	s_xor_b32 s6, exec_lo, s8
; %bb.40:                               ;   in Loop: Header=BB75_7 Depth=2
	v_mov_b32_e32 v4, v33
	v_mov_b32_e32 v5, v33
	ds_write_b64 v0, v[4:5]
; %bb.41:                               ;   in Loop: Header=BB75_7 Depth=2
	s_or_saveexec_b32 s8, s6
	v_add_co_u32 v4, s6, v34, v28
	v_add_co_ci_u32_e64 v5, null, v35, v29, s6
	s_xor_b32 exec_lo, exec_lo, s8
	s_cbranch_execz .LBB75_43
; %bb.42:                               ;   in Loop: Header=BB75_7 Depth=2
	global_load_dwordx2 v[6:7], v[4:5], off offset:-128
	s_waitcnt vmcnt(0)
	ds_write_b64 v0, v[6:7]
.LBB75_43:                              ;   in Loop: Header=BB75_7 Depth=2
	s_or_b32 exec_lo, exec_lo, s8
	v_cmp_gt_i64_e64 s6, s[18:19], v[2:3]
	s_and_b32 s8, vcc_lo, s6
	s_xor_b32 s8, s8, -1
	s_and_saveexec_b32 s9, s8
	s_xor_b32 s8, exec_lo, s9
; %bb.44:                               ;   in Loop: Header=BB75_7 Depth=2
	v_mov_b32_e32 v2, v33
	v_mov_b32_e32 v3, v33
                                        ; implicit-def: $vgpr4_vgpr5
	ds_write_b64 v0, v[2:3] offset:128
; %bb.45:                               ;   in Loop: Header=BB75_7 Depth=2
	s_andn2_saveexec_b32 s8, s8
	s_cbranch_execz .LBB75_47
; %bb.46:                               ;   in Loop: Header=BB75_7 Depth=2
	global_load_dwordx2 v[2:3], v[4:5], off
	s_waitcnt vmcnt(0)
	ds_write_b64 v0, v[2:3] offset:128
.LBB75_47:                              ;   in Loop: Header=BB75_7 Depth=2
	s_or_b32 exec_lo, exec_lo, s8
	s_and_b32 s5, s4, s5
	s_xor_b32 s5, s5, -1
	s_and_saveexec_b32 s8, s5
	s_xor_b32 s5, exec_lo, s8
; %bb.48:                               ;   in Loop: Header=BB75_7 Depth=2
	v_mov_b32_e32 v2, v33
	v_mov_b32_e32 v3, v33
	ds_write_b64 v0, v[2:3] offset:4096
; %bb.49:                               ;   in Loop: Header=BB75_7 Depth=2
	s_or_saveexec_b32 s8, s5
	v_add_co_u32 v2, s5, v36, v28
	v_add_co_ci_u32_e64 v3, null, v37, v29, s5
	s_xor_b32 exec_lo, exec_lo, s8
	s_cbranch_execz .LBB75_51
; %bb.50:                               ;   in Loop: Header=BB75_7 Depth=2
	global_load_dwordx2 v[4:5], v[2:3], off
	s_waitcnt vmcnt(0)
	ds_write_b64 v0, v[4:5] offset:4096
.LBB75_51:                              ;   in Loop: Header=BB75_7 Depth=2
	s_or_b32 exec_lo, exec_lo, s8
	s_and_b32 s5, s4, s6
	s_xor_b32 s5, s5, -1
	s_and_saveexec_b32 s6, s5
	s_xor_b32 s5, exec_lo, s6
; %bb.52:                               ;   in Loop: Header=BB75_7 Depth=2
	v_mov_b32_e32 v2, v33
	v_mov_b32_e32 v3, v33
	ds_write_b64 v0, v[2:3] offset:4224
                                        ; implicit-def: $vgpr2_vgpr3
; %bb.53:                               ;   in Loop: Header=BB75_7 Depth=2
	s_andn2_saveexec_b32 s5, s5
	s_cbranch_execz .LBB75_6
; %bb.54:                               ;   in Loop: Header=BB75_7 Depth=2
	global_load_dwordx2 v[2:3], v[2:3], off offset:128
	s_waitcnt vmcnt(0)
	ds_write_b64 v0, v[2:3] offset:4224
	s_branch .LBB75_6
.LBB75_55:                              ;   in Loop: Header=BB75_4 Depth=1
	v_mov_b32_e32 v55, 0
	v_mov_b32_e32 v56, 0
	;; [unrolled: 1-line block ×8, first 2 shown]
.LBB75_56:                              ;   in Loop: Header=BB75_4 Depth=1
	v_mul_lo_u32 v4, s41, v48
	v_mul_lo_u32 v5, s40, v49
	v_mad_u64_u32 v[2:3], null, s40, v48, 0
	v_cmp_gt_i32_e32 vcc_lo, s30, v48
	v_add3_u32 v3, v3, v5, v4
	v_lshlrev_b64 v[2:3], 3, v[2:3]
	v_add_co_u32 v2, s4, s36, v2
	v_add_co_ci_u32_e64 v3, null, s37, v3, s4
	s_and_b32 s4, s1, vcc_lo
	s_and_saveexec_b32 s5, s4
	s_cbranch_execz .LBB75_58
; %bb.57:                               ;   in Loop: Header=BB75_4 Depth=1
	v_add_co_u32 v4, s4, v2, v28
	v_add_co_ci_u32_e64 v5, null, v3, v29, s4
	v_mul_f32_e32 v8, s33, v56
	v_mul_f32_e32 v9, s31, v56
	global_load_dwordx2 v[6:7], v[4:5], off
	v_fma_f32 v8, v55, s31, -v8
	v_fmac_f32_e32 v9, s33, v55
	s_waitcnt vmcnt(0)
	v_add_f32_e32 v6, v6, v8
	v_add_f32_e32 v7, v9, v7
	global_store_dwordx2 v[4:5], v[6:7], off
.LBB75_58:                              ;   in Loop: Header=BB75_4 Depth=1
	s_or_b32 exec_lo, exec_lo, s5
	s_and_b32 s5, s2, vcc_lo
	s_and_saveexec_b32 s4, s5
	s_cbranch_execz .LBB75_60
; %bb.59:                               ;   in Loop: Header=BB75_4 Depth=1
	v_lshlrev_b64 v[4:5], 3, v[14:15]
	v_mul_f32_e32 v6, s33, v54
	v_mul_f32_e32 v7, s31, v54
	v_fma_f32 v6, v53, s31, -v6
	v_add_co_u32 v2, vcc_lo, v2, v4
	v_add_co_ci_u32_e64 v3, null, v3, v5, vcc_lo
	v_fmac_f32_e32 v7, s33, v53
	global_load_dwordx2 v[4:5], v[2:3], off
	s_waitcnt vmcnt(0)
	v_add_f32_e32 v4, v4, v6
	v_add_f32_e32 v5, v7, v5
	global_store_dwordx2 v[2:3], v[4:5], off
.LBB75_60:                              ;   in Loop: Header=BB75_4 Depth=1
	s_or_b32 exec_lo, exec_lo, s4
	v_add_nc_u32_e32 v4, 16, v48
	v_ashrrev_i32_e32 v5, 31, v4
	v_mul_lo_u32 v6, s41, v4
	v_mad_u64_u32 v[2:3], null, s40, v4, 0
	v_cmp_gt_i32_e32 vcc_lo, s30, v4
	v_mul_lo_u32 v5, s40, v5
	v_add3_u32 v3, v3, v5, v6
	v_lshlrev_b64 v[2:3], 3, v[2:3]
	v_add_co_u32 v2, s4, s36, v2
	v_add_co_ci_u32_e64 v3, null, s37, v3, s4
	s_and_b32 s4, s1, vcc_lo
	s_and_saveexec_b32 s5, s4
	s_cbranch_execz .LBB75_62
; %bb.61:                               ;   in Loop: Header=BB75_4 Depth=1
	v_add_co_u32 v4, s4, v2, v28
	v_add_co_ci_u32_e64 v5, null, v3, v29, s4
	v_mul_f32_e32 v8, s33, v52
	v_mul_f32_e32 v9, s31, v52
	global_load_dwordx2 v[6:7], v[4:5], off
	v_fma_f32 v8, v51, s31, -v8
	v_fmac_f32_e32 v9, s33, v51
	s_waitcnt vmcnt(0)
	v_add_f32_e32 v6, v6, v8
	v_add_f32_e32 v7, v9, v7
	global_store_dwordx2 v[4:5], v[6:7], off
.LBB75_62:                              ;   in Loop: Header=BB75_4 Depth=1
	s_or_b32 exec_lo, exec_lo, s5
	s_and_b32 s5, s2, vcc_lo
	s_and_saveexec_b32 s4, s5
	s_cbranch_execz .LBB75_3
; %bb.63:                               ;   in Loop: Header=BB75_4 Depth=1
	v_lshlrev_b64 v[4:5], 3, v[14:15]
	v_mul_f32_e32 v6, s33, v31
	v_mul_f32_e32 v7, s31, v31
	v_fma_f32 v6, v50, s31, -v6
	v_add_co_u32 v2, vcc_lo, v2, v4
	v_add_co_ci_u32_e64 v3, null, v3, v5, vcc_lo
	v_fmac_f32_e32 v7, s33, v50
	global_load_dwordx2 v[4:5], v[2:3], off
	s_waitcnt vmcnt(0)
	v_add_f32_e32 v4, v4, v6
	v_add_f32_e32 v5, v7, v5
	global_store_dwordx2 v[2:3], v[4:5], off
	s_branch .LBB75_3
.LBB75_64:
	s_endpgm
	.section	.rodata,"a",@progbits
	.p2align	6, 0x0
	.amdhsa_kernel _ZL30rocblas_trmm_outofplace_kernelI19rocblas_complex_numIfELi32ELi2ELb1ELb1ELb0ELb0ES1_KS1_S1_Ev17rocblas_diagonal_iiT6_lPT7_lllS6_lllPT8_llli
		.amdhsa_group_segment_fixed_size 16384
		.amdhsa_private_segment_fixed_size 0
		.amdhsa_kernarg_size 392
		.amdhsa_user_sgpr_count 6
		.amdhsa_user_sgpr_private_segment_buffer 1
		.amdhsa_user_sgpr_dispatch_ptr 0
		.amdhsa_user_sgpr_queue_ptr 0
		.amdhsa_user_sgpr_kernarg_segment_ptr 1
		.amdhsa_user_sgpr_dispatch_id 0
		.amdhsa_user_sgpr_flat_scratch_init 0
		.amdhsa_user_sgpr_private_segment_size 0
		.amdhsa_wavefront_size32 1
		.amdhsa_uses_dynamic_stack 0
		.amdhsa_system_sgpr_private_segment_wavefront_offset 0
		.amdhsa_system_sgpr_workgroup_id_x 1
		.amdhsa_system_sgpr_workgroup_id_y 1
		.amdhsa_system_sgpr_workgroup_id_z 1
		.amdhsa_system_sgpr_workgroup_info 0
		.amdhsa_system_vgpr_workitem_id 1
		.amdhsa_next_free_vgpr 87
		.amdhsa_next_free_sgpr 49
		.amdhsa_reserve_vcc 1
		.amdhsa_reserve_flat_scratch 0
		.amdhsa_float_round_mode_32 0
		.amdhsa_float_round_mode_16_64 0
		.amdhsa_float_denorm_mode_32 3
		.amdhsa_float_denorm_mode_16_64 3
		.amdhsa_dx10_clamp 1
		.amdhsa_ieee_mode 1
		.amdhsa_fp16_overflow 0
		.amdhsa_workgroup_processor_mode 1
		.amdhsa_memory_ordered 1
		.amdhsa_forward_progress 1
		.amdhsa_shared_vgpr_count 0
		.amdhsa_exception_fp_ieee_invalid_op 0
		.amdhsa_exception_fp_denorm_src 0
		.amdhsa_exception_fp_ieee_div_zero 0
		.amdhsa_exception_fp_ieee_overflow 0
		.amdhsa_exception_fp_ieee_underflow 0
		.amdhsa_exception_fp_ieee_inexact 0
		.amdhsa_exception_int_div_zero 0
	.end_amdhsa_kernel
	.section	.text._ZL30rocblas_trmm_outofplace_kernelI19rocblas_complex_numIfELi32ELi2ELb1ELb1ELb0ELb0ES1_KS1_S1_Ev17rocblas_diagonal_iiT6_lPT7_lllS6_lllPT8_llli,"axG",@progbits,_ZL30rocblas_trmm_outofplace_kernelI19rocblas_complex_numIfELi32ELi2ELb1ELb1ELb0ELb0ES1_KS1_S1_Ev17rocblas_diagonal_iiT6_lPT7_lllS6_lllPT8_llli,comdat
.Lfunc_end75:
	.size	_ZL30rocblas_trmm_outofplace_kernelI19rocblas_complex_numIfELi32ELi2ELb1ELb1ELb0ELb0ES1_KS1_S1_Ev17rocblas_diagonal_iiT6_lPT7_lllS6_lllPT8_llli, .Lfunc_end75-_ZL30rocblas_trmm_outofplace_kernelI19rocblas_complex_numIfELi32ELi2ELb1ELb1ELb0ELb0ES1_KS1_S1_Ev17rocblas_diagonal_iiT6_lPT7_lllS6_lllPT8_llli
                                        ; -- End function
	.set _ZL30rocblas_trmm_outofplace_kernelI19rocblas_complex_numIfELi32ELi2ELb1ELb1ELb0ELb0ES1_KS1_S1_Ev17rocblas_diagonal_iiT6_lPT7_lllS6_lllPT8_llli.num_vgpr, 87
	.set _ZL30rocblas_trmm_outofplace_kernelI19rocblas_complex_numIfELi32ELi2ELb1ELb1ELb0ELb0ES1_KS1_S1_Ev17rocblas_diagonal_iiT6_lPT7_lllS6_lllPT8_llli.num_agpr, 0
	.set _ZL30rocblas_trmm_outofplace_kernelI19rocblas_complex_numIfELi32ELi2ELb1ELb1ELb0ELb0ES1_KS1_S1_Ev17rocblas_diagonal_iiT6_lPT7_lllS6_lllPT8_llli.numbered_sgpr, 49
	.set _ZL30rocblas_trmm_outofplace_kernelI19rocblas_complex_numIfELi32ELi2ELb1ELb1ELb0ELb0ES1_KS1_S1_Ev17rocblas_diagonal_iiT6_lPT7_lllS6_lllPT8_llli.num_named_barrier, 0
	.set _ZL30rocblas_trmm_outofplace_kernelI19rocblas_complex_numIfELi32ELi2ELb1ELb1ELb0ELb0ES1_KS1_S1_Ev17rocblas_diagonal_iiT6_lPT7_lllS6_lllPT8_llli.private_seg_size, 0
	.set _ZL30rocblas_trmm_outofplace_kernelI19rocblas_complex_numIfELi32ELi2ELb1ELb1ELb0ELb0ES1_KS1_S1_Ev17rocblas_diagonal_iiT6_lPT7_lllS6_lllPT8_llli.uses_vcc, 1
	.set _ZL30rocblas_trmm_outofplace_kernelI19rocblas_complex_numIfELi32ELi2ELb1ELb1ELb0ELb0ES1_KS1_S1_Ev17rocblas_diagonal_iiT6_lPT7_lllS6_lllPT8_llli.uses_flat_scratch, 0
	.set _ZL30rocblas_trmm_outofplace_kernelI19rocblas_complex_numIfELi32ELi2ELb1ELb1ELb0ELb0ES1_KS1_S1_Ev17rocblas_diagonal_iiT6_lPT7_lllS6_lllPT8_llli.has_dyn_sized_stack, 0
	.set _ZL30rocblas_trmm_outofplace_kernelI19rocblas_complex_numIfELi32ELi2ELb1ELb1ELb0ELb0ES1_KS1_S1_Ev17rocblas_diagonal_iiT6_lPT7_lllS6_lllPT8_llli.has_recursion, 0
	.set _ZL30rocblas_trmm_outofplace_kernelI19rocblas_complex_numIfELi32ELi2ELb1ELb1ELb0ELb0ES1_KS1_S1_Ev17rocblas_diagonal_iiT6_lPT7_lllS6_lllPT8_llli.has_indirect_call, 0
	.section	.AMDGPU.csdata,"",@progbits
; Kernel info:
; codeLenInByte = 6604
; TotalNumSgprs: 51
; NumVgprs: 87
; ScratchSize: 0
; MemoryBound: 1
; FloatMode: 240
; IeeeMode: 1
; LDSByteSize: 16384 bytes/workgroup (compile time only)
; SGPRBlocks: 0
; VGPRBlocks: 10
; NumSGPRsForWavesPerEU: 51
; NumVGPRsForWavesPerEU: 87
; Occupancy: 10
; WaveLimiterHint : 0
; COMPUTE_PGM_RSRC2:SCRATCH_EN: 0
; COMPUTE_PGM_RSRC2:USER_SGPR: 6
; COMPUTE_PGM_RSRC2:TRAP_HANDLER: 0
; COMPUTE_PGM_RSRC2:TGID_X_EN: 1
; COMPUTE_PGM_RSRC2:TGID_Y_EN: 1
; COMPUTE_PGM_RSRC2:TGID_Z_EN: 1
; COMPUTE_PGM_RSRC2:TIDIG_COMP_CNT: 1
	.section	.text._ZL30rocblas_trmm_outofplace_kernelI19rocblas_complex_numIfELi32ELi2ELb1ELb0ELb1ELb0EPKS1_S2_S1_Ev17rocblas_diagonal_iiT6_lPT7_lllS7_lllPT8_llli,"axG",@progbits,_ZL30rocblas_trmm_outofplace_kernelI19rocblas_complex_numIfELi32ELi2ELb1ELb0ELb1ELb0EPKS1_S2_S1_Ev17rocblas_diagonal_iiT6_lPT7_lllS7_lllPT8_llli,comdat
	.globl	_ZL30rocblas_trmm_outofplace_kernelI19rocblas_complex_numIfELi32ELi2ELb1ELb0ELb1ELb0EPKS1_S2_S1_Ev17rocblas_diagonal_iiT6_lPT7_lllS7_lllPT8_llli ; -- Begin function _ZL30rocblas_trmm_outofplace_kernelI19rocblas_complex_numIfELi32ELi2ELb1ELb0ELb1ELb0EPKS1_S2_S1_Ev17rocblas_diagonal_iiT6_lPT7_lllS7_lllPT8_llli
	.p2align	8
	.type	_ZL30rocblas_trmm_outofplace_kernelI19rocblas_complex_numIfELi32ELi2ELb1ELb0ELb1ELb0EPKS1_S2_S1_Ev17rocblas_diagonal_iiT6_lPT7_lllS7_lllPT8_llli,@function
_ZL30rocblas_trmm_outofplace_kernelI19rocblas_complex_numIfELi32ELi2ELb1ELb0ELb1ELb0EPKS1_S2_S1_Ev17rocblas_diagonal_iiT6_lPT7_lllS7_lllPT8_llli: ; @_ZL30rocblas_trmm_outofplace_kernelI19rocblas_complex_numIfELi32ELi2ELb1ELb0ELb1ELb0EPKS1_S2_S1_Ev17rocblas_diagonal_iiT6_lPT7_lllS7_lllPT8_llli
; %bb.0:
	s_load_dwordx16 s[12:27], s[4:5], 0x10
	s_waitcnt lgkmcnt(0)
	s_mul_i32 s0, s15, s8
	s_mul_hi_u32 s1, s14, s8
	s_add_i32 s1, s1, s0
	s_mul_i32 s0, s14, s8
	s_lshl_b64 s[0:1], s[0:1], 3
	s_add_u32 s0, s12, s0
	s_addc_u32 s1, s13, s1
	s_load_dwordx2 s[10:11], s[0:1], 0x0
	s_waitcnt lgkmcnt(0)
	s_or_b32 s0, s10, s11
	s_bitset0_b32 s0, 31
	s_cmp_eq_u32 s0, 0
	s_cbranch_scc1 .LBB76_64
; %bb.1:
	s_load_dwordx4 s[12:15], s[4:5], 0x0
	s_waitcnt lgkmcnt(0)
	s_add_i32 s0, s14, -1
	s_ashr_i32 s1, s0, 31
	s_lshr_b32 s1, s1, 27
	s_add_i32 s0, s0, s1
	s_ashr_i32 s15, s0, 5
	s_cmp_gt_i32 s7, s15
	s_cbranch_scc1 .LBB76_64
; %bb.2:
	s_clause 0x1
	s_load_dwordx4 s[28:31], s[4:5], 0x70
	s_load_dwordx8 s[36:43], s[4:5], 0x50
	s_mul_i32 s1, s23, s8
	s_mul_hi_u32 s2, s22, s8
	s_mul_i32 s0, s22, s8
	s_add_i32 s1, s2, s1
	s_load_dword s33, s[4:5], 0x8c
	s_lshl_b64 s[34:35], s[0:1], 3
	v_lshlrev_b32_e32 v2, 8, v1
	s_add_u32 s0, s16, s34
	s_addc_u32 s1, s17, s35
	s_lshl_b64 s[44:45], s[18:19], 3
	v_lshlrev_b32_e32 v38, 3, v0
	s_add_u32 s3, s0, s44
	s_addc_u32 s4, s1, s45
	v_add_nc_u32_e32 v39, 0x2000, v2
	s_mov_b32 s22, s13
	v_add_nc_u32_e32 v40, v38, v2
	v_lshl_add_u32 v30, s7, 5, v1
	v_mov_b32_e32 v33, 0
	s_waitcnt lgkmcnt(0)
	s_mul_i32 s1, s31, s8
	s_mul_hi_u32 s2, s30, s8
	s_mul_i32 s0, s30, s8
	s_add_i32 s1, s2, s1
	v_mov_b32_e32 v32, 1.0
	s_lshl_b64 s[0:1], s[0:1], 3
	v_add_nc_u32_e32 v45, 0x800, v38
	s_add_u32 s2, s40, s0
	s_addc_u32 s5, s41, s1
	s_lshl_b64 s[0:1], s[42:43], 3
	v_add_nc_u32_e32 v46, 0x1000, v38
	s_add_u32 s30, s2, s0
	s_addc_u32 s31, s5, s1
	s_lshl_b32 s0, s6, 5
	s_mul_hi_u32 s5, s38, s8
	v_add_nc_u32_e32 v10, s0, v0
	v_add_nc_u32_e32 v12, s0, v1
	s_sub_i32 s40, s13, s0
	v_add_nc_u32_e32 v0, v39, v38
	s_cmp_gt_i32 s40, 0
	v_ashrrev_i32_e32 v11, 31, v10
	v_mul_lo_u32 v4, s21, v10
	v_mad_u64_u32 v[2:3], null, s20, v10, 0
	v_ashrrev_i32_e32 v13, 31, v12
	v_mul_lo_u32 v5, s20, v11
	v_add_co_u32 v16, vcc_lo, v10, 16
	v_add_co_ci_u32_e64 v17, null, 0, v11, vcc_lo
	s_cselect_b32 s41, -1, 0
	s_cmpk_eq_i32 s12, 0x84
	v_lshlrev_b64 v[22:23], 3, v[10:11]
	v_add3_u32 v3, v3, v5, v4
	v_lshlrev_b64 v[4:5], 3, v[12:13]
	s_cselect_b32 s42, -1, 0
	s_ashr_i32 s23, s13, 31
	s_ashr_i32 s43, s14, 31
	v_lshlrev_b64 v[2:3], 3, v[2:3]
	s_add_u32 s18, s13, -16
	s_addc_u32 s19, s23, -1
	v_add_nc_u32_e32 v14, 16, v10
	v_cmp_le_i32_e64 s0, s13, v10
	v_cmp_gt_i32_e64 s1, s13, v10
	v_add_co_u32 v2, vcc_lo, s3, v2
	v_add_co_ci_u32_e64 v3, null, s4, v3, vcc_lo
	s_mul_i32 s4, s39, s8
	v_add_co_u32 v41, vcc_lo, v2, v4
	v_add_co_ci_u32_e64 v42, null, v3, v5, vcc_lo
	v_sub_co_u32 v18, vcc_lo, v10, v12
	v_sub_co_ci_u32_e64 v19, null, v11, v13, vcc_lo
	s_add_i32 s5, s5, s4
	s_mul_i32 s4, s38, s8
	s_lshl_b64 s[8:9], s[26:27], 3
	s_lshl_b64 s[4:5], s[4:5], 3
	v_add_co_u32 v20, vcc_lo, v18, 16
	v_add_co_ci_u32_e64 v21, null, 0, v19, vcc_lo
	s_add_u32 s4, s4, s8
	v_add_co_u32 v6, vcc_lo, 0x80, v22
	s_addc_u32 s5, s5, s9
	s_add_u32 s6, s24, s4
	v_add_co_ci_u32_e64 v7, null, 0, v23, vcc_lo
	v_cmp_gt_i32_e64 s2, s13, v14
	s_addc_u32 s8, s25, s5
	s_lshl_b64 s[12:13], s[36:37], 3
	s_lshl_b32 s24, s33, 5
	s_add_u32 s4, s44, s34
	s_addc_u32 s5, s45, s35
	v_mul_lo_u32 v7, s20, v7
	v_mad_u64_u32 v[2:3], null, s20, v6, s[4:5]
	v_mul_lo_u32 v6, s21, v6
	v_add_co_u32 v24, vcc_lo, v18, -16
	v_add_co_ci_u32_e64 v25, null, -1, v19, vcc_lo
	v_add_co_u32 v26, vcc_lo, s6, v22
	v_add_co_ci_u32_e64 v27, null, s8, v23, vcc_lo
	v_add3_u32 v3, v6, v3, v7
	v_add_co_u32 v28, vcc_lo, 0x80, v26
	v_add_co_ci_u32_e64 v29, null, 0, v27, vcc_lo
	v_add_co_u32 v2, vcc_lo, v2, v4
	v_add_co_ci_u32_e64 v3, null, v3, v5, vcc_lo
	v_cmp_le_i64_e64 s3, s[22:23], v[16:17]
	v_add_co_u32 v43, vcc_lo, s16, v2
	v_ashrrev_i32_e32 v15, 31, v14
	v_add_co_ci_u32_e64 v44, null, s17, v3, vcc_lo
	v_add_nc_u32_e32 v47, 0x1800, v38
	s_branch .LBB76_4
.LBB76_3:                               ;   in Loop: Header=BB76_4 Depth=1
	s_or_b32 exec_lo, exec_lo, s4
	v_add_nc_u32_e32 v30, s24, v30
	s_add_i32 s7, s33, s7
	s_cmp_le_i32 s7, s15
	s_cbranch_scc0 .LBB76_64
.LBB76_4:                               ; =>This Loop Header: Depth=1
                                        ;     Child Loop BB76_7 Depth 2
	v_lshl_add_u32 v48, s7, 5, v1
	s_andn2_b32 vcc_lo, exec_lo, s41
	v_ashrrev_i32_e32 v49, 31, v48
	s_cbranch_vccnz .LBB76_55
; %bb.5:                                ;   in Loop: Header=BB76_4 Depth=1
	v_ashrrev_i32_e32 v31, 31, v30
	v_mad_u64_u32 v[34:35], null, s12, v30, v[28:29]
	v_mul_lo_u32 v4, s13, v30
	v_mov_b32_e32 v50, 0
	v_lshlrev_b64 v[2:3], 3, v[30:31]
	v_mul_lo_u32 v7, s12, v31
	v_mov_b32_e32 v31, 0
	v_mov_b32_e32 v51, 0
	;; [unrolled: 1-line block ×4, first 2 shown]
	v_add_co_u32 v5, vcc_lo, 0x80, v2
	v_add_co_ci_u32_e64 v6, null, 0, v3, vcc_lo
	v_sub_co_u32 v2, vcc_lo, s14, v48
	v_mul_lo_u32 v8, s37, v5
	v_mul_lo_u32 v6, s36, v6
	v_mad_u64_u32 v[36:37], null, s36, v5, v[26:27]
	v_sub_co_ci_u32_e64 v3, null, s43, v49, vcc_lo
	v_add3_u32 v35, v4, v35, v7
	v_mov_b32_e32 v53, 0
	v_mov_b32_e32 v56, 0
	v_cmp_lt_i64_e64 s4, 16, v[2:3]
	v_add3_u32 v37, v8, v37, v6
	v_mov_b32_e32 v55, 0
	s_mov_b64 s[16:17], 0
	s_mov_b64 s[20:21], 0
	v_cmp_lt_i64_e32 vcc_lo, 0, v[2:3]
	s_branch .LBB76_7
.LBB76_6:                               ;   in Loop: Header=BB76_7 Depth=2
	s_or_b32 exec_lo, exec_lo, s5
	s_waitcnt lgkmcnt(0)
	s_barrier
	buffer_gl0_inv
	ds_read_b128 v[57:60], v39
	ds_read2_b64 v[61:64], v38 offset1:16
	ds_read_b128 v[65:68], v39 offset:4096
	ds_read_b128 v[69:72], v39 offset:16
	;; [unrolled: 1-line block ×4, first 2 shown]
	ds_read2_b64 v[73:76], v38 offset0:32 offset1:48
	ds_read_b128 v[77:80], v39 offset:4112
	s_add_u32 s20, s20, 32
	s_addc_u32 s21, s21, 0
	s_add_u32 s16, s16, 0x100
	s_addc_u32 s17, s17, 0
	s_cmp_ge_i32 s20, s40
	s_waitcnt lgkmcnt(6)
	v_mul_f32_e32 v81, v58, v62
	v_mul_f32_e32 v82, v57, v62
	;; [unrolled: 1-line block ×4, first 2 shown]
	s_waitcnt lgkmcnt(5)
	v_mul_f32_e32 v85, v66, v62
	v_mul_f32_e32 v62, v65, v62
	v_mul_f32_e32 v86, v66, v64
	v_fma_f32 v81, v57, v61, -v81
	v_fmac_f32_e32 v82, v58, v61
	v_fma_f32 v57, v57, v63, -v83
	v_fmac_f32_e32 v84, v58, v63
	v_fma_f32 v58, v65, v61, -v85
	v_fmac_f32_e32 v62, v66, v61
	v_fma_f32 v61, v65, v63, -v86
	v_mul_f32_e32 v64, v65, v64
	v_add_f32_e32 v57, v53, v57
	v_add_f32_e32 v58, v52, v58
	;; [unrolled: 1-line block ×3, first 2 shown]
	s_waitcnt lgkmcnt(1)
	v_mul_f32_e32 v65, v60, v74
	v_add_f32_e32 v61, v50, v61
	ds_read2_b64 v[50:53], v38 offset0:64 offset1:80
	v_add_f32_e32 v55, v55, v81
	v_fmac_f32_e32 v64, v66, v63
	v_mul_f32_e32 v63, v59, v74
	v_fma_f32 v65, v59, v73, -v65
	v_mul_f32_e32 v66, v60, v76
	v_add_f32_e32 v56, v56, v82
	v_add_f32_e32 v31, v31, v64
	v_fmac_f32_e32 v63, v60, v73
	v_mul_f32_e32 v64, v59, v76
	v_add_f32_e32 v65, v55, v65
	v_fma_f32 v55, v59, v75, -v66
	v_mul_f32_e32 v59, v68, v74
	v_add_f32_e32 v54, v54, v84
	v_add_f32_e32 v63, v56, v63
	v_fmac_f32_e32 v64, v60, v75
	v_mul_f32_e32 v56, v67, v74
	v_add_f32_e32 v60, v57, v55
	v_fma_f32 v55, v67, v73, -v59
	v_mul_f32_e32 v57, v68, v76
	v_add_f32_e32 v59, v54, v64
	v_fmac_f32_e32 v56, v68, v73
	v_mul_f32_e32 v64, v67, v76
	v_add_f32_e32 v58, v58, v55
	v_fma_f32 v54, v67, v75, -v57
	s_waitcnt lgkmcnt(0)
	v_mul_f32_e32 v55, v70, v51
	v_add_f32_e32 v62, v62, v56
	v_fmac_f32_e32 v64, v68, v75
	v_mul_f32_e32 v66, v69, v51
	v_add_f32_e32 v61, v61, v54
	v_fma_f32 v67, v69, v50, -v55
	v_mul_f32_e32 v68, v70, v53
	ds_read2_b64 v[54:57], v38 offset0:96 offset1:112
	v_fmac_f32_e32 v66, v70, v50
	v_add_f32_e32 v31, v31, v64
	v_add_f32_e32 v64, v65, v67
	v_fma_f32 v67, v69, v52, -v68
	v_mul_f32_e32 v65, v69, v53
	v_add_f32_e32 v63, v63, v66
	v_mul_f32_e32 v66, v78, v51
	v_mul_f32_e32 v51, v77, v51
	v_add_f32_e32 v60, v60, v67
	v_mul_f32_e32 v67, v78, v53
	v_fmac_f32_e32 v65, v70, v52
	v_fma_f32 v66, v77, v50, -v66
	v_fmac_f32_e32 v51, v78, v50
	v_mul_f32_e32 v68, v77, v53
	v_fma_f32 v50, v77, v52, -v67
	v_add_f32_e32 v59, v59, v65
	v_add_f32_e32 v65, v58, v66
	;; [unrolled: 1-line block ×3, first 2 shown]
	v_fmac_f32_e32 v68, v78, v52
	s_waitcnt lgkmcnt(0)
	v_mul_f32_e32 v58, v72, v55
	v_add_f32_e32 v66, v61, v50
	ds_read2_b64 v[50:53], v38 offset0:128 offset1:144
	v_mul_f32_e32 v61, v71, v55
	v_mul_f32_e32 v67, v72, v57
	v_fma_f32 v58, v71, v54, -v58
	v_add_f32_e32 v31, v31, v68
	v_mul_f32_e32 v68, v71, v57
	v_fmac_f32_e32 v61, v72, v54
	v_fma_f32 v67, v71, v56, -v67
	v_add_f32_e32 v64, v64, v58
	v_mul_f32_e32 v58, v80, v55
	v_fmac_f32_e32 v68, v72, v56
	v_mul_f32_e32 v55, v79, v55
	v_mul_f32_e32 v70, v80, v57
	v_add_f32_e32 v63, v63, v61
	v_fma_f32 v69, v79, v54, -v58
	v_add_f32_e32 v67, v60, v67
	v_add_f32_e32 v68, v59, v68
	ds_read_b128 v[58:61], v39 offset:4128
	v_fmac_f32_e32 v55, v80, v54
	v_add_f32_e32 v69, v65, v69
	v_mul_f32_e32 v65, v79, v57
	v_fma_f32 v54, v79, v56, -v70
	s_waitcnt lgkmcnt(1)
	v_mul_f32_e32 v57, v7, v51
	v_add_f32_e32 v70, v62, v55
	v_mul_f32_e32 v62, v6, v51
	v_fmac_f32_e32 v65, v80, v56
	v_add_f32_e32 v66, v66, v54
	v_fma_f32 v71, v6, v50, -v57
	ds_read2_b64 v[54:57], v38 offset0:160 offset1:176
	v_fmac_f32_e32 v62, v7, v50
	v_mul_f32_e32 v72, v7, v53
	v_mul_f32_e32 v73, v6, v53
	v_add_f32_e32 v31, v31, v65
	v_add_f32_e32 v71, v64, v71
	;; [unrolled: 1-line block ×3, first 2 shown]
	v_fma_f32 v6, v6, v52, -v72
	ds_read_b128 v[62:65], v39 offset:4144
	s_waitcnt lgkmcnt(2)
	v_mul_f32_e32 v72, v59, v51
	v_fmac_f32_e32 v73, v7, v52
	v_mul_f32_e32 v7, v58, v51
	v_mul_f32_e32 v51, v59, v53
	v_add_f32_e32 v6, v67, v6
	v_fma_f32 v67, v58, v50, -v72
	v_mul_f32_e32 v72, v58, v53
	v_fmac_f32_e32 v7, v59, v50
	v_fma_f32 v50, v58, v52, -v51
	v_add_f32_e32 v68, v68, v73
	v_add_f32_e32 v58, v69, v67
	s_waitcnt lgkmcnt(1)
	v_mul_f32_e32 v51, v9, v55
	v_fmac_f32_e32 v72, v59, v52
	v_add_f32_e32 v59, v66, v50
	v_mul_f32_e32 v69, v9, v57
	v_add_f32_e32 v7, v70, v7
	v_fma_f32 v67, v8, v54, -v51
	ds_read2_b64 v[50:53], v38 offset0:192 offset1:208
	v_mul_f32_e32 v66, v8, v55
	v_mul_f32_e32 v70, v8, v57
	v_fma_f32 v8, v8, v56, -v69
	v_mul_f32_e32 v69, v61, v55
	v_mul_f32_e32 v55, v60, v55
	v_add_f32_e32 v67, v71, v67
	v_fmac_f32_e32 v66, v9, v54
	v_add_f32_e32 v71, v6, v8
	v_fma_f32 v6, v60, v54, -v69
	v_fmac_f32_e32 v55, v61, v54
	v_mul_f32_e32 v8, v61, v57
	v_fmac_f32_e32 v70, v9, v56
	v_mul_f32_e32 v57, v60, v57
	v_add_f32_e32 v58, v58, v6
	v_add_f32_e32 v55, v7, v55
	v_fma_f32 v60, v60, v56, -v8
	ds_read2_b64 v[6:9], v38 offset0:224 offset1:240
	v_add_f32_e32 v54, v68, v70
	v_fmac_f32_e32 v57, v61, v56
	s_waitcnt lgkmcnt(1)
	v_mul_f32_e32 v68, v3, v51
	v_mul_f32_e32 v56, v2, v51
	v_add_f32_e32 v66, v74, v66
	v_add_f32_e32 v59, v59, v60
	v_mul_f32_e32 v61, v3, v53
	v_fma_f32 v60, v2, v50, -v68
	v_fmac_f32_e32 v56, v3, v50
	v_mul_f32_e32 v68, v2, v53
	v_add_f32_e32 v31, v31, v72
	v_fma_f32 v2, v2, v52, -v61
	v_add_f32_e32 v60, v67, v60
	v_add_f32_e32 v61, v66, v56
	v_fmac_f32_e32 v68, v3, v52
	v_mul_f32_e32 v3, v63, v51
	v_mul_f32_e32 v51, v62, v51
	;; [unrolled: 1-line block ×4, first 2 shown]
	s_waitcnt lgkmcnt(0)
	v_mul_f32_e32 v53, v5, v7
	v_fma_f32 v3, v62, v50, -v3
	v_fmac_f32_e32 v51, v63, v50
	v_fma_f32 v50, v62, v52, -v56
	v_add_f32_e32 v31, v31, v57
	v_add_f32_e32 v66, v54, v68
	;; [unrolled: 1-line block ×4, first 2 shown]
	v_fmac_f32_e32 v67, v63, v52
	v_add_f32_e32 v63, v59, v50
	v_fma_f32 v3, v4, v6, -v53
	ds_read_b128 v[50:53], v39 offset:64
	ds_read2_b64 v[54:57], v45 offset1:16
	v_mul_f32_e32 v59, v4, v7
	v_mul_f32_e32 v68, v5, v9
	v_add_f32_e32 v2, v71, v2
	v_add_f32_e32 v31, v31, v67
	v_mul_f32_e32 v67, v4, v9
	v_fmac_f32_e32 v59, v5, v6
	v_add_f32_e32 v69, v60, v3
	v_fma_f32 v3, v4, v8, -v68
	v_mul_f32_e32 v4, v65, v7
	v_mul_f32_e32 v7, v64, v7
	;; [unrolled: 1-line block ×3, first 2 shown]
	v_add_f32_e32 v68, v61, v59
	v_fmac_f32_e32 v67, v5, v8
	v_add_f32_e32 v70, v2, v3
	v_fma_f32 v59, v64, v6, -v4
	v_fmac_f32_e32 v7, v65, v6
	ds_read_b128 v[2:5], v39 offset:4160
	v_fma_f32 v6, v64, v8, -v60
	v_mul_f32_e32 v64, v64, v9
	s_waitcnt lgkmcnt(1)
	v_mul_f32_e32 v9, v51, v55
	v_add_f32_e32 v71, v62, v7
	v_mul_f32_e32 v62, v50, v55
	v_add_f32_e32 v72, v63, v6
	v_fmac_f32_e32 v64, v65, v8
	v_fma_f32 v63, v50, v54, -v9
	ds_read2_b64 v[6:9], v45 offset0:32 offset1:48
	v_mul_f32_e32 v65, v51, v57
	v_mul_f32_e32 v73, v50, v57
	v_add_f32_e32 v66, v66, v67
	v_add_f32_e32 v67, v58, v59
	ds_read_b128 v[58:61], v39 offset:80
	v_fmac_f32_e32 v62, v51, v54
	v_fma_f32 v50, v50, v56, -v65
	v_fmac_f32_e32 v73, v51, v56
	v_add_f32_e32 v69, v69, v63
	v_add_f32_e32 v31, v31, v64
	s_waitcnt lgkmcnt(2)
	v_mul_f32_e32 v74, v3, v55
	v_mul_f32_e32 v51, v2, v55
	;; [unrolled: 1-line block ×3, first 2 shown]
	v_add_f32_e32 v50, v70, v50
	v_add_f32_e32 v66, v66, v73
	v_fma_f32 v70, v2, v54, -v74
	v_fmac_f32_e32 v51, v3, v54
	v_mul_f32_e32 v73, v2, v57
	v_fma_f32 v2, v2, v56, -v55
	s_waitcnt lgkmcnt(1)
	v_mul_f32_e32 v54, v53, v7
	v_add_f32_e32 v67, v67, v70
	v_add_f32_e32 v51, v71, v51
	v_fmac_f32_e32 v73, v3, v56
	v_add_f32_e32 v70, v72, v2
	v_mul_f32_e32 v2, v52, v7
	v_fma_f32 v3, v52, v6, -v54
	ds_read2_b64 v[54:57], v45 offset0:64 offset1:80
	v_mul_f32_e32 v71, v53, v9
	v_add_f32_e32 v68, v68, v62
	v_fmac_f32_e32 v2, v53, v6
	v_add_f32_e32 v69, v69, v3
	v_mul_f32_e32 v3, v52, v9
	v_fma_f32 v52, v52, v8, -v71
	v_mul_f32_e32 v71, v5, v7
	v_mul_f32_e32 v7, v4, v7
	ds_read_b128 v[62:65], v39 offset:4176
	v_add_f32_e32 v68, v68, v2
	v_fmac_f32_e32 v3, v53, v8
	v_fma_f32 v2, v4, v6, -v71
	v_fmac_f32_e32 v7, v5, v6
	v_mul_f32_e32 v6, v5, v9
	v_mul_f32_e32 v9, v4, v9
	v_add_f32_e32 v50, v50, v52
	v_add_f32_e32 v52, v66, v3
	;; [unrolled: 1-line block ×3, first 2 shown]
	v_fma_f32 v6, v4, v8, -v6
	v_fmac_f32_e32 v9, v5, v8
	ds_read2_b64 v[2:5], v45 offset0:96 offset1:112
	v_add_f32_e32 v31, v31, v73
	v_add_f32_e32 v7, v51, v7
	s_waitcnt lgkmcnt(2)
	v_mul_f32_e32 v51, v59, v55
	v_mul_f32_e32 v8, v58, v55
	;; [unrolled: 1-line block ×3, first 2 shown]
	v_add_f32_e32 v31, v31, v9
	v_mul_f32_e32 v67, v58, v57
	v_fma_f32 v51, v58, v54, -v51
	v_fmac_f32_e32 v8, v59, v54
	v_fma_f32 v9, v58, v56, -v66
	v_add_f32_e32 v6, v70, v6
	v_fmac_f32_e32 v67, v59, v56
	v_add_f32_e32 v69, v69, v51
	v_add_f32_e32 v58, v68, v8
	s_waitcnt lgkmcnt(1)
	v_mul_f32_e32 v8, v63, v55
	v_mul_f32_e32 v51, v62, v55
	v_add_f32_e32 v55, v50, v9
	v_mul_f32_e32 v9, v63, v57
	v_add_f32_e32 v59, v52, v67
	v_fma_f32 v8, v62, v54, -v8
	v_fmac_f32_e32 v51, v63, v54
	v_mul_f32_e32 v54, v62, v57
	v_fma_f32 v9, v62, v56, -v9
	s_waitcnt lgkmcnt(0)
	v_mul_f32_e32 v50, v61, v3
	v_add_f32_e32 v62, v53, v8
	v_add_f32_e32 v66, v7, v51
	v_fmac_f32_e32 v54, v63, v56
	v_add_f32_e32 v63, v6, v9
	v_fma_f32 v56, v60, v2, -v50
	ds_read_b128 v[6:9], v39 offset:96
	ds_read2_b64 v[50:53], v45 offset0:128 offset1:144
	v_mul_f32_e32 v57, v60, v3
	v_mul_f32_e32 v67, v61, v5
	v_add_f32_e32 v31, v31, v54
	v_mul_f32_e32 v54, v60, v5
	v_add_f32_e32 v68, v69, v56
	v_fmac_f32_e32 v57, v61, v2
	v_fma_f32 v56, v60, v4, -v67
	v_mul_f32_e32 v60, v65, v3
	v_fmac_f32_e32 v54, v61, v4
	v_mul_f32_e32 v3, v64, v3
	v_add_f32_e32 v67, v58, v57
	v_add_f32_e32 v69, v55, v56
	v_fma_f32 v58, v64, v2, -v60
	v_mul_f32_e32 v60, v65, v5
	v_add_f32_e32 v70, v59, v54
	v_fmac_f32_e32 v3, v65, v2
	ds_read_b128 v[54:57], v39 offset:4192
	v_add_f32_e32 v71, v62, v58
	v_fma_f32 v2, v64, v4, -v60
	v_mul_f32_e32 v62, v64, v5
	s_waitcnt lgkmcnt(1)
	v_mul_f32_e32 v5, v7, v51
	v_add_f32_e32 v66, v66, v3
	v_mul_f32_e32 v64, v6, v51
	v_add_f32_e32 v72, v63, v2
	v_fmac_f32_e32 v62, v65, v4
	v_fma_f32 v63, v6, v50, -v5
	ds_read2_b64 v[2:5], v45 offset0:160 offset1:176
	v_mul_f32_e32 v65, v7, v53
	v_mul_f32_e32 v73, v6, v53
	ds_read_b128 v[58:61], v39 offset:112
	v_fmac_f32_e32 v64, v7, v50
	v_add_f32_e32 v68, v68, v63
	v_fma_f32 v6, v6, v52, -v65
	v_fmac_f32_e32 v73, v7, v52
	v_add_f32_e32 v31, v31, v62
	v_add_f32_e32 v67, v67, v64
	s_waitcnt lgkmcnt(2)
	v_mul_f32_e32 v74, v55, v51
	v_mul_f32_e32 v7, v54, v51
	;; [unrolled: 1-line block ×3, first 2 shown]
	v_add_f32_e32 v6, v69, v6
	v_add_f32_e32 v70, v70, v73
	v_fma_f32 v69, v54, v50, -v74
	v_fmac_f32_e32 v7, v55, v50
	v_mul_f32_e32 v73, v54, v53
	v_fma_f32 v50, v54, v52, -v51
	ds_read_b128 v[62:65], v39 offset:4208
	s_waitcnt lgkmcnt(2)
	v_mul_f32_e32 v51, v9, v3
	v_add_f32_e32 v54, v71, v69
	v_fmac_f32_e32 v73, v55, v52
	v_add_f32_e32 v55, v72, v50
	v_add_f32_e32 v7, v66, v7
	v_fma_f32 v69, v8, v2, -v51
	ds_read2_b64 v[50:53], v45 offset0:192 offset1:208
	v_mul_f32_e32 v66, v8, v3
	v_mul_f32_e32 v71, v9, v5
	v_add_f32_e32 v31, v31, v73
	v_add_f32_e32 v68, v68, v69
	v_mul_f32_e32 v69, v8, v5
	v_fmac_f32_e32 v66, v9, v2
	v_fma_f32 v8, v8, v4, -v71
	v_mul_f32_e32 v71, v57, v3
	v_mul_f32_e32 v3, v56, v3
	v_fmac_f32_e32 v69, v9, v4
	v_add_f32_e32 v66, v67, v66
	v_add_f32_e32 v6, v6, v8
	v_fma_f32 v8, v56, v2, -v71
	v_fmac_f32_e32 v3, v57, v2
	v_mul_f32_e32 v2, v57, v5
	v_mul_f32_e32 v67, v56, v5
	v_add_f32_e32 v9, v70, v69
	v_add_f32_e32 v8, v54, v8
	;; [unrolled: 1-line block ×3, first 2 shown]
	v_fma_f32 v54, v56, v4, -v2
	s_waitcnt lgkmcnt(0)
	v_mul_f32_e32 v56, v59, v51
	v_fmac_f32_e32 v67, v57, v4
	ds_read2_b64 v[2:5], v45 offset0:224 offset1:240
	v_mul_f32_e32 v69, v58, v53
	v_add_f32_e32 v54, v55, v54
	v_fma_f32 v55, v58, v50, -v56
	v_mul_f32_e32 v56, v59, v53
	v_mul_f32_e32 v57, v58, v51
	v_fmac_f32_e32 v69, v59, v52
	v_add_f32_e32 v31, v31, v67
	v_add_f32_e32 v55, v68, v55
	v_fma_f32 v56, v58, v52, -v56
	v_mul_f32_e32 v58, v63, v51
	v_mul_f32_e32 v51, v62, v51
	v_fmac_f32_e32 v57, v59, v50
	v_add_f32_e32 v59, v9, v69
	v_add_f32_e32 v56, v6, v56
	v_mul_f32_e32 v6, v63, v53
	v_fma_f32 v9, v62, v50, -v58
	v_fmac_f32_e32 v51, v63, v50
	v_mul_f32_e32 v58, v62, v53
	v_add_f32_e32 v57, v66, v57
	v_fma_f32 v6, v62, v52, -v6
	s_waitcnt lgkmcnt(0)
	v_mul_f32_e32 v50, v61, v3
	v_add_f32_e32 v62, v8, v9
	v_add_f32_e32 v66, v7, v51
	v_fmac_f32_e32 v58, v63, v52
	v_add_f32_e32 v63, v54, v6
	v_fma_f32 v54, v60, v2, -v50
	ds_read_b128 v[6:9], v39 offset:128
	ds_read2_b64 v[50:53], v46 offset1:16
	v_mul_f32_e32 v67, v60, v3
	v_mul_f32_e32 v68, v61, v5
	v_add_f32_e32 v31, v31, v58
	v_mul_f32_e32 v58, v60, v5
	v_add_f32_e32 v69, v55, v54
	v_mul_f32_e32 v55, v65, v3
	v_fmac_f32_e32 v67, v61, v2
	v_fma_f32 v54, v60, v4, -v68
	v_fmac_f32_e32 v58, v61, v4
	v_mul_f32_e32 v3, v64, v3
	v_fma_f32 v60, v64, v2, -v55
	v_mul_f32_e32 v61, v65, v5
	v_add_f32_e32 v67, v57, v67
	v_add_f32_e32 v68, v56, v54
	v_fmac_f32_e32 v3, v65, v2
	ds_read_b128 v[54:57], v39 offset:4224
	v_add_f32_e32 v71, v62, v60
	v_fma_f32 v2, v64, v4, -v61
	v_mul_f32_e32 v62, v64, v5
	s_waitcnt lgkmcnt(1)
	v_mul_f32_e32 v5, v7, v51
	v_add_f32_e32 v66, v66, v3
	v_mul_f32_e32 v64, v6, v51
	v_add_f32_e32 v72, v63, v2
	v_fmac_f32_e32 v62, v65, v4
	v_fma_f32 v63, v6, v50, -v5
	ds_read2_b64 v[2:5], v46 offset0:32 offset1:48
	v_mul_f32_e32 v65, v7, v53
	v_mul_f32_e32 v73, v6, v53
	v_add_f32_e32 v70, v59, v58
	ds_read_b128 v[58:61], v39 offset:144
	v_fmac_f32_e32 v64, v7, v50
	v_fma_f32 v6, v6, v52, -v65
	v_fmac_f32_e32 v73, v7, v52
	v_add_f32_e32 v69, v69, v63
	v_add_f32_e32 v31, v31, v62
	s_waitcnt lgkmcnt(2)
	v_mul_f32_e32 v74, v55, v51
	v_mul_f32_e32 v7, v54, v51
	;; [unrolled: 1-line block ×3, first 2 shown]
	v_add_f32_e32 v6, v68, v6
	v_add_f32_e32 v70, v70, v73
	v_fma_f32 v68, v54, v50, -v74
	v_fmac_f32_e32 v7, v55, v50
	v_mul_f32_e32 v73, v54, v53
	v_fma_f32 v50, v54, v52, -v51
	v_add_f32_e32 v67, v67, v64
	s_waitcnt lgkmcnt(1)
	v_mul_f32_e32 v51, v9, v3
	v_add_f32_e32 v54, v71, v68
	v_fmac_f32_e32 v73, v55, v52
	v_add_f32_e32 v55, v72, v50
	v_add_f32_e32 v7, v66, v7
	v_fma_f32 v68, v8, v2, -v51
	ds_read2_b64 v[50:53], v46 offset0:64 offset1:80
	v_mul_f32_e32 v66, v8, v3
	v_mul_f32_e32 v71, v9, v5
	ds_read_b128 v[62:65], v39 offset:4240
	v_add_f32_e32 v68, v69, v68
	v_mul_f32_e32 v69, v8, v5
	v_fmac_f32_e32 v66, v9, v2
	v_fma_f32 v8, v8, v4, -v71
	v_mul_f32_e32 v71, v57, v3
	v_mul_f32_e32 v3, v56, v3
	v_fmac_f32_e32 v69, v9, v4
	v_add_f32_e32 v66, v67, v66
	v_add_f32_e32 v6, v6, v8
	v_fma_f32 v8, v56, v2, -v71
	v_fmac_f32_e32 v3, v57, v2
	v_mul_f32_e32 v2, v57, v5
	v_mul_f32_e32 v67, v56, v5
	v_add_f32_e32 v9, v70, v69
	v_add_f32_e32 v8, v54, v8
	;; [unrolled: 1-line block ×3, first 2 shown]
	v_fma_f32 v54, v56, v4, -v2
	s_waitcnt lgkmcnt(1)
	v_mul_f32_e32 v56, v59, v51
	v_fmac_f32_e32 v67, v57, v4
	ds_read2_b64 v[2:5], v46 offset0:96 offset1:112
	v_mul_f32_e32 v69, v58, v53
	v_add_f32_e32 v54, v55, v54
	v_fma_f32 v55, v58, v50, -v56
	v_mul_f32_e32 v56, v59, v53
	v_mul_f32_e32 v57, v58, v51
	v_fmac_f32_e32 v69, v59, v52
	v_add_f32_e32 v31, v31, v73
	v_add_f32_e32 v55, v68, v55
	v_fma_f32 v56, v58, v52, -v56
	s_waitcnt lgkmcnt(1)
	v_mul_f32_e32 v58, v63, v51
	v_mul_f32_e32 v51, v62, v51
	v_fmac_f32_e32 v57, v59, v50
	v_add_f32_e32 v59, v9, v69
	v_add_f32_e32 v56, v6, v56
	v_mul_f32_e32 v6, v63, v53
	v_fma_f32 v9, v62, v50, -v58
	v_fmac_f32_e32 v51, v63, v50
	v_mul_f32_e32 v58, v62, v53
	v_add_f32_e32 v57, v66, v57
	v_fma_f32 v6, v62, v52, -v6
	s_waitcnt lgkmcnt(0)
	v_mul_f32_e32 v50, v61, v3
	v_add_f32_e32 v62, v8, v9
	v_add_f32_e32 v66, v7, v51
	v_fmac_f32_e32 v58, v63, v52
	v_add_f32_e32 v63, v54, v6
	v_fma_f32 v54, v60, v2, -v50
	ds_read_b128 v[6:9], v39 offset:160
	ds_read2_b64 v[50:53], v46 offset0:128 offset1:144
	v_add_f32_e32 v31, v31, v67
	v_mul_f32_e32 v67, v60, v3
	v_mul_f32_e32 v68, v61, v5
	v_add_f32_e32 v69, v55, v54
	v_mul_f32_e32 v55, v65, v3
	v_add_f32_e32 v31, v31, v58
	v_mul_f32_e32 v58, v60, v5
	v_fmac_f32_e32 v67, v61, v2
	v_fma_f32 v54, v60, v4, -v68
	v_mul_f32_e32 v3, v64, v3
	v_fma_f32 v60, v64, v2, -v55
	v_fmac_f32_e32 v58, v61, v4
	v_mul_f32_e32 v61, v65, v5
	v_add_f32_e32 v67, v57, v67
	v_add_f32_e32 v68, v56, v54
	v_fmac_f32_e32 v3, v65, v2
	ds_read_b128 v[54:57], v39 offset:4256
	v_add_f32_e32 v71, v62, v60
	v_fma_f32 v2, v64, v4, -v61
	v_mul_f32_e32 v62, v64, v5
	s_waitcnt lgkmcnt(1)
	v_mul_f32_e32 v5, v7, v51
	v_add_f32_e32 v66, v66, v3
	v_mul_f32_e32 v64, v6, v51
	v_add_f32_e32 v72, v63, v2
	v_fmac_f32_e32 v62, v65, v4
	v_fma_f32 v63, v6, v50, -v5
	ds_read2_b64 v[2:5], v46 offset0:160 offset1:176
	v_mul_f32_e32 v65, v7, v53
	v_mul_f32_e32 v73, v6, v53
	v_add_f32_e32 v70, v59, v58
	ds_read_b128 v[58:61], v39 offset:176
	v_fmac_f32_e32 v64, v7, v50
	v_fma_f32 v6, v6, v52, -v65
	v_fmac_f32_e32 v73, v7, v52
	v_add_f32_e32 v69, v69, v63
	v_add_f32_e32 v31, v31, v62
	s_waitcnt lgkmcnt(2)
	v_mul_f32_e32 v74, v55, v51
	v_mul_f32_e32 v7, v54, v51
	;; [unrolled: 1-line block ×3, first 2 shown]
	v_add_f32_e32 v6, v68, v6
	v_add_f32_e32 v70, v70, v73
	v_fma_f32 v68, v54, v50, -v74
	v_fmac_f32_e32 v7, v55, v50
	v_mul_f32_e32 v73, v54, v53
	v_fma_f32 v50, v54, v52, -v51
	v_add_f32_e32 v67, v67, v64
	s_waitcnt lgkmcnt(1)
	v_mul_f32_e32 v51, v9, v3
	v_add_f32_e32 v54, v71, v68
	v_fmac_f32_e32 v73, v55, v52
	v_add_f32_e32 v55, v72, v50
	v_add_f32_e32 v7, v66, v7
	v_fma_f32 v68, v8, v2, -v51
	ds_read2_b64 v[50:53], v46 offset0:192 offset1:208
	v_mul_f32_e32 v66, v8, v3
	v_mul_f32_e32 v71, v9, v5
	ds_read_b128 v[62:65], v39 offset:4272
	v_add_f32_e32 v68, v69, v68
	v_mul_f32_e32 v69, v8, v5
	v_fmac_f32_e32 v66, v9, v2
	v_fma_f32 v8, v8, v4, -v71
	v_mul_f32_e32 v71, v57, v3
	v_mul_f32_e32 v3, v56, v3
	v_fmac_f32_e32 v69, v9, v4
	v_add_f32_e32 v66, v67, v66
	v_add_f32_e32 v6, v6, v8
	v_fma_f32 v8, v56, v2, -v71
	v_fmac_f32_e32 v3, v57, v2
	v_mul_f32_e32 v2, v57, v5
	v_mul_f32_e32 v67, v56, v5
	v_add_f32_e32 v9, v70, v69
	v_add_f32_e32 v8, v54, v8
	;; [unrolled: 1-line block ×3, first 2 shown]
	v_fma_f32 v54, v56, v4, -v2
	s_waitcnt lgkmcnt(1)
	v_mul_f32_e32 v56, v59, v51
	v_fmac_f32_e32 v67, v57, v4
	ds_read2_b64 v[2:5], v46 offset0:224 offset1:240
	v_mul_f32_e32 v69, v58, v53
	v_add_f32_e32 v54, v55, v54
	v_fma_f32 v55, v58, v50, -v56
	v_mul_f32_e32 v56, v59, v53
	v_mul_f32_e32 v57, v58, v51
	v_fmac_f32_e32 v69, v59, v52
	v_add_f32_e32 v31, v31, v73
	v_add_f32_e32 v55, v68, v55
	v_fma_f32 v56, v58, v52, -v56
	s_waitcnt lgkmcnt(1)
	v_mul_f32_e32 v58, v63, v51
	v_mul_f32_e32 v51, v62, v51
	v_fmac_f32_e32 v57, v59, v50
	v_add_f32_e32 v59, v9, v69
	v_add_f32_e32 v56, v6, v56
	v_mul_f32_e32 v6, v63, v53
	v_fma_f32 v9, v62, v50, -v58
	v_fmac_f32_e32 v51, v63, v50
	v_mul_f32_e32 v58, v62, v53
	v_add_f32_e32 v57, v66, v57
	v_fma_f32 v6, v62, v52, -v6
	s_waitcnt lgkmcnt(0)
	v_mul_f32_e32 v50, v61, v3
	v_add_f32_e32 v62, v8, v9
	v_add_f32_e32 v66, v7, v51
	v_fmac_f32_e32 v58, v63, v52
	v_add_f32_e32 v63, v54, v6
	v_fma_f32 v54, v60, v2, -v50
	ds_read_b128 v[6:9], v39 offset:192
	ds_read2_b64 v[50:53], v47 offset1:16
	v_add_f32_e32 v31, v31, v67
	v_mul_f32_e32 v67, v60, v3
	v_mul_f32_e32 v68, v61, v5
	v_add_f32_e32 v69, v55, v54
	v_mul_f32_e32 v55, v65, v3
	v_add_f32_e32 v31, v31, v58
	v_mul_f32_e32 v58, v60, v5
	v_fmac_f32_e32 v67, v61, v2
	v_fma_f32 v54, v60, v4, -v68
	v_mul_f32_e32 v3, v64, v3
	v_fma_f32 v60, v64, v2, -v55
	v_fmac_f32_e32 v58, v61, v4
	v_mul_f32_e32 v61, v65, v5
	v_add_f32_e32 v67, v57, v67
	v_add_f32_e32 v68, v56, v54
	v_fmac_f32_e32 v3, v65, v2
	ds_read_b128 v[54:57], v39 offset:4288
	v_add_f32_e32 v71, v62, v60
	v_fma_f32 v2, v64, v4, -v61
	v_mul_f32_e32 v62, v64, v5
	s_waitcnt lgkmcnt(1)
	v_mul_f32_e32 v5, v7, v51
	v_add_f32_e32 v66, v66, v3
	v_mul_f32_e32 v64, v6, v51
	v_add_f32_e32 v72, v63, v2
	v_fmac_f32_e32 v62, v65, v4
	v_fma_f32 v63, v6, v50, -v5
	ds_read2_b64 v[2:5], v47 offset0:32 offset1:48
	v_mul_f32_e32 v65, v7, v53
	v_mul_f32_e32 v73, v6, v53
	v_add_f32_e32 v70, v59, v58
	ds_read_b128 v[58:61], v39 offset:208
	v_fmac_f32_e32 v64, v7, v50
	v_fma_f32 v6, v6, v52, -v65
	v_fmac_f32_e32 v73, v7, v52
	v_add_f32_e32 v69, v69, v63
	v_add_f32_e32 v31, v31, v62
	s_waitcnt lgkmcnt(2)
	v_mul_f32_e32 v74, v55, v51
	v_mul_f32_e32 v7, v54, v51
	;; [unrolled: 1-line block ×3, first 2 shown]
	v_add_f32_e32 v6, v68, v6
	v_add_f32_e32 v70, v70, v73
	v_fma_f32 v68, v54, v50, -v74
	v_fmac_f32_e32 v7, v55, v50
	v_mul_f32_e32 v73, v54, v53
	v_fma_f32 v50, v54, v52, -v51
	v_add_f32_e32 v67, v67, v64
	s_waitcnt lgkmcnt(1)
	v_mul_f32_e32 v51, v9, v3
	v_add_f32_e32 v54, v71, v68
	v_fmac_f32_e32 v73, v55, v52
	v_add_f32_e32 v55, v72, v50
	v_add_f32_e32 v7, v66, v7
	v_fma_f32 v68, v8, v2, -v51
	ds_read2_b64 v[50:53], v47 offset0:64 offset1:80
	v_mul_f32_e32 v66, v8, v3
	v_mul_f32_e32 v71, v9, v5
	ds_read_b128 v[62:65], v39 offset:4304
	v_add_f32_e32 v68, v69, v68
	v_mul_f32_e32 v69, v8, v5
	v_fmac_f32_e32 v66, v9, v2
	v_fma_f32 v8, v8, v4, -v71
	v_mul_f32_e32 v71, v57, v3
	v_mul_f32_e32 v3, v56, v3
	v_fmac_f32_e32 v69, v9, v4
	v_add_f32_e32 v66, v67, v66
	v_add_f32_e32 v6, v6, v8
	v_fma_f32 v8, v56, v2, -v71
	v_fmac_f32_e32 v3, v57, v2
	v_mul_f32_e32 v2, v57, v5
	v_mul_f32_e32 v67, v56, v5
	v_add_f32_e32 v9, v70, v69
	v_add_f32_e32 v8, v54, v8
	;; [unrolled: 1-line block ×3, first 2 shown]
	v_fma_f32 v54, v56, v4, -v2
	s_waitcnt lgkmcnt(1)
	v_mul_f32_e32 v56, v59, v51
	v_fmac_f32_e32 v67, v57, v4
	ds_read2_b64 v[2:5], v47 offset0:96 offset1:112
	v_mul_f32_e32 v69, v58, v53
	v_add_f32_e32 v54, v55, v54
	v_fma_f32 v55, v58, v50, -v56
	v_mul_f32_e32 v56, v59, v53
	v_mul_f32_e32 v57, v58, v51
	v_fmac_f32_e32 v69, v59, v52
	v_add_f32_e32 v31, v31, v73
	v_add_f32_e32 v55, v68, v55
	v_fma_f32 v56, v58, v52, -v56
	s_waitcnt lgkmcnt(1)
	v_mul_f32_e32 v58, v63, v51
	v_mul_f32_e32 v51, v62, v51
	v_fmac_f32_e32 v57, v59, v50
	v_add_f32_e32 v59, v9, v69
	v_add_f32_e32 v56, v6, v56
	v_mul_f32_e32 v6, v63, v53
	v_fma_f32 v9, v62, v50, -v58
	v_fmac_f32_e32 v51, v63, v50
	v_mul_f32_e32 v58, v62, v53
	v_add_f32_e32 v31, v31, v67
	v_fma_f32 v6, v62, v52, -v6
	s_waitcnt lgkmcnt(0)
	v_mul_f32_e32 v50, v61, v3
	v_add_f32_e32 v57, v66, v57
	v_add_f32_e32 v62, v8, v9
	;; [unrolled: 1-line block ×3, first 2 shown]
	v_fmac_f32_e32 v58, v63, v52
	v_add_f32_e32 v63, v54, v6
	v_fma_f32 v54, v60, v2, -v50
	ds_read_b128 v[6:9], v39 offset:224
	ds_read2_b64 v[50:53], v47 offset0:128 offset1:144
	v_mul_f32_e32 v67, v60, v3
	v_mul_f32_e32 v68, v61, v5
	v_add_f32_e32 v31, v31, v58
	v_mul_f32_e32 v58, v60, v5
	v_fmac_f32_e32 v67, v61, v2
	v_fma_f32 v60, v60, v4, -v68
	v_add_f32_e32 v68, v55, v54
	v_mul_f32_e32 v54, v65, v3
	v_fmac_f32_e32 v58, v61, v4
	v_add_f32_e32 v67, v57, v67
	v_add_f32_e32 v69, v56, v60
	v_mul_f32_e32 v3, v64, v3
	v_fma_f32 v60, v64, v2, -v54
	v_add_f32_e32 v70, v59, v58
	v_mul_f32_e32 v58, v65, v5
	ds_read_b128 v[54:57], v39 offset:4320
	v_fmac_f32_e32 v3, v65, v2
	v_add_f32_e32 v71, v62, v60
	v_mul_f32_e32 v62, v64, v5
	v_fma_f32 v2, v64, v4, -v58
	s_waitcnt lgkmcnt(1)
	v_mul_f32_e32 v5, v7, v51
	v_add_f32_e32 v66, v66, v3
	v_mul_f32_e32 v64, v7, v53
	v_fmac_f32_e32 v62, v65, v4
	v_add_f32_e32 v72, v63, v2
	v_fma_f32 v63, v6, v50, -v5
	ds_read2_b64 v[2:5], v47 offset0:160 offset1:176
	ds_read_b128 v[58:61], v39 offset:240
	v_mul_f32_e32 v73, v6, v51
	v_mul_f32_e32 v74, v6, v53
	v_fma_f32 v6, v6, v52, -v64
	v_add_f32_e32 v68, v68, v63
	v_add_f32_e32 v31, v31, v62
	v_fmac_f32_e32 v73, v7, v50
	v_fmac_f32_e32 v74, v7, v52
	s_waitcnt lgkmcnt(2)
	v_mul_f32_e32 v75, v55, v51
	v_mul_f32_e32 v7, v54, v51
	v_add_f32_e32 v6, v69, v6
	v_mul_f32_e32 v69, v55, v53
	v_add_f32_e32 v67, v67, v73
	v_fma_f32 v51, v54, v50, -v75
	v_fmac_f32_e32 v7, v55, v50
	v_mul_f32_e32 v73, v54, v53
	v_fma_f32 v50, v54, v52, -v69
	ds_read_b128 v[62:65], v39 offset:4336
	v_add_f32_e32 v71, v71, v51
	s_waitcnt lgkmcnt(2)
	v_mul_f32_e32 v51, v9, v3
	v_add_f32_e32 v7, v66, v7
	v_fmac_f32_e32 v73, v55, v52
	v_mul_f32_e32 v54, v8, v3
	v_add_f32_e32 v55, v72, v50
	v_fma_f32 v66, v8, v2, -v51
	ds_read2_b64 v[50:53], v47 offset0:192 offset1:208
	v_mul_f32_e32 v69, v9, v5
	v_fmac_f32_e32 v54, v9, v2
	v_add_f32_e32 v70, v70, v74
	v_add_f32_e32 v66, v68, v66
	v_mul_f32_e32 v68, v8, v5
	v_fma_f32 v8, v8, v4, -v69
	v_add_f32_e32 v54, v67, v54
	v_mul_f32_e32 v67, v57, v3
	v_mul_f32_e32 v3, v56, v3
	v_fmac_f32_e32 v68, v9, v4
	v_add_f32_e32 v6, v6, v8
	v_mul_f32_e32 v8, v57, v5
	v_fma_f32 v9, v56, v2, -v67
	v_fmac_f32_e32 v3, v57, v2
	v_add_f32_e32 v67, v70, v68
	v_mul_f32_e32 v68, v56, v5
	v_fma_f32 v2, v56, v4, -v8
	v_add_f32_e32 v8, v71, v9
	v_add_f32_e32 v7, v7, v3
	s_waitcnt lgkmcnt(0)
	v_mul_f32_e32 v9, v59, v51
	v_fmac_f32_e32 v68, v57, v4
	v_add_f32_e32 v55, v55, v2
	ds_read2_b64 v[2:5], v47 offset0:224 offset1:240
	v_mul_f32_e32 v56, v58, v51
	v_fma_f32 v9, v58, v50, -v9
	v_mul_f32_e32 v57, v59, v53
	v_add_f32_e32 v31, v31, v73
	s_waitcnt lgkmcnt(0)
	v_fmac_f32_e32 v56, v59, v50
	v_add_f32_e32 v9, v66, v9
	v_mul_f32_e32 v66, v63, v51
	v_fma_f32 v57, v58, v52, -v57
	v_mul_f32_e32 v51, v62, v51
	v_add_f32_e32 v54, v54, v56
	v_add_f32_e32 v31, v31, v68
	v_fma_f32 v56, v62, v50, -v66
	v_mul_f32_e32 v68, v58, v53
	v_add_f32_e32 v6, v6, v57
	v_mul_f32_e32 v57, v63, v53
	v_fmac_f32_e32 v51, v63, v50
	v_add_f32_e32 v8, v8, v56
	v_mul_f32_e32 v50, v62, v53
	v_mul_f32_e32 v56, v61, v3
	v_fmac_f32_e32 v68, v59, v52
	v_fma_f32 v53, v62, v52, -v57
	v_add_f32_e32 v7, v7, v51
	v_fmac_f32_e32 v50, v63, v52
	v_fma_f32 v51, v60, v2, -v56
	v_mul_f32_e32 v52, v61, v5
	v_mul_f32_e32 v57, v60, v3
	v_add_f32_e32 v59, v55, v53
	v_mul_f32_e32 v62, v60, v5
	v_add_f32_e32 v31, v31, v50
	v_add_f32_e32 v55, v9, v51
	v_fma_f32 v9, v60, v4, -v52
	v_mul_f32_e32 v50, v65, v3
	v_mul_f32_e32 v3, v64, v3
	;; [unrolled: 1-line block ×4, first 2 shown]
	v_add_f32_e32 v58, v67, v68
	v_fmac_f32_e32 v57, v61, v2
	v_fmac_f32_e32 v62, v61, v4
	v_add_f32_e32 v53, v6, v9
	v_fma_f32 v6, v64, v2, -v50
	v_fmac_f32_e32 v3, v65, v2
	v_fma_f32 v2, v64, v4, -v51
	v_fmac_f32_e32 v5, v65, v4
	v_add_f32_e32 v56, v54, v57
	v_add_f32_e32 v54, v58, v62
	;; [unrolled: 1-line block ×6, first 2 shown]
	s_barrier
	buffer_gl0_inv
	s_cbranch_scc1 .LBB76_56
.LBB76_7:                               ;   Parent Loop BB76_4 Depth=1
                                        ; =>  This Inner Loop Header: Depth=2
	v_add_co_u32 v4, s5, v12, s20
	v_add_co_ci_u32_e64 v5, null, s21, v13, s5
	v_cmp_eq_u64_e64 s8, s[20:21], v[18:19]
	v_cmp_le_i64_e64 s6, s[22:23], v[4:5]
	v_cmp_lt_i64_e64 s5, v[4:5], v[10:11]
	s_and_b32 s26, s42, s8
	v_add_co_u32 v2, s8, v41, s16
	v_add_co_ci_u32_e64 v3, null, s17, v42, s8
	s_or_b32 s9, s6, s5
	s_or_b32 s8, s9, s26
	s_nor_b32 s8, s0, s8
	s_and_saveexec_b32 s9, s8
	s_xor_b32 s8, exec_lo, s9
	s_cbranch_execz .LBB76_9
; %bb.8:                                ;   in Loop: Header=BB76_7 Depth=2
	global_load_dwordx2 v[6:7], v[2:3], off
	s_waitcnt vmcnt(0)
	ds_write_b64 v40, v[6:7]
.LBB76_9:                               ;   in Loop: Header=BB76_7 Depth=2
	s_or_saveexec_b32 s8, s8
	s_xor_b32 s25, s26, -1
	s_xor_b32 exec_lo, exec_lo, s8
	s_cbranch_execz .LBB76_15
; %bb.10:                               ;   in Loop: Header=BB76_7 Depth=2
	s_and_saveexec_b32 s9, s25
	s_xor_b32 s9, exec_lo, s9
; %bb.11:                               ;   in Loop: Header=BB76_7 Depth=2
	v_mov_b32_e32 v6, v33
	v_mov_b32_e32 v7, v33
	ds_write_b64 v40, v[6:7]
; %bb.12:                               ;   in Loop: Header=BB76_7 Depth=2
	s_andn2_saveexec_b32 s9, s9
; %bb.13:                               ;   in Loop: Header=BB76_7 Depth=2
	ds_write_b64 v40, v[32:33]
; %bb.14:                               ;   in Loop: Header=BB76_7 Depth=2
	s_or_b32 exec_lo, exec_lo, s9
.LBB76_15:                              ;   in Loop: Header=BB76_7 Depth=2
	s_or_b32 exec_lo, exec_lo, s8
	v_cmp_eq_u64_e64 s8, s[20:21], v[20:21]
	v_cmp_gt_i64_e64 s9, v[16:17], v[4:5]
	s_and_b32 s8, s42, s8
	s_or_b32 s6, s6, s9
	s_or_b32 s6, s6, s8
	s_nor_b32 s6, s3, s6
	s_and_saveexec_b32 s9, s6
	s_xor_b32 s9, exec_lo, s9
	s_cbranch_execz .LBB76_17
; %bb.16:                               ;   in Loop: Header=BB76_7 Depth=2
	v_add_co_u32 v6, s6, v43, s16
	v_add_co_ci_u32_e64 v7, null, s17, v44, s6
	global_load_dwordx2 v[6:7], v[6:7], off
	s_waitcnt vmcnt(0)
	ds_write_b64 v40, v[6:7] offset:128
.LBB76_17:                              ;   in Loop: Header=BB76_7 Depth=2
	s_andn2_saveexec_b32 s6, s9
	s_cbranch_execz .LBB76_23
; %bb.18:                               ;   in Loop: Header=BB76_7 Depth=2
	s_xor_b32 s8, s8, -1
	s_and_saveexec_b32 s9, s8
	s_xor_b32 s8, exec_lo, s9
; %bb.19:                               ;   in Loop: Header=BB76_7 Depth=2
	v_mov_b32_e32 v6, v33
	v_mov_b32_e32 v7, v33
	ds_write_b64 v40, v[6:7] offset:128
; %bb.20:                               ;   in Loop: Header=BB76_7 Depth=2
	s_andn2_saveexec_b32 s8, s8
; %bb.21:                               ;   in Loop: Header=BB76_7 Depth=2
	ds_write_b64 v40, v[32:33] offset:128
; %bb.22:                               ;   in Loop: Header=BB76_7 Depth=2
	s_or_b32 exec_lo, exec_lo, s8
.LBB76_23:                              ;   in Loop: Header=BB76_7 Depth=2
	s_or_b32 exec_lo, exec_lo, s6
	v_add_co_u32 v4, s6, v4, 16
	v_add_co_ci_u32_e64 v5, null, 0, v5, s6
	v_cmp_eq_u64_e64 s8, s[20:21], v[24:25]
	v_cmp_le_i64_e64 s6, s[22:23], v[4:5]
	v_cmp_lt_i64_e64 s9, v[4:5], v[10:11]
	s_and_b32 s27, s42, s8
	s_or_b32 s8, s6, s9
	s_or_b32 s8, s8, s27
	s_nor_b32 s8, s0, s8
	s_and_saveexec_b32 s9, s8
	s_xor_b32 s8, exec_lo, s9
	s_cbranch_execz .LBB76_25
; %bb.24:                               ;   in Loop: Header=BB76_7 Depth=2
	global_load_dwordx2 v[2:3], v[2:3], off offset:128
	s_waitcnt vmcnt(0)
	ds_write_b64 v40, v[2:3] offset:4096
.LBB76_25:                              ;   in Loop: Header=BB76_7 Depth=2
	s_andn2_saveexec_b32 s8, s8
	s_cbranch_execz .LBB76_31
; %bb.26:                               ;   in Loop: Header=BB76_7 Depth=2
	s_xor_b32 s9, s27, -1
	s_and_saveexec_b32 s27, s9
	s_xor_b32 s9, exec_lo, s27
; %bb.27:                               ;   in Loop: Header=BB76_7 Depth=2
	v_mov_b32_e32 v2, v33
	v_mov_b32_e32 v3, v33
	ds_write_b64 v40, v[2:3] offset:4096
; %bb.28:                               ;   in Loop: Header=BB76_7 Depth=2
	s_andn2_saveexec_b32 s9, s9
; %bb.29:                               ;   in Loop: Header=BB76_7 Depth=2
	ds_write_b64 v40, v[32:33] offset:4096
; %bb.30:                               ;   in Loop: Header=BB76_7 Depth=2
	s_or_b32 exec_lo, exec_lo, s9
.LBB76_31:                              ;   in Loop: Header=BB76_7 Depth=2
	s_or_b32 exec_lo, exec_lo, s8
	s_or_b32 s5, s6, s5
	s_or_b32 s5, s5, s26
	s_nor_b32 s5, s3, s5
	s_and_saveexec_b32 s6, s5
	s_xor_b32 s6, exec_lo, s6
	s_cbranch_execz .LBB76_33
; %bb.32:                               ;   in Loop: Header=BB76_7 Depth=2
	v_add_co_u32 v2, s5, v43, s16
	v_add_co_ci_u32_e64 v3, null, s17, v44, s5
	global_load_dwordx2 v[2:3], v[2:3], off offset:128
	s_waitcnt vmcnt(0)
	ds_write_b64 v40, v[2:3] offset:4224
.LBB76_33:                              ;   in Loop: Header=BB76_7 Depth=2
	s_andn2_saveexec_b32 s5, s6
	s_cbranch_execz .LBB76_39
; %bb.34:                               ;   in Loop: Header=BB76_7 Depth=2
	s_and_saveexec_b32 s6, s25
	s_xor_b32 s6, exec_lo, s6
; %bb.35:                               ;   in Loop: Header=BB76_7 Depth=2
	v_mov_b32_e32 v2, v33
	v_mov_b32_e32 v3, v33
	ds_write_b64 v40, v[2:3] offset:4224
; %bb.36:                               ;   in Loop: Header=BB76_7 Depth=2
	s_andn2_saveexec_b32 s6, s6
; %bb.37:                               ;   in Loop: Header=BB76_7 Depth=2
	ds_write_b64 v40, v[32:33] offset:4224
; %bb.38:                               ;   in Loop: Header=BB76_7 Depth=2
	s_or_b32 exec_lo, exec_lo, s6
.LBB76_39:                              ;   in Loop: Header=BB76_7 Depth=2
	s_or_b32 exec_lo, exec_lo, s5
	v_add_co_u32 v2, s5, v10, s20
	v_add_co_ci_u32_e64 v3, null, s21, v11, s5
	v_cmp_gt_i64_e64 s5, s[22:23], v[2:3]
	s_and_b32 s6, vcc_lo, s5
	s_xor_b32 s6, s6, -1
	s_and_saveexec_b32 s8, s6
	s_xor_b32 s6, exec_lo, s8
; %bb.40:                               ;   in Loop: Header=BB76_7 Depth=2
	v_mov_b32_e32 v4, v33
	v_mov_b32_e32 v5, v33
	ds_write_b64 v0, v[4:5]
; %bb.41:                               ;   in Loop: Header=BB76_7 Depth=2
	s_or_saveexec_b32 s8, s6
	v_add_co_u32 v4, s6, v34, s16
	v_add_co_ci_u32_e64 v5, null, s17, v35, s6
	s_xor_b32 exec_lo, exec_lo, s8
	s_cbranch_execz .LBB76_43
; %bb.42:                               ;   in Loop: Header=BB76_7 Depth=2
	global_load_dwordx2 v[6:7], v[4:5], off offset:-128
	s_waitcnt vmcnt(0)
	ds_write_b64 v0, v[6:7]
.LBB76_43:                              ;   in Loop: Header=BB76_7 Depth=2
	s_or_b32 exec_lo, exec_lo, s8
	v_cmp_gt_i64_e64 s6, s[18:19], v[2:3]
	s_and_b32 s8, vcc_lo, s6
	s_xor_b32 s8, s8, -1
	s_and_saveexec_b32 s9, s8
	s_xor_b32 s8, exec_lo, s9
; %bb.44:                               ;   in Loop: Header=BB76_7 Depth=2
	v_mov_b32_e32 v2, v33
	v_mov_b32_e32 v3, v33
                                        ; implicit-def: $vgpr4_vgpr5
	ds_write_b64 v0, v[2:3] offset:128
; %bb.45:                               ;   in Loop: Header=BB76_7 Depth=2
	s_andn2_saveexec_b32 s8, s8
	s_cbranch_execz .LBB76_47
; %bb.46:                               ;   in Loop: Header=BB76_7 Depth=2
	global_load_dwordx2 v[2:3], v[4:5], off
	s_waitcnt vmcnt(0)
	ds_write_b64 v0, v[2:3] offset:128
.LBB76_47:                              ;   in Loop: Header=BB76_7 Depth=2
	s_or_b32 exec_lo, exec_lo, s8
	s_and_b32 s5, s4, s5
	s_xor_b32 s5, s5, -1
	s_and_saveexec_b32 s8, s5
	s_xor_b32 s5, exec_lo, s8
; %bb.48:                               ;   in Loop: Header=BB76_7 Depth=2
	v_mov_b32_e32 v2, v33
	v_mov_b32_e32 v3, v33
	ds_write_b64 v0, v[2:3] offset:4096
; %bb.49:                               ;   in Loop: Header=BB76_7 Depth=2
	s_or_saveexec_b32 s8, s5
	v_add_co_u32 v2, s5, v36, s16
	v_add_co_ci_u32_e64 v3, null, s17, v37, s5
	s_xor_b32 exec_lo, exec_lo, s8
	s_cbranch_execz .LBB76_51
; %bb.50:                               ;   in Loop: Header=BB76_7 Depth=2
	global_load_dwordx2 v[4:5], v[2:3], off
	s_waitcnt vmcnt(0)
	ds_write_b64 v0, v[4:5] offset:4096
.LBB76_51:                              ;   in Loop: Header=BB76_7 Depth=2
	s_or_b32 exec_lo, exec_lo, s8
	s_and_b32 s5, s4, s6
	s_xor_b32 s5, s5, -1
	s_and_saveexec_b32 s6, s5
	s_xor_b32 s5, exec_lo, s6
; %bb.52:                               ;   in Loop: Header=BB76_7 Depth=2
	v_mov_b32_e32 v2, v33
	v_mov_b32_e32 v3, v33
	ds_write_b64 v0, v[2:3] offset:4224
                                        ; implicit-def: $vgpr2_vgpr3
; %bb.53:                               ;   in Loop: Header=BB76_7 Depth=2
	s_andn2_saveexec_b32 s5, s5
	s_cbranch_execz .LBB76_6
; %bb.54:                               ;   in Loop: Header=BB76_7 Depth=2
	global_load_dwordx2 v[2:3], v[2:3], off offset:128
	s_waitcnt vmcnt(0)
	ds_write_b64 v0, v[2:3] offset:4224
	s_branch .LBB76_6
.LBB76_55:                              ;   in Loop: Header=BB76_4 Depth=1
	v_mov_b32_e32 v55, 0
	v_mov_b32_e32 v56, 0
	v_mov_b32_e32 v53, 0
	v_mov_b32_e32 v54, 0
	v_mov_b32_e32 v52, 0
	v_mov_b32_e32 v51, 0
	v_mov_b32_e32 v50, 0
	v_mov_b32_e32 v31, 0
.LBB76_56:                              ;   in Loop: Header=BB76_4 Depth=1
	v_mul_lo_u32 v4, s29, v48
	v_mul_lo_u32 v5, s28, v49
	v_mad_u64_u32 v[2:3], null, s28, v48, 0
	v_cmp_gt_i32_e32 vcc_lo, s14, v48
	v_add3_u32 v3, v3, v5, v4
	v_lshlrev_b64 v[2:3], 3, v[2:3]
	v_add_co_u32 v2, s4, s30, v2
	v_add_co_ci_u32_e64 v3, null, s31, v3, s4
	s_and_b32 s4, s1, vcc_lo
	s_and_saveexec_b32 s5, s4
	s_cbranch_execz .LBB76_58
; %bb.57:                               ;   in Loop: Header=BB76_4 Depth=1
	v_add_co_u32 v4, s4, v2, v22
	v_add_co_ci_u32_e64 v5, null, v3, v23, s4
	v_mul_f32_e32 v8, s11, v56
	v_mul_f32_e32 v9, s10, v56
	global_load_dwordx2 v[6:7], v[4:5], off
	v_fma_f32 v8, v55, s10, -v8
	v_fmac_f32_e32 v9, s11, v55
	s_waitcnt vmcnt(0)
	v_add_f32_e32 v6, v6, v8
	v_add_f32_e32 v7, v9, v7
	global_store_dwordx2 v[4:5], v[6:7], off
.LBB76_58:                              ;   in Loop: Header=BB76_4 Depth=1
	s_or_b32 exec_lo, exec_lo, s5
	s_and_b32 s5, s2, vcc_lo
	s_and_saveexec_b32 s4, s5
	s_cbranch_execz .LBB76_60
; %bb.59:                               ;   in Loop: Header=BB76_4 Depth=1
	v_lshlrev_b64 v[4:5], 3, v[14:15]
	v_mul_f32_e32 v6, s11, v54
	v_mul_f32_e32 v7, s10, v54
	v_fma_f32 v6, v53, s10, -v6
	v_add_co_u32 v2, vcc_lo, v2, v4
	v_add_co_ci_u32_e64 v3, null, v3, v5, vcc_lo
	v_fmac_f32_e32 v7, s11, v53
	global_load_dwordx2 v[4:5], v[2:3], off
	s_waitcnt vmcnt(0)
	v_add_f32_e32 v4, v4, v6
	v_add_f32_e32 v5, v7, v5
	global_store_dwordx2 v[2:3], v[4:5], off
.LBB76_60:                              ;   in Loop: Header=BB76_4 Depth=1
	s_or_b32 exec_lo, exec_lo, s4
	v_add_nc_u32_e32 v4, 16, v48
	v_ashrrev_i32_e32 v5, 31, v4
	v_mul_lo_u32 v6, s29, v4
	v_mad_u64_u32 v[2:3], null, s28, v4, 0
	v_cmp_gt_i32_e32 vcc_lo, s14, v4
	v_mul_lo_u32 v5, s28, v5
	v_add3_u32 v3, v3, v5, v6
	v_lshlrev_b64 v[2:3], 3, v[2:3]
	v_add_co_u32 v2, s4, s30, v2
	v_add_co_ci_u32_e64 v3, null, s31, v3, s4
	s_and_b32 s4, s1, vcc_lo
	s_and_saveexec_b32 s5, s4
	s_cbranch_execz .LBB76_62
; %bb.61:                               ;   in Loop: Header=BB76_4 Depth=1
	v_add_co_u32 v4, s4, v2, v22
	v_add_co_ci_u32_e64 v5, null, v3, v23, s4
	v_mul_f32_e32 v8, s11, v51
	v_mul_f32_e32 v9, s10, v51
	global_load_dwordx2 v[6:7], v[4:5], off
	v_fma_f32 v8, v52, s10, -v8
	v_fmac_f32_e32 v9, s11, v52
	s_waitcnt vmcnt(0)
	v_add_f32_e32 v6, v6, v8
	v_add_f32_e32 v7, v9, v7
	global_store_dwordx2 v[4:5], v[6:7], off
.LBB76_62:                              ;   in Loop: Header=BB76_4 Depth=1
	s_or_b32 exec_lo, exec_lo, s5
	s_and_b32 s5, s2, vcc_lo
	s_and_saveexec_b32 s4, s5
	s_cbranch_execz .LBB76_3
; %bb.63:                               ;   in Loop: Header=BB76_4 Depth=1
	v_lshlrev_b64 v[4:5], 3, v[14:15]
	v_mul_f32_e32 v6, s11, v31
	v_mul_f32_e32 v7, s10, v31
	v_fma_f32 v6, v50, s10, -v6
	v_add_co_u32 v2, vcc_lo, v2, v4
	v_add_co_ci_u32_e64 v3, null, v3, v5, vcc_lo
	v_fmac_f32_e32 v7, s11, v50
	global_load_dwordx2 v[4:5], v[2:3], off
	s_waitcnt vmcnt(0)
	v_add_f32_e32 v4, v4, v6
	v_add_f32_e32 v5, v7, v5
	global_store_dwordx2 v[2:3], v[4:5], off
	s_branch .LBB76_3
.LBB76_64:
	s_endpgm
	.section	.rodata,"a",@progbits
	.p2align	6, 0x0
	.amdhsa_kernel _ZL30rocblas_trmm_outofplace_kernelI19rocblas_complex_numIfELi32ELi2ELb1ELb0ELb1ELb0EPKS1_S2_S1_Ev17rocblas_diagonal_iiT6_lPT7_lllS7_lllPT8_llli
		.amdhsa_group_segment_fixed_size 16384
		.amdhsa_private_segment_fixed_size 0
		.amdhsa_kernarg_size 392
		.amdhsa_user_sgpr_count 6
		.amdhsa_user_sgpr_private_segment_buffer 1
		.amdhsa_user_sgpr_dispatch_ptr 0
		.amdhsa_user_sgpr_queue_ptr 0
		.amdhsa_user_sgpr_kernarg_segment_ptr 1
		.amdhsa_user_sgpr_dispatch_id 0
		.amdhsa_user_sgpr_flat_scratch_init 0
		.amdhsa_user_sgpr_private_segment_size 0
		.amdhsa_wavefront_size32 1
		.amdhsa_uses_dynamic_stack 0
		.amdhsa_system_sgpr_private_segment_wavefront_offset 0
		.amdhsa_system_sgpr_workgroup_id_x 1
		.amdhsa_system_sgpr_workgroup_id_y 1
		.amdhsa_system_sgpr_workgroup_id_z 1
		.amdhsa_system_sgpr_workgroup_info 0
		.amdhsa_system_vgpr_workitem_id 1
		.amdhsa_next_free_vgpr 87
		.amdhsa_next_free_sgpr 46
		.amdhsa_reserve_vcc 1
		.amdhsa_reserve_flat_scratch 0
		.amdhsa_float_round_mode_32 0
		.amdhsa_float_round_mode_16_64 0
		.amdhsa_float_denorm_mode_32 3
		.amdhsa_float_denorm_mode_16_64 3
		.amdhsa_dx10_clamp 1
		.amdhsa_ieee_mode 1
		.amdhsa_fp16_overflow 0
		.amdhsa_workgroup_processor_mode 1
		.amdhsa_memory_ordered 1
		.amdhsa_forward_progress 1
		.amdhsa_shared_vgpr_count 0
		.amdhsa_exception_fp_ieee_invalid_op 0
		.amdhsa_exception_fp_denorm_src 0
		.amdhsa_exception_fp_ieee_div_zero 0
		.amdhsa_exception_fp_ieee_overflow 0
		.amdhsa_exception_fp_ieee_underflow 0
		.amdhsa_exception_fp_ieee_inexact 0
		.amdhsa_exception_int_div_zero 0
	.end_amdhsa_kernel
	.section	.text._ZL30rocblas_trmm_outofplace_kernelI19rocblas_complex_numIfELi32ELi2ELb1ELb0ELb1ELb0EPKS1_S2_S1_Ev17rocblas_diagonal_iiT6_lPT7_lllS7_lllPT8_llli,"axG",@progbits,_ZL30rocblas_trmm_outofplace_kernelI19rocblas_complex_numIfELi32ELi2ELb1ELb0ELb1ELb0EPKS1_S2_S1_Ev17rocblas_diagonal_iiT6_lPT7_lllS7_lllPT8_llli,comdat
.Lfunc_end76:
	.size	_ZL30rocblas_trmm_outofplace_kernelI19rocblas_complex_numIfELi32ELi2ELb1ELb0ELb1ELb0EPKS1_S2_S1_Ev17rocblas_diagonal_iiT6_lPT7_lllS7_lllPT8_llli, .Lfunc_end76-_ZL30rocblas_trmm_outofplace_kernelI19rocblas_complex_numIfELi32ELi2ELb1ELb0ELb1ELb0EPKS1_S2_S1_Ev17rocblas_diagonal_iiT6_lPT7_lllS7_lllPT8_llli
                                        ; -- End function
	.set _ZL30rocblas_trmm_outofplace_kernelI19rocblas_complex_numIfELi32ELi2ELb1ELb0ELb1ELb0EPKS1_S2_S1_Ev17rocblas_diagonal_iiT6_lPT7_lllS7_lllPT8_llli.num_vgpr, 87
	.set _ZL30rocblas_trmm_outofplace_kernelI19rocblas_complex_numIfELi32ELi2ELb1ELb0ELb1ELb0EPKS1_S2_S1_Ev17rocblas_diagonal_iiT6_lPT7_lllS7_lllPT8_llli.num_agpr, 0
	.set _ZL30rocblas_trmm_outofplace_kernelI19rocblas_complex_numIfELi32ELi2ELb1ELb0ELb1ELb0EPKS1_S2_S1_Ev17rocblas_diagonal_iiT6_lPT7_lllS7_lllPT8_llli.numbered_sgpr, 46
	.set _ZL30rocblas_trmm_outofplace_kernelI19rocblas_complex_numIfELi32ELi2ELb1ELb0ELb1ELb0EPKS1_S2_S1_Ev17rocblas_diagonal_iiT6_lPT7_lllS7_lllPT8_llli.num_named_barrier, 0
	.set _ZL30rocblas_trmm_outofplace_kernelI19rocblas_complex_numIfELi32ELi2ELb1ELb0ELb1ELb0EPKS1_S2_S1_Ev17rocblas_diagonal_iiT6_lPT7_lllS7_lllPT8_llli.private_seg_size, 0
	.set _ZL30rocblas_trmm_outofplace_kernelI19rocblas_complex_numIfELi32ELi2ELb1ELb0ELb1ELb0EPKS1_S2_S1_Ev17rocblas_diagonal_iiT6_lPT7_lllS7_lllPT8_llli.uses_vcc, 1
	.set _ZL30rocblas_trmm_outofplace_kernelI19rocblas_complex_numIfELi32ELi2ELb1ELb0ELb1ELb0EPKS1_S2_S1_Ev17rocblas_diagonal_iiT6_lPT7_lllS7_lllPT8_llli.uses_flat_scratch, 0
	.set _ZL30rocblas_trmm_outofplace_kernelI19rocblas_complex_numIfELi32ELi2ELb1ELb0ELb1ELb0EPKS1_S2_S1_Ev17rocblas_diagonal_iiT6_lPT7_lllS7_lllPT8_llli.has_dyn_sized_stack, 0
	.set _ZL30rocblas_trmm_outofplace_kernelI19rocblas_complex_numIfELi32ELi2ELb1ELb0ELb1ELb0EPKS1_S2_S1_Ev17rocblas_diagonal_iiT6_lPT7_lllS7_lllPT8_llli.has_recursion, 0
	.set _ZL30rocblas_trmm_outofplace_kernelI19rocblas_complex_numIfELi32ELi2ELb1ELb0ELb1ELb0EPKS1_S2_S1_Ev17rocblas_diagonal_iiT6_lPT7_lllS7_lllPT8_llli.has_indirect_call, 0
	.section	.AMDGPU.csdata,"",@progbits
; Kernel info:
; codeLenInByte = 6640
; TotalNumSgprs: 48
; NumVgprs: 87
; ScratchSize: 0
; MemoryBound: 1
; FloatMode: 240
; IeeeMode: 1
; LDSByteSize: 16384 bytes/workgroup (compile time only)
; SGPRBlocks: 0
; VGPRBlocks: 10
; NumSGPRsForWavesPerEU: 48
; NumVGPRsForWavesPerEU: 87
; Occupancy: 10
; WaveLimiterHint : 0
; COMPUTE_PGM_RSRC2:SCRATCH_EN: 0
; COMPUTE_PGM_RSRC2:USER_SGPR: 6
; COMPUTE_PGM_RSRC2:TRAP_HANDLER: 0
; COMPUTE_PGM_RSRC2:TGID_X_EN: 1
; COMPUTE_PGM_RSRC2:TGID_Y_EN: 1
; COMPUTE_PGM_RSRC2:TGID_Z_EN: 1
; COMPUTE_PGM_RSRC2:TIDIG_COMP_CNT: 1
	.section	.text._ZL30rocblas_trmm_outofplace_kernelI19rocblas_complex_numIfELi32ELi2ELb1ELb0ELb1ELb0ES1_KS1_S1_Ev17rocblas_diagonal_iiT6_lPT7_lllS6_lllPT8_llli,"axG",@progbits,_ZL30rocblas_trmm_outofplace_kernelI19rocblas_complex_numIfELi32ELi2ELb1ELb0ELb1ELb0ES1_KS1_S1_Ev17rocblas_diagonal_iiT6_lPT7_lllS6_lllPT8_llli,comdat
	.globl	_ZL30rocblas_trmm_outofplace_kernelI19rocblas_complex_numIfELi32ELi2ELb1ELb0ELb1ELb0ES1_KS1_S1_Ev17rocblas_diagonal_iiT6_lPT7_lllS6_lllPT8_llli ; -- Begin function _ZL30rocblas_trmm_outofplace_kernelI19rocblas_complex_numIfELi32ELi2ELb1ELb0ELb1ELb0ES1_KS1_S1_Ev17rocblas_diagonal_iiT6_lPT7_lllS6_lllPT8_llli
	.p2align	8
	.type	_ZL30rocblas_trmm_outofplace_kernelI19rocblas_complex_numIfELi32ELi2ELb1ELb0ELb1ELb0ES1_KS1_S1_Ev17rocblas_diagonal_iiT6_lPT7_lllS6_lllPT8_llli,@function
_ZL30rocblas_trmm_outofplace_kernelI19rocblas_complex_numIfELi32ELi2ELb1ELb0ELb1ELb0ES1_KS1_S1_Ev17rocblas_diagonal_iiT6_lPT7_lllS6_lllPT8_llli: ; @_ZL30rocblas_trmm_outofplace_kernelI19rocblas_complex_numIfELi32ELi2ELb1ELb0ELb1ELb0ES1_KS1_S1_Ev17rocblas_diagonal_iiT6_lPT7_lllS6_lllPT8_llli
; %bb.0:
	s_clause 0x1
	s_load_dwordx4 s[28:31], s[4:5], 0x0
	s_load_dword s33, s[4:5], 0x10
	s_waitcnt lgkmcnt(0)
	s_or_b32 s0, s31, s33
	s_bitset0_b32 s0, 31
	s_cmp_eq_u32 s0, 0
	s_cbranch_scc1 .LBB77_64
; %bb.1:
	s_add_i32 s0, s30, -1
	s_ashr_i32 s1, s0, 31
	s_lshr_b32 s1, s1, 27
	s_add_i32 s0, s0, s1
	s_ashr_i32 s44, s0, 5
	s_cmp_gt_i32 s7, s44
	s_cbranch_scc1 .LBB77_64
; %bb.2:
	s_clause 0x2
	s_load_dwordx16 s[12:27], s[4:5], 0x20
	s_load_dwordx8 s[36:43], s[4:5], 0x60
	s_load_dword s45, s[4:5], 0x8c
	v_lshlrev_b32_e32 v2, 8, v1
	v_lshlrev_b32_e32 v38, 3, v0
	s_mov_b32 s10, s29
	v_lshl_add_u32 v30, s7, 5, v1
	v_mov_b32_e32 v33, 0
	v_add_nc_u32_e32 v39, 0x2000, v2
	v_add_nc_u32_e32 v40, v38, v2
	v_mov_b32_e32 v32, 1.0
	v_add_nc_u32_e32 v45, 0x800, v38
	v_add_nc_u32_e32 v46, 0x1000, v38
	;; [unrolled: 1-line block ×4, first 2 shown]
	s_waitcnt lgkmcnt(0)
	s_mul_i32 s1, s19, s8
	s_mul_hi_u32 s2, s18, s8
	s_mul_i32 s0, s18, s8
	s_add_i32 s1, s2, s1
	s_mul_i32 s2, s43, s8
	s_lshl_b64 s[4:5], s[0:1], 3
	s_mul_hi_u32 s1, s42, s8
	s_add_u32 s3, s12, s4
	s_addc_u32 s9, s13, s5
	s_lshl_b64 s[34:35], s[14:15], 3
	s_mul_i32 s0, s42, s8
	s_add_u32 s3, s3, s34
	s_addc_u32 s18, s9, s35
	s_add_i32 s1, s1, s2
	s_mul_i32 s19, s27, s8
	s_lshl_b64 s[0:1], s[0:1], 3
	s_add_u32 s2, s36, s0
	s_addc_u32 s9, s37, s1
	s_lshl_b64 s[0:1], s[38:39], 3
	s_add_u32 s27, s2, s0
	s_addc_u32 s36, s9, s1
	s_lshl_b32 s0, s6, 5
	s_mul_hi_u32 s2, s26, s8
	v_add_nc_u32_e32 v10, s0, v0
	v_add_nc_u32_e32 v12, s0, v1
	s_sub_i32 s37, s29, s0
	s_mul_i32 s8, s26, s8
	s_cmp_gt_i32 s37, 0
	v_ashrrev_i32_e32 v11, 31, v10
	v_mul_lo_u32 v0, s17, v10
	v_mad_u64_u32 v[2:3], null, s16, v10, 0
	v_ashrrev_i32_e32 v13, 31, v12
	v_mul_lo_u32 v4, s16, v11
	v_add_co_u32 v16, vcc_lo, v10, 16
	v_add_co_ci_u32_e64 v17, null, 0, v11, vcc_lo
	s_cselect_b32 s26, -1, 0
	s_cmpk_eq_i32 s28, 0x84
	v_lshlrev_b64 v[22:23], 3, v[10:11]
	v_add3_u32 v3, v3, v4, v0
	v_lshlrev_b64 v[4:5], 3, v[12:13]
	s_cselect_b32 s28, -1, 0
	s_ashr_i32 s11, s29, 31
	s_ashr_i32 s38, s30, 31
	v_lshlrev_b64 v[2:3], 3, v[2:3]
	s_add_u32 s14, s29, -16
	s_addc_u32 s15, s11, -1
	s_add_i32 s9, s2, s19
	v_add_nc_u32_e32 v14, 16, v10
	s_lshl_b64 s[8:9], s[8:9], 3
	v_add_co_u32 v0, vcc_lo, s3, v2
	v_add_co_ci_u32_e64 v2, null, s18, v3, vcc_lo
	s_lshl_b64 s[18:19], s[22:23], 3
	v_add_co_u32 v0, vcc_lo, v0, v4
	v_add_co_ci_u32_e64 v42, null, v2, v5, vcc_lo
	v_sub_co_u32 v18, vcc_lo, v10, v12
	v_sub_co_ci_u32_e64 v19, null, v11, v13, vcc_lo
	s_add_u32 s6, s8, s18
	v_add_co_u32 v20, vcc_lo, v18, 16
	v_add_co_ci_u32_e64 v21, null, 0, v19, vcc_lo
	v_add_co_u32 v6, vcc_lo, 0x80, v22
	s_addc_u32 s8, s9, s19
	s_add_u32 s6, s20, s6
	v_add_co_ci_u32_e64 v7, null, 0, v23, vcc_lo
	s_addc_u32 s8, s21, s8
	s_lshl_b64 s[18:19], s[24:25], 3
	s_lshl_b32 s20, s45, 5
	s_add_u32 s4, s34, s4
	s_addc_u32 s5, s35, s5
	v_mul_lo_u32 v7, s16, v7
	v_mad_u64_u32 v[2:3], null, s16, v6, s[4:5]
	v_mul_lo_u32 v6, s17, v6
	v_add_co_u32 v24, vcc_lo, v18, -16
	v_add_co_ci_u32_e64 v25, null, -1, v19, vcc_lo
	v_add_co_u32 v26, vcc_lo, s6, v22
	v_add_co_ci_u32_e64 v27, null, s8, v23, vcc_lo
	v_add3_u32 v3, v6, v3, v7
	v_add_co_u32 v28, vcc_lo, 0x80, v26
	v_add_co_ci_u32_e64 v29, null, 0, v27, vcc_lo
	v_add_co_u32 v2, vcc_lo, v2, v4
	v_add_co_ci_u32_e64 v3, null, v3, v5, vcc_lo
	v_cmp_le_i64_e64 s3, s[10:11], v[16:17]
	v_add_co_u32 v43, vcc_lo, s12, v2
	v_cmp_le_i32_e64 s0, s29, v10
	v_cmp_gt_i32_e64 s1, s29, v10
	v_cmp_gt_i32_e64 s2, s29, v14
	v_ashrrev_i32_e32 v15, 31, v14
	v_add_co_ci_u32_e64 v44, null, s13, v3, vcc_lo
	s_mov_b32 s21, s30
	s_branch .LBB77_4
.LBB77_3:                               ;   in Loop: Header=BB77_4 Depth=1
	s_or_b32 exec_lo, exec_lo, s4
	v_add_nc_u32_e32 v30, s20, v30
	s_add_i32 s7, s45, s7
	s_cmp_le_i32 s7, s44
	s_cbranch_scc0 .LBB77_64
.LBB77_4:                               ; =>This Loop Header: Depth=1
                                        ;     Child Loop BB77_7 Depth 2
	v_lshl_add_u32 v48, s7, 5, v1
	s_andn2_b32 vcc_lo, exec_lo, s26
	v_ashrrev_i32_e32 v49, 31, v48
	s_cbranch_vccnz .LBB77_55
; %bb.5:                                ;   in Loop: Header=BB77_4 Depth=1
	v_ashrrev_i32_e32 v31, 31, v30
	v_mad_u64_u32 v[34:35], null, s18, v30, v[28:29]
	v_mul_lo_u32 v4, s19, v30
	v_mov_b32_e32 v50, 0
	v_lshlrev_b64 v[2:3], 3, v[30:31]
	v_mul_lo_u32 v7, s18, v31
	v_mov_b32_e32 v31, 0
	v_mov_b32_e32 v51, 0
	;; [unrolled: 1-line block ×4, first 2 shown]
	v_add_co_u32 v5, vcc_lo, 0x80, v2
	v_add_co_ci_u32_e64 v6, null, 0, v3, vcc_lo
	v_sub_co_u32 v2, vcc_lo, s21, v48
	v_mul_lo_u32 v8, s25, v5
	v_mul_lo_u32 v6, s24, v6
	v_mad_u64_u32 v[36:37], null, s24, v5, v[26:27]
	v_sub_co_ci_u32_e64 v3, null, s38, v49, vcc_lo
	v_add3_u32 v35, v4, v35, v7
	v_mov_b32_e32 v53, 0
	v_mov_b32_e32 v56, 0
	v_cmp_lt_i64_e64 s4, 16, v[2:3]
	v_add3_u32 v37, v8, v37, v6
	v_mov_b32_e32 v55, 0
	s_mov_b64 s[12:13], 0
	s_mov_b64 s[16:17], 0
	v_cmp_lt_i64_e32 vcc_lo, 0, v[2:3]
	s_branch .LBB77_7
.LBB77_6:                               ;   in Loop: Header=BB77_7 Depth=2
	s_or_b32 exec_lo, exec_lo, s5
	s_waitcnt lgkmcnt(0)
	s_barrier
	buffer_gl0_inv
	ds_read_b128 v[57:60], v39
	ds_read2_b64 v[61:64], v38 offset1:16
	ds_read_b128 v[65:68], v39 offset:4096
	ds_read_b128 v[69:72], v39 offset:16
	;; [unrolled: 1-line block ×4, first 2 shown]
	ds_read2_b64 v[73:76], v38 offset0:32 offset1:48
	ds_read_b128 v[77:80], v39 offset:4112
	s_add_u32 s16, s16, 32
	s_addc_u32 s17, s17, 0
	s_add_u32 s12, s12, 0x100
	s_addc_u32 s13, s13, 0
	s_cmp_ge_i32 s16, s37
	s_waitcnt lgkmcnt(6)
	v_mul_f32_e32 v81, v58, v62
	v_mul_f32_e32 v82, v57, v62
	;; [unrolled: 1-line block ×4, first 2 shown]
	s_waitcnt lgkmcnt(5)
	v_mul_f32_e32 v85, v66, v62
	v_mul_f32_e32 v62, v65, v62
	v_mul_f32_e32 v86, v66, v64
	v_fma_f32 v81, v57, v61, -v81
	v_fmac_f32_e32 v82, v58, v61
	v_fma_f32 v57, v57, v63, -v83
	v_fmac_f32_e32 v84, v58, v63
	;; [unrolled: 2-line block ×3, first 2 shown]
	v_fma_f32 v61, v65, v63, -v86
	v_mul_f32_e32 v64, v65, v64
	v_add_f32_e32 v57, v53, v57
	v_add_f32_e32 v58, v52, v58
	;; [unrolled: 1-line block ×3, first 2 shown]
	s_waitcnt lgkmcnt(1)
	v_mul_f32_e32 v65, v60, v74
	v_add_f32_e32 v61, v50, v61
	ds_read2_b64 v[50:53], v38 offset0:64 offset1:80
	v_add_f32_e32 v55, v55, v81
	v_fmac_f32_e32 v64, v66, v63
	v_mul_f32_e32 v63, v59, v74
	v_fma_f32 v65, v59, v73, -v65
	v_mul_f32_e32 v66, v60, v76
	v_add_f32_e32 v56, v56, v82
	v_add_f32_e32 v31, v31, v64
	v_fmac_f32_e32 v63, v60, v73
	v_mul_f32_e32 v64, v59, v76
	v_add_f32_e32 v65, v55, v65
	v_fma_f32 v55, v59, v75, -v66
	v_mul_f32_e32 v59, v68, v74
	v_add_f32_e32 v54, v54, v84
	v_add_f32_e32 v63, v56, v63
	v_fmac_f32_e32 v64, v60, v75
	v_mul_f32_e32 v56, v67, v74
	v_add_f32_e32 v60, v57, v55
	v_fma_f32 v55, v67, v73, -v59
	v_mul_f32_e32 v57, v68, v76
	v_add_f32_e32 v59, v54, v64
	v_fmac_f32_e32 v56, v68, v73
	v_mul_f32_e32 v64, v67, v76
	v_add_f32_e32 v58, v58, v55
	v_fma_f32 v54, v67, v75, -v57
	s_waitcnt lgkmcnt(0)
	v_mul_f32_e32 v55, v70, v51
	v_add_f32_e32 v62, v62, v56
	v_fmac_f32_e32 v64, v68, v75
	v_mul_f32_e32 v66, v69, v51
	v_add_f32_e32 v61, v61, v54
	v_fma_f32 v67, v69, v50, -v55
	v_mul_f32_e32 v68, v70, v53
	ds_read2_b64 v[54:57], v38 offset0:96 offset1:112
	v_fmac_f32_e32 v66, v70, v50
	v_add_f32_e32 v31, v31, v64
	v_add_f32_e32 v64, v65, v67
	v_fma_f32 v67, v69, v52, -v68
	v_mul_f32_e32 v65, v69, v53
	v_add_f32_e32 v63, v63, v66
	v_mul_f32_e32 v66, v78, v51
	v_mul_f32_e32 v51, v77, v51
	v_add_f32_e32 v60, v60, v67
	v_mul_f32_e32 v67, v78, v53
	v_fmac_f32_e32 v65, v70, v52
	v_fma_f32 v66, v77, v50, -v66
	v_fmac_f32_e32 v51, v78, v50
	v_mul_f32_e32 v68, v77, v53
	v_fma_f32 v50, v77, v52, -v67
	v_add_f32_e32 v59, v59, v65
	v_add_f32_e32 v65, v58, v66
	;; [unrolled: 1-line block ×3, first 2 shown]
	v_fmac_f32_e32 v68, v78, v52
	s_waitcnt lgkmcnt(0)
	v_mul_f32_e32 v58, v72, v55
	v_add_f32_e32 v66, v61, v50
	ds_read2_b64 v[50:53], v38 offset0:128 offset1:144
	v_mul_f32_e32 v61, v71, v55
	v_mul_f32_e32 v67, v72, v57
	v_fma_f32 v58, v71, v54, -v58
	v_add_f32_e32 v31, v31, v68
	v_mul_f32_e32 v68, v71, v57
	v_fmac_f32_e32 v61, v72, v54
	v_fma_f32 v67, v71, v56, -v67
	v_add_f32_e32 v64, v64, v58
	v_mul_f32_e32 v58, v80, v55
	v_fmac_f32_e32 v68, v72, v56
	v_mul_f32_e32 v55, v79, v55
	v_mul_f32_e32 v70, v80, v57
	v_add_f32_e32 v63, v63, v61
	v_fma_f32 v69, v79, v54, -v58
	v_add_f32_e32 v67, v60, v67
	v_add_f32_e32 v68, v59, v68
	ds_read_b128 v[58:61], v39 offset:4128
	v_fmac_f32_e32 v55, v80, v54
	v_add_f32_e32 v69, v65, v69
	v_mul_f32_e32 v65, v79, v57
	v_fma_f32 v54, v79, v56, -v70
	s_waitcnt lgkmcnt(1)
	v_mul_f32_e32 v57, v7, v51
	v_add_f32_e32 v70, v62, v55
	v_mul_f32_e32 v62, v6, v51
	v_fmac_f32_e32 v65, v80, v56
	v_add_f32_e32 v66, v66, v54
	v_fma_f32 v71, v6, v50, -v57
	ds_read2_b64 v[54:57], v38 offset0:160 offset1:176
	v_fmac_f32_e32 v62, v7, v50
	v_mul_f32_e32 v72, v7, v53
	v_mul_f32_e32 v73, v6, v53
	v_add_f32_e32 v31, v31, v65
	v_add_f32_e32 v71, v64, v71
	;; [unrolled: 1-line block ×3, first 2 shown]
	v_fma_f32 v6, v6, v52, -v72
	ds_read_b128 v[62:65], v39 offset:4144
	s_waitcnt lgkmcnt(2)
	v_mul_f32_e32 v72, v59, v51
	v_fmac_f32_e32 v73, v7, v52
	v_mul_f32_e32 v7, v58, v51
	v_mul_f32_e32 v51, v59, v53
	v_add_f32_e32 v6, v67, v6
	v_fma_f32 v67, v58, v50, -v72
	v_mul_f32_e32 v72, v58, v53
	v_fmac_f32_e32 v7, v59, v50
	v_fma_f32 v50, v58, v52, -v51
	v_add_f32_e32 v68, v68, v73
	v_add_f32_e32 v58, v69, v67
	s_waitcnt lgkmcnt(1)
	v_mul_f32_e32 v51, v9, v55
	v_fmac_f32_e32 v72, v59, v52
	v_add_f32_e32 v59, v66, v50
	v_mul_f32_e32 v69, v9, v57
	v_add_f32_e32 v7, v70, v7
	v_fma_f32 v67, v8, v54, -v51
	ds_read2_b64 v[50:53], v38 offset0:192 offset1:208
	v_mul_f32_e32 v66, v8, v55
	v_mul_f32_e32 v70, v8, v57
	v_fma_f32 v8, v8, v56, -v69
	v_mul_f32_e32 v69, v61, v55
	v_mul_f32_e32 v55, v60, v55
	v_add_f32_e32 v67, v71, v67
	v_fmac_f32_e32 v66, v9, v54
	v_add_f32_e32 v71, v6, v8
	v_fma_f32 v6, v60, v54, -v69
	v_fmac_f32_e32 v55, v61, v54
	v_mul_f32_e32 v8, v61, v57
	v_fmac_f32_e32 v70, v9, v56
	v_mul_f32_e32 v57, v60, v57
	v_add_f32_e32 v58, v58, v6
	v_add_f32_e32 v55, v7, v55
	v_fma_f32 v60, v60, v56, -v8
	ds_read2_b64 v[6:9], v38 offset0:224 offset1:240
	v_add_f32_e32 v54, v68, v70
	v_fmac_f32_e32 v57, v61, v56
	s_waitcnt lgkmcnt(1)
	v_mul_f32_e32 v68, v3, v51
	v_mul_f32_e32 v56, v2, v51
	v_add_f32_e32 v66, v74, v66
	v_add_f32_e32 v59, v59, v60
	v_mul_f32_e32 v61, v3, v53
	v_fma_f32 v60, v2, v50, -v68
	v_fmac_f32_e32 v56, v3, v50
	v_mul_f32_e32 v68, v2, v53
	v_add_f32_e32 v31, v31, v72
	v_fma_f32 v2, v2, v52, -v61
	v_add_f32_e32 v60, v67, v60
	v_add_f32_e32 v61, v66, v56
	v_fmac_f32_e32 v68, v3, v52
	v_mul_f32_e32 v3, v63, v51
	v_mul_f32_e32 v51, v62, v51
	;; [unrolled: 1-line block ×4, first 2 shown]
	s_waitcnt lgkmcnt(0)
	v_mul_f32_e32 v53, v5, v7
	v_fma_f32 v3, v62, v50, -v3
	v_fmac_f32_e32 v51, v63, v50
	v_fma_f32 v50, v62, v52, -v56
	v_add_f32_e32 v31, v31, v57
	v_add_f32_e32 v66, v54, v68
	;; [unrolled: 1-line block ×4, first 2 shown]
	v_fmac_f32_e32 v67, v63, v52
	v_add_f32_e32 v63, v59, v50
	v_fma_f32 v3, v4, v6, -v53
	ds_read_b128 v[50:53], v39 offset:64
	ds_read2_b64 v[54:57], v45 offset1:16
	v_mul_f32_e32 v59, v4, v7
	v_mul_f32_e32 v68, v5, v9
	v_add_f32_e32 v2, v71, v2
	v_add_f32_e32 v31, v31, v67
	v_mul_f32_e32 v67, v4, v9
	v_fmac_f32_e32 v59, v5, v6
	v_add_f32_e32 v69, v60, v3
	v_fma_f32 v3, v4, v8, -v68
	v_mul_f32_e32 v4, v65, v7
	v_mul_f32_e32 v7, v64, v7
	;; [unrolled: 1-line block ×3, first 2 shown]
	v_add_f32_e32 v68, v61, v59
	v_fmac_f32_e32 v67, v5, v8
	v_add_f32_e32 v70, v2, v3
	v_fma_f32 v59, v64, v6, -v4
	v_fmac_f32_e32 v7, v65, v6
	ds_read_b128 v[2:5], v39 offset:4160
	v_fma_f32 v6, v64, v8, -v60
	v_mul_f32_e32 v64, v64, v9
	s_waitcnt lgkmcnt(1)
	v_mul_f32_e32 v9, v51, v55
	v_add_f32_e32 v71, v62, v7
	v_mul_f32_e32 v62, v50, v55
	v_add_f32_e32 v72, v63, v6
	v_fmac_f32_e32 v64, v65, v8
	v_fma_f32 v63, v50, v54, -v9
	ds_read2_b64 v[6:9], v45 offset0:32 offset1:48
	v_mul_f32_e32 v65, v51, v57
	v_mul_f32_e32 v73, v50, v57
	v_add_f32_e32 v66, v66, v67
	v_add_f32_e32 v67, v58, v59
	ds_read_b128 v[58:61], v39 offset:80
	v_fmac_f32_e32 v62, v51, v54
	v_fma_f32 v50, v50, v56, -v65
	v_fmac_f32_e32 v73, v51, v56
	v_add_f32_e32 v69, v69, v63
	v_add_f32_e32 v31, v31, v64
	s_waitcnt lgkmcnt(2)
	v_mul_f32_e32 v74, v3, v55
	v_mul_f32_e32 v51, v2, v55
	;; [unrolled: 1-line block ×3, first 2 shown]
	v_add_f32_e32 v50, v70, v50
	v_add_f32_e32 v66, v66, v73
	v_fma_f32 v70, v2, v54, -v74
	v_fmac_f32_e32 v51, v3, v54
	v_mul_f32_e32 v73, v2, v57
	v_fma_f32 v2, v2, v56, -v55
	s_waitcnt lgkmcnt(1)
	v_mul_f32_e32 v54, v53, v7
	v_add_f32_e32 v67, v67, v70
	v_add_f32_e32 v51, v71, v51
	v_fmac_f32_e32 v73, v3, v56
	v_add_f32_e32 v70, v72, v2
	v_mul_f32_e32 v2, v52, v7
	v_fma_f32 v3, v52, v6, -v54
	ds_read2_b64 v[54:57], v45 offset0:64 offset1:80
	v_mul_f32_e32 v71, v53, v9
	v_add_f32_e32 v68, v68, v62
	v_fmac_f32_e32 v2, v53, v6
	v_add_f32_e32 v69, v69, v3
	v_mul_f32_e32 v3, v52, v9
	v_fma_f32 v52, v52, v8, -v71
	v_mul_f32_e32 v71, v5, v7
	v_mul_f32_e32 v7, v4, v7
	ds_read_b128 v[62:65], v39 offset:4176
	v_add_f32_e32 v68, v68, v2
	v_fmac_f32_e32 v3, v53, v8
	v_fma_f32 v2, v4, v6, -v71
	v_fmac_f32_e32 v7, v5, v6
	v_mul_f32_e32 v6, v5, v9
	v_mul_f32_e32 v9, v4, v9
	v_add_f32_e32 v50, v50, v52
	v_add_f32_e32 v52, v66, v3
	;; [unrolled: 1-line block ×3, first 2 shown]
	v_fma_f32 v6, v4, v8, -v6
	v_fmac_f32_e32 v9, v5, v8
	ds_read2_b64 v[2:5], v45 offset0:96 offset1:112
	v_add_f32_e32 v31, v31, v73
	v_add_f32_e32 v7, v51, v7
	s_waitcnt lgkmcnt(2)
	v_mul_f32_e32 v51, v59, v55
	v_mul_f32_e32 v8, v58, v55
	;; [unrolled: 1-line block ×3, first 2 shown]
	v_add_f32_e32 v31, v31, v9
	v_mul_f32_e32 v67, v58, v57
	v_fma_f32 v51, v58, v54, -v51
	v_fmac_f32_e32 v8, v59, v54
	v_fma_f32 v9, v58, v56, -v66
	v_add_f32_e32 v6, v70, v6
	v_fmac_f32_e32 v67, v59, v56
	v_add_f32_e32 v69, v69, v51
	v_add_f32_e32 v58, v68, v8
	s_waitcnt lgkmcnt(1)
	v_mul_f32_e32 v8, v63, v55
	v_mul_f32_e32 v51, v62, v55
	v_add_f32_e32 v55, v50, v9
	v_mul_f32_e32 v9, v63, v57
	v_add_f32_e32 v59, v52, v67
	v_fma_f32 v8, v62, v54, -v8
	v_fmac_f32_e32 v51, v63, v54
	v_mul_f32_e32 v54, v62, v57
	v_fma_f32 v9, v62, v56, -v9
	s_waitcnt lgkmcnt(0)
	v_mul_f32_e32 v50, v61, v3
	v_add_f32_e32 v62, v53, v8
	v_add_f32_e32 v66, v7, v51
	v_fmac_f32_e32 v54, v63, v56
	v_add_f32_e32 v63, v6, v9
	v_fma_f32 v56, v60, v2, -v50
	ds_read_b128 v[6:9], v39 offset:96
	ds_read2_b64 v[50:53], v45 offset0:128 offset1:144
	v_mul_f32_e32 v57, v60, v3
	v_mul_f32_e32 v67, v61, v5
	v_add_f32_e32 v31, v31, v54
	v_mul_f32_e32 v54, v60, v5
	v_add_f32_e32 v68, v69, v56
	v_fmac_f32_e32 v57, v61, v2
	v_fma_f32 v56, v60, v4, -v67
	v_mul_f32_e32 v60, v65, v3
	v_fmac_f32_e32 v54, v61, v4
	v_mul_f32_e32 v3, v64, v3
	v_add_f32_e32 v67, v58, v57
	v_add_f32_e32 v69, v55, v56
	v_fma_f32 v58, v64, v2, -v60
	v_mul_f32_e32 v60, v65, v5
	v_add_f32_e32 v70, v59, v54
	v_fmac_f32_e32 v3, v65, v2
	ds_read_b128 v[54:57], v39 offset:4192
	v_add_f32_e32 v71, v62, v58
	v_fma_f32 v2, v64, v4, -v60
	v_mul_f32_e32 v62, v64, v5
	s_waitcnt lgkmcnt(1)
	v_mul_f32_e32 v5, v7, v51
	v_add_f32_e32 v66, v66, v3
	v_mul_f32_e32 v64, v6, v51
	v_add_f32_e32 v72, v63, v2
	v_fmac_f32_e32 v62, v65, v4
	v_fma_f32 v63, v6, v50, -v5
	ds_read2_b64 v[2:5], v45 offset0:160 offset1:176
	v_mul_f32_e32 v65, v7, v53
	v_mul_f32_e32 v73, v6, v53
	ds_read_b128 v[58:61], v39 offset:112
	v_fmac_f32_e32 v64, v7, v50
	v_add_f32_e32 v68, v68, v63
	v_fma_f32 v6, v6, v52, -v65
	v_fmac_f32_e32 v73, v7, v52
	v_add_f32_e32 v31, v31, v62
	v_add_f32_e32 v67, v67, v64
	s_waitcnt lgkmcnt(2)
	v_mul_f32_e32 v74, v55, v51
	v_mul_f32_e32 v7, v54, v51
	;; [unrolled: 1-line block ×3, first 2 shown]
	v_add_f32_e32 v6, v69, v6
	v_add_f32_e32 v70, v70, v73
	v_fma_f32 v69, v54, v50, -v74
	v_fmac_f32_e32 v7, v55, v50
	v_mul_f32_e32 v73, v54, v53
	v_fma_f32 v50, v54, v52, -v51
	ds_read_b128 v[62:65], v39 offset:4208
	s_waitcnt lgkmcnt(2)
	v_mul_f32_e32 v51, v9, v3
	v_add_f32_e32 v54, v71, v69
	v_fmac_f32_e32 v73, v55, v52
	v_add_f32_e32 v55, v72, v50
	v_add_f32_e32 v7, v66, v7
	v_fma_f32 v69, v8, v2, -v51
	ds_read2_b64 v[50:53], v45 offset0:192 offset1:208
	v_mul_f32_e32 v66, v8, v3
	v_mul_f32_e32 v71, v9, v5
	v_add_f32_e32 v31, v31, v73
	v_add_f32_e32 v68, v68, v69
	v_mul_f32_e32 v69, v8, v5
	v_fmac_f32_e32 v66, v9, v2
	v_fma_f32 v8, v8, v4, -v71
	v_mul_f32_e32 v71, v57, v3
	v_mul_f32_e32 v3, v56, v3
	v_fmac_f32_e32 v69, v9, v4
	v_add_f32_e32 v66, v67, v66
	v_add_f32_e32 v6, v6, v8
	v_fma_f32 v8, v56, v2, -v71
	v_fmac_f32_e32 v3, v57, v2
	v_mul_f32_e32 v2, v57, v5
	v_mul_f32_e32 v67, v56, v5
	v_add_f32_e32 v9, v70, v69
	v_add_f32_e32 v8, v54, v8
	;; [unrolled: 1-line block ×3, first 2 shown]
	v_fma_f32 v54, v56, v4, -v2
	s_waitcnt lgkmcnt(0)
	v_mul_f32_e32 v56, v59, v51
	v_fmac_f32_e32 v67, v57, v4
	ds_read2_b64 v[2:5], v45 offset0:224 offset1:240
	v_mul_f32_e32 v69, v58, v53
	v_add_f32_e32 v54, v55, v54
	v_fma_f32 v55, v58, v50, -v56
	v_mul_f32_e32 v56, v59, v53
	v_mul_f32_e32 v57, v58, v51
	v_fmac_f32_e32 v69, v59, v52
	v_add_f32_e32 v31, v31, v67
	v_add_f32_e32 v55, v68, v55
	v_fma_f32 v56, v58, v52, -v56
	v_mul_f32_e32 v58, v63, v51
	v_mul_f32_e32 v51, v62, v51
	v_fmac_f32_e32 v57, v59, v50
	v_add_f32_e32 v59, v9, v69
	v_add_f32_e32 v56, v6, v56
	v_mul_f32_e32 v6, v63, v53
	v_fma_f32 v9, v62, v50, -v58
	v_fmac_f32_e32 v51, v63, v50
	v_mul_f32_e32 v58, v62, v53
	v_add_f32_e32 v57, v66, v57
	v_fma_f32 v6, v62, v52, -v6
	s_waitcnt lgkmcnt(0)
	v_mul_f32_e32 v50, v61, v3
	v_add_f32_e32 v62, v8, v9
	v_add_f32_e32 v66, v7, v51
	v_fmac_f32_e32 v58, v63, v52
	v_add_f32_e32 v63, v54, v6
	v_fma_f32 v54, v60, v2, -v50
	ds_read_b128 v[6:9], v39 offset:128
	ds_read2_b64 v[50:53], v46 offset1:16
	v_mul_f32_e32 v67, v60, v3
	v_mul_f32_e32 v68, v61, v5
	v_add_f32_e32 v31, v31, v58
	v_mul_f32_e32 v58, v60, v5
	v_add_f32_e32 v69, v55, v54
	v_mul_f32_e32 v55, v65, v3
	v_fmac_f32_e32 v67, v61, v2
	v_fma_f32 v54, v60, v4, -v68
	v_fmac_f32_e32 v58, v61, v4
	v_mul_f32_e32 v3, v64, v3
	v_fma_f32 v60, v64, v2, -v55
	v_mul_f32_e32 v61, v65, v5
	v_add_f32_e32 v67, v57, v67
	v_add_f32_e32 v68, v56, v54
	v_fmac_f32_e32 v3, v65, v2
	ds_read_b128 v[54:57], v39 offset:4224
	v_add_f32_e32 v71, v62, v60
	v_fma_f32 v2, v64, v4, -v61
	v_mul_f32_e32 v62, v64, v5
	s_waitcnt lgkmcnt(1)
	v_mul_f32_e32 v5, v7, v51
	v_add_f32_e32 v66, v66, v3
	v_mul_f32_e32 v64, v6, v51
	v_add_f32_e32 v72, v63, v2
	v_fmac_f32_e32 v62, v65, v4
	v_fma_f32 v63, v6, v50, -v5
	ds_read2_b64 v[2:5], v46 offset0:32 offset1:48
	v_mul_f32_e32 v65, v7, v53
	v_mul_f32_e32 v73, v6, v53
	v_add_f32_e32 v70, v59, v58
	ds_read_b128 v[58:61], v39 offset:144
	v_fmac_f32_e32 v64, v7, v50
	v_fma_f32 v6, v6, v52, -v65
	v_fmac_f32_e32 v73, v7, v52
	v_add_f32_e32 v69, v69, v63
	v_add_f32_e32 v31, v31, v62
	s_waitcnt lgkmcnt(2)
	v_mul_f32_e32 v74, v55, v51
	v_mul_f32_e32 v7, v54, v51
	;; [unrolled: 1-line block ×3, first 2 shown]
	v_add_f32_e32 v6, v68, v6
	v_add_f32_e32 v70, v70, v73
	v_fma_f32 v68, v54, v50, -v74
	v_fmac_f32_e32 v7, v55, v50
	v_mul_f32_e32 v73, v54, v53
	v_fma_f32 v50, v54, v52, -v51
	v_add_f32_e32 v67, v67, v64
	s_waitcnt lgkmcnt(1)
	v_mul_f32_e32 v51, v9, v3
	v_add_f32_e32 v54, v71, v68
	v_fmac_f32_e32 v73, v55, v52
	v_add_f32_e32 v55, v72, v50
	v_add_f32_e32 v7, v66, v7
	v_fma_f32 v68, v8, v2, -v51
	ds_read2_b64 v[50:53], v46 offset0:64 offset1:80
	v_mul_f32_e32 v66, v8, v3
	v_mul_f32_e32 v71, v9, v5
	ds_read_b128 v[62:65], v39 offset:4240
	v_add_f32_e32 v68, v69, v68
	v_mul_f32_e32 v69, v8, v5
	v_fmac_f32_e32 v66, v9, v2
	v_fma_f32 v8, v8, v4, -v71
	v_mul_f32_e32 v71, v57, v3
	v_mul_f32_e32 v3, v56, v3
	v_fmac_f32_e32 v69, v9, v4
	v_add_f32_e32 v66, v67, v66
	v_add_f32_e32 v6, v6, v8
	v_fma_f32 v8, v56, v2, -v71
	v_fmac_f32_e32 v3, v57, v2
	v_mul_f32_e32 v2, v57, v5
	v_mul_f32_e32 v67, v56, v5
	v_add_f32_e32 v9, v70, v69
	v_add_f32_e32 v8, v54, v8
	;; [unrolled: 1-line block ×3, first 2 shown]
	v_fma_f32 v54, v56, v4, -v2
	s_waitcnt lgkmcnt(1)
	v_mul_f32_e32 v56, v59, v51
	v_fmac_f32_e32 v67, v57, v4
	ds_read2_b64 v[2:5], v46 offset0:96 offset1:112
	v_mul_f32_e32 v69, v58, v53
	v_add_f32_e32 v54, v55, v54
	v_fma_f32 v55, v58, v50, -v56
	v_mul_f32_e32 v56, v59, v53
	v_mul_f32_e32 v57, v58, v51
	v_fmac_f32_e32 v69, v59, v52
	v_add_f32_e32 v31, v31, v73
	v_add_f32_e32 v55, v68, v55
	v_fma_f32 v56, v58, v52, -v56
	s_waitcnt lgkmcnt(1)
	v_mul_f32_e32 v58, v63, v51
	v_mul_f32_e32 v51, v62, v51
	v_fmac_f32_e32 v57, v59, v50
	v_add_f32_e32 v59, v9, v69
	v_add_f32_e32 v56, v6, v56
	v_mul_f32_e32 v6, v63, v53
	v_fma_f32 v9, v62, v50, -v58
	v_fmac_f32_e32 v51, v63, v50
	v_mul_f32_e32 v58, v62, v53
	v_add_f32_e32 v57, v66, v57
	v_fma_f32 v6, v62, v52, -v6
	s_waitcnt lgkmcnt(0)
	v_mul_f32_e32 v50, v61, v3
	v_add_f32_e32 v62, v8, v9
	v_add_f32_e32 v66, v7, v51
	v_fmac_f32_e32 v58, v63, v52
	v_add_f32_e32 v63, v54, v6
	v_fma_f32 v54, v60, v2, -v50
	ds_read_b128 v[6:9], v39 offset:160
	ds_read2_b64 v[50:53], v46 offset0:128 offset1:144
	v_add_f32_e32 v31, v31, v67
	v_mul_f32_e32 v67, v60, v3
	v_mul_f32_e32 v68, v61, v5
	v_add_f32_e32 v69, v55, v54
	v_mul_f32_e32 v55, v65, v3
	v_add_f32_e32 v31, v31, v58
	v_mul_f32_e32 v58, v60, v5
	v_fmac_f32_e32 v67, v61, v2
	v_fma_f32 v54, v60, v4, -v68
	v_mul_f32_e32 v3, v64, v3
	v_fma_f32 v60, v64, v2, -v55
	v_fmac_f32_e32 v58, v61, v4
	v_mul_f32_e32 v61, v65, v5
	v_add_f32_e32 v67, v57, v67
	v_add_f32_e32 v68, v56, v54
	v_fmac_f32_e32 v3, v65, v2
	ds_read_b128 v[54:57], v39 offset:4256
	v_add_f32_e32 v71, v62, v60
	v_fma_f32 v2, v64, v4, -v61
	v_mul_f32_e32 v62, v64, v5
	s_waitcnt lgkmcnt(1)
	v_mul_f32_e32 v5, v7, v51
	v_add_f32_e32 v66, v66, v3
	v_mul_f32_e32 v64, v6, v51
	v_add_f32_e32 v72, v63, v2
	v_fmac_f32_e32 v62, v65, v4
	v_fma_f32 v63, v6, v50, -v5
	ds_read2_b64 v[2:5], v46 offset0:160 offset1:176
	v_mul_f32_e32 v65, v7, v53
	v_mul_f32_e32 v73, v6, v53
	v_add_f32_e32 v70, v59, v58
	ds_read_b128 v[58:61], v39 offset:176
	v_fmac_f32_e32 v64, v7, v50
	v_fma_f32 v6, v6, v52, -v65
	v_fmac_f32_e32 v73, v7, v52
	v_add_f32_e32 v69, v69, v63
	v_add_f32_e32 v31, v31, v62
	s_waitcnt lgkmcnt(2)
	v_mul_f32_e32 v74, v55, v51
	v_mul_f32_e32 v7, v54, v51
	v_mul_f32_e32 v51, v55, v53
	v_add_f32_e32 v6, v68, v6
	v_add_f32_e32 v70, v70, v73
	v_fma_f32 v68, v54, v50, -v74
	v_fmac_f32_e32 v7, v55, v50
	v_mul_f32_e32 v73, v54, v53
	v_fma_f32 v50, v54, v52, -v51
	v_add_f32_e32 v67, v67, v64
	s_waitcnt lgkmcnt(1)
	v_mul_f32_e32 v51, v9, v3
	v_add_f32_e32 v54, v71, v68
	v_fmac_f32_e32 v73, v55, v52
	v_add_f32_e32 v55, v72, v50
	v_add_f32_e32 v7, v66, v7
	v_fma_f32 v68, v8, v2, -v51
	ds_read2_b64 v[50:53], v46 offset0:192 offset1:208
	v_mul_f32_e32 v66, v8, v3
	v_mul_f32_e32 v71, v9, v5
	ds_read_b128 v[62:65], v39 offset:4272
	v_add_f32_e32 v68, v69, v68
	v_mul_f32_e32 v69, v8, v5
	v_fmac_f32_e32 v66, v9, v2
	v_fma_f32 v8, v8, v4, -v71
	v_mul_f32_e32 v71, v57, v3
	v_mul_f32_e32 v3, v56, v3
	v_fmac_f32_e32 v69, v9, v4
	v_add_f32_e32 v66, v67, v66
	v_add_f32_e32 v6, v6, v8
	v_fma_f32 v8, v56, v2, -v71
	v_fmac_f32_e32 v3, v57, v2
	v_mul_f32_e32 v2, v57, v5
	v_mul_f32_e32 v67, v56, v5
	v_add_f32_e32 v9, v70, v69
	v_add_f32_e32 v8, v54, v8
	;; [unrolled: 1-line block ×3, first 2 shown]
	v_fma_f32 v54, v56, v4, -v2
	s_waitcnt lgkmcnt(1)
	v_mul_f32_e32 v56, v59, v51
	v_fmac_f32_e32 v67, v57, v4
	ds_read2_b64 v[2:5], v46 offset0:224 offset1:240
	v_mul_f32_e32 v69, v58, v53
	v_add_f32_e32 v54, v55, v54
	v_fma_f32 v55, v58, v50, -v56
	v_mul_f32_e32 v56, v59, v53
	v_mul_f32_e32 v57, v58, v51
	v_fmac_f32_e32 v69, v59, v52
	v_add_f32_e32 v31, v31, v73
	v_add_f32_e32 v55, v68, v55
	v_fma_f32 v56, v58, v52, -v56
	s_waitcnt lgkmcnt(1)
	v_mul_f32_e32 v58, v63, v51
	v_mul_f32_e32 v51, v62, v51
	v_fmac_f32_e32 v57, v59, v50
	v_add_f32_e32 v59, v9, v69
	v_add_f32_e32 v56, v6, v56
	v_mul_f32_e32 v6, v63, v53
	v_fma_f32 v9, v62, v50, -v58
	v_fmac_f32_e32 v51, v63, v50
	v_mul_f32_e32 v58, v62, v53
	v_add_f32_e32 v57, v66, v57
	v_fma_f32 v6, v62, v52, -v6
	s_waitcnt lgkmcnt(0)
	v_mul_f32_e32 v50, v61, v3
	v_add_f32_e32 v62, v8, v9
	v_add_f32_e32 v66, v7, v51
	v_fmac_f32_e32 v58, v63, v52
	v_add_f32_e32 v63, v54, v6
	v_fma_f32 v54, v60, v2, -v50
	ds_read_b128 v[6:9], v39 offset:192
	ds_read2_b64 v[50:53], v47 offset1:16
	v_add_f32_e32 v31, v31, v67
	v_mul_f32_e32 v67, v60, v3
	v_mul_f32_e32 v68, v61, v5
	v_add_f32_e32 v69, v55, v54
	v_mul_f32_e32 v55, v65, v3
	v_add_f32_e32 v31, v31, v58
	v_mul_f32_e32 v58, v60, v5
	v_fmac_f32_e32 v67, v61, v2
	v_fma_f32 v54, v60, v4, -v68
	v_mul_f32_e32 v3, v64, v3
	v_fma_f32 v60, v64, v2, -v55
	v_fmac_f32_e32 v58, v61, v4
	v_mul_f32_e32 v61, v65, v5
	v_add_f32_e32 v67, v57, v67
	v_add_f32_e32 v68, v56, v54
	v_fmac_f32_e32 v3, v65, v2
	ds_read_b128 v[54:57], v39 offset:4288
	v_add_f32_e32 v71, v62, v60
	v_fma_f32 v2, v64, v4, -v61
	v_mul_f32_e32 v62, v64, v5
	s_waitcnt lgkmcnt(1)
	v_mul_f32_e32 v5, v7, v51
	v_add_f32_e32 v66, v66, v3
	v_mul_f32_e32 v64, v6, v51
	v_add_f32_e32 v72, v63, v2
	v_fmac_f32_e32 v62, v65, v4
	v_fma_f32 v63, v6, v50, -v5
	ds_read2_b64 v[2:5], v47 offset0:32 offset1:48
	v_mul_f32_e32 v65, v7, v53
	v_mul_f32_e32 v73, v6, v53
	v_add_f32_e32 v70, v59, v58
	ds_read_b128 v[58:61], v39 offset:208
	v_fmac_f32_e32 v64, v7, v50
	v_fma_f32 v6, v6, v52, -v65
	v_fmac_f32_e32 v73, v7, v52
	v_add_f32_e32 v69, v69, v63
	v_add_f32_e32 v31, v31, v62
	s_waitcnt lgkmcnt(2)
	v_mul_f32_e32 v74, v55, v51
	v_mul_f32_e32 v7, v54, v51
	;; [unrolled: 1-line block ×3, first 2 shown]
	v_add_f32_e32 v6, v68, v6
	v_add_f32_e32 v70, v70, v73
	v_fma_f32 v68, v54, v50, -v74
	v_fmac_f32_e32 v7, v55, v50
	v_mul_f32_e32 v73, v54, v53
	v_fma_f32 v50, v54, v52, -v51
	v_add_f32_e32 v67, v67, v64
	s_waitcnt lgkmcnt(1)
	v_mul_f32_e32 v51, v9, v3
	v_add_f32_e32 v54, v71, v68
	v_fmac_f32_e32 v73, v55, v52
	v_add_f32_e32 v55, v72, v50
	v_add_f32_e32 v7, v66, v7
	v_fma_f32 v68, v8, v2, -v51
	ds_read2_b64 v[50:53], v47 offset0:64 offset1:80
	v_mul_f32_e32 v66, v8, v3
	v_mul_f32_e32 v71, v9, v5
	ds_read_b128 v[62:65], v39 offset:4304
	v_add_f32_e32 v68, v69, v68
	v_mul_f32_e32 v69, v8, v5
	v_fmac_f32_e32 v66, v9, v2
	v_fma_f32 v8, v8, v4, -v71
	v_mul_f32_e32 v71, v57, v3
	v_mul_f32_e32 v3, v56, v3
	v_fmac_f32_e32 v69, v9, v4
	v_add_f32_e32 v66, v67, v66
	v_add_f32_e32 v6, v6, v8
	v_fma_f32 v8, v56, v2, -v71
	v_fmac_f32_e32 v3, v57, v2
	v_mul_f32_e32 v2, v57, v5
	v_mul_f32_e32 v67, v56, v5
	v_add_f32_e32 v9, v70, v69
	v_add_f32_e32 v8, v54, v8
	;; [unrolled: 1-line block ×3, first 2 shown]
	v_fma_f32 v54, v56, v4, -v2
	s_waitcnt lgkmcnt(1)
	v_mul_f32_e32 v56, v59, v51
	v_fmac_f32_e32 v67, v57, v4
	ds_read2_b64 v[2:5], v47 offset0:96 offset1:112
	v_mul_f32_e32 v69, v58, v53
	v_add_f32_e32 v54, v55, v54
	v_fma_f32 v55, v58, v50, -v56
	v_mul_f32_e32 v56, v59, v53
	v_mul_f32_e32 v57, v58, v51
	v_fmac_f32_e32 v69, v59, v52
	v_add_f32_e32 v31, v31, v73
	v_add_f32_e32 v55, v68, v55
	v_fma_f32 v56, v58, v52, -v56
	s_waitcnt lgkmcnt(1)
	v_mul_f32_e32 v58, v63, v51
	v_mul_f32_e32 v51, v62, v51
	v_fmac_f32_e32 v57, v59, v50
	v_add_f32_e32 v59, v9, v69
	v_add_f32_e32 v56, v6, v56
	v_mul_f32_e32 v6, v63, v53
	v_fma_f32 v9, v62, v50, -v58
	v_fmac_f32_e32 v51, v63, v50
	v_mul_f32_e32 v58, v62, v53
	v_add_f32_e32 v31, v31, v67
	v_fma_f32 v6, v62, v52, -v6
	s_waitcnt lgkmcnt(0)
	v_mul_f32_e32 v50, v61, v3
	v_add_f32_e32 v57, v66, v57
	v_add_f32_e32 v62, v8, v9
	;; [unrolled: 1-line block ×3, first 2 shown]
	v_fmac_f32_e32 v58, v63, v52
	v_add_f32_e32 v63, v54, v6
	v_fma_f32 v54, v60, v2, -v50
	ds_read_b128 v[6:9], v39 offset:224
	ds_read2_b64 v[50:53], v47 offset0:128 offset1:144
	v_mul_f32_e32 v67, v60, v3
	v_mul_f32_e32 v68, v61, v5
	v_add_f32_e32 v31, v31, v58
	v_mul_f32_e32 v58, v60, v5
	v_fmac_f32_e32 v67, v61, v2
	v_fma_f32 v60, v60, v4, -v68
	v_add_f32_e32 v68, v55, v54
	v_mul_f32_e32 v54, v65, v3
	v_fmac_f32_e32 v58, v61, v4
	v_add_f32_e32 v67, v57, v67
	v_add_f32_e32 v69, v56, v60
	v_mul_f32_e32 v3, v64, v3
	v_fma_f32 v60, v64, v2, -v54
	v_add_f32_e32 v70, v59, v58
	v_mul_f32_e32 v58, v65, v5
	ds_read_b128 v[54:57], v39 offset:4320
	v_fmac_f32_e32 v3, v65, v2
	v_add_f32_e32 v71, v62, v60
	v_mul_f32_e32 v62, v64, v5
	v_fma_f32 v2, v64, v4, -v58
	s_waitcnt lgkmcnt(1)
	v_mul_f32_e32 v5, v7, v51
	v_add_f32_e32 v66, v66, v3
	v_mul_f32_e32 v64, v7, v53
	v_fmac_f32_e32 v62, v65, v4
	v_add_f32_e32 v72, v63, v2
	v_fma_f32 v63, v6, v50, -v5
	ds_read2_b64 v[2:5], v47 offset0:160 offset1:176
	ds_read_b128 v[58:61], v39 offset:240
	v_mul_f32_e32 v73, v6, v51
	v_mul_f32_e32 v74, v6, v53
	v_fma_f32 v6, v6, v52, -v64
	v_add_f32_e32 v68, v68, v63
	v_add_f32_e32 v31, v31, v62
	v_fmac_f32_e32 v73, v7, v50
	v_fmac_f32_e32 v74, v7, v52
	s_waitcnt lgkmcnt(2)
	v_mul_f32_e32 v75, v55, v51
	v_mul_f32_e32 v7, v54, v51
	v_add_f32_e32 v6, v69, v6
	v_mul_f32_e32 v69, v55, v53
	v_add_f32_e32 v67, v67, v73
	v_fma_f32 v51, v54, v50, -v75
	v_fmac_f32_e32 v7, v55, v50
	v_mul_f32_e32 v73, v54, v53
	v_fma_f32 v50, v54, v52, -v69
	ds_read_b128 v[62:65], v39 offset:4336
	v_add_f32_e32 v71, v71, v51
	s_waitcnt lgkmcnt(2)
	v_mul_f32_e32 v51, v9, v3
	v_add_f32_e32 v7, v66, v7
	v_fmac_f32_e32 v73, v55, v52
	v_mul_f32_e32 v54, v8, v3
	v_add_f32_e32 v55, v72, v50
	v_fma_f32 v66, v8, v2, -v51
	ds_read2_b64 v[50:53], v47 offset0:192 offset1:208
	v_mul_f32_e32 v69, v9, v5
	v_fmac_f32_e32 v54, v9, v2
	v_add_f32_e32 v70, v70, v74
	v_add_f32_e32 v66, v68, v66
	v_mul_f32_e32 v68, v8, v5
	v_fma_f32 v8, v8, v4, -v69
	v_add_f32_e32 v54, v67, v54
	v_mul_f32_e32 v67, v57, v3
	v_mul_f32_e32 v3, v56, v3
	v_fmac_f32_e32 v68, v9, v4
	v_add_f32_e32 v6, v6, v8
	v_mul_f32_e32 v8, v57, v5
	v_fma_f32 v9, v56, v2, -v67
	v_fmac_f32_e32 v3, v57, v2
	v_add_f32_e32 v67, v70, v68
	v_mul_f32_e32 v68, v56, v5
	v_fma_f32 v2, v56, v4, -v8
	v_add_f32_e32 v8, v71, v9
	v_add_f32_e32 v7, v7, v3
	s_waitcnt lgkmcnt(0)
	v_mul_f32_e32 v9, v59, v51
	v_fmac_f32_e32 v68, v57, v4
	v_add_f32_e32 v55, v55, v2
	ds_read2_b64 v[2:5], v47 offset0:224 offset1:240
	v_mul_f32_e32 v56, v58, v51
	v_fma_f32 v9, v58, v50, -v9
	v_mul_f32_e32 v57, v59, v53
	v_add_f32_e32 v31, v31, v73
	s_waitcnt lgkmcnt(0)
	v_fmac_f32_e32 v56, v59, v50
	v_add_f32_e32 v9, v66, v9
	v_mul_f32_e32 v66, v63, v51
	v_fma_f32 v57, v58, v52, -v57
	v_mul_f32_e32 v51, v62, v51
	v_add_f32_e32 v54, v54, v56
	v_add_f32_e32 v31, v31, v68
	v_fma_f32 v56, v62, v50, -v66
	v_mul_f32_e32 v68, v58, v53
	v_add_f32_e32 v6, v6, v57
	v_mul_f32_e32 v57, v63, v53
	v_fmac_f32_e32 v51, v63, v50
	v_add_f32_e32 v8, v8, v56
	v_mul_f32_e32 v50, v62, v53
	v_mul_f32_e32 v56, v61, v3
	v_fmac_f32_e32 v68, v59, v52
	v_fma_f32 v53, v62, v52, -v57
	v_add_f32_e32 v7, v7, v51
	v_fmac_f32_e32 v50, v63, v52
	v_fma_f32 v51, v60, v2, -v56
	v_mul_f32_e32 v52, v61, v5
	v_mul_f32_e32 v57, v60, v3
	v_add_f32_e32 v59, v55, v53
	v_mul_f32_e32 v62, v60, v5
	v_add_f32_e32 v31, v31, v50
	v_add_f32_e32 v55, v9, v51
	v_fma_f32 v9, v60, v4, -v52
	v_mul_f32_e32 v50, v65, v3
	v_mul_f32_e32 v3, v64, v3
	;; [unrolled: 1-line block ×4, first 2 shown]
	v_add_f32_e32 v58, v67, v68
	v_fmac_f32_e32 v57, v61, v2
	v_fmac_f32_e32 v62, v61, v4
	v_add_f32_e32 v53, v6, v9
	v_fma_f32 v6, v64, v2, -v50
	v_fmac_f32_e32 v3, v65, v2
	v_fma_f32 v2, v64, v4, -v51
	v_fmac_f32_e32 v5, v65, v4
	v_add_f32_e32 v56, v54, v57
	v_add_f32_e32 v54, v58, v62
	;; [unrolled: 1-line block ×6, first 2 shown]
	s_barrier
	buffer_gl0_inv
	s_cbranch_scc1 .LBB77_56
.LBB77_7:                               ;   Parent Loop BB77_4 Depth=1
                                        ; =>  This Inner Loop Header: Depth=2
	v_add_co_u32 v4, s5, v12, s16
	v_add_co_ci_u32_e64 v5, null, s17, v13, s5
	v_cmp_eq_u64_e64 s8, s[16:17], v[18:19]
	v_cmp_le_i64_e64 s6, s[10:11], v[4:5]
	v_cmp_lt_i64_e64 s5, v[4:5], v[10:11]
	s_and_b32 s23, s28, s8
	v_add_co_u32 v2, s8, v0, s12
	v_add_co_ci_u32_e64 v3, null, s13, v42, s8
	s_or_b32 s9, s6, s5
	s_or_b32 s8, s9, s23
	s_nor_b32 s8, s0, s8
	s_and_saveexec_b32 s9, s8
	s_xor_b32 s8, exec_lo, s9
	s_cbranch_execz .LBB77_9
; %bb.8:                                ;   in Loop: Header=BB77_7 Depth=2
	global_load_dwordx2 v[6:7], v[2:3], off
	s_waitcnt vmcnt(0)
	ds_write_b64 v40, v[6:7]
.LBB77_9:                               ;   in Loop: Header=BB77_7 Depth=2
	s_or_saveexec_b32 s8, s8
	s_xor_b32 s22, s23, -1
	s_xor_b32 exec_lo, exec_lo, s8
	s_cbranch_execz .LBB77_15
; %bb.10:                               ;   in Loop: Header=BB77_7 Depth=2
	s_and_saveexec_b32 s9, s22
	s_xor_b32 s9, exec_lo, s9
; %bb.11:                               ;   in Loop: Header=BB77_7 Depth=2
	v_mov_b32_e32 v6, v33
	v_mov_b32_e32 v7, v33
	ds_write_b64 v40, v[6:7]
; %bb.12:                               ;   in Loop: Header=BB77_7 Depth=2
	s_andn2_saveexec_b32 s9, s9
; %bb.13:                               ;   in Loop: Header=BB77_7 Depth=2
	ds_write_b64 v40, v[32:33]
; %bb.14:                               ;   in Loop: Header=BB77_7 Depth=2
	s_or_b32 exec_lo, exec_lo, s9
.LBB77_15:                              ;   in Loop: Header=BB77_7 Depth=2
	s_or_b32 exec_lo, exec_lo, s8
	v_cmp_eq_u64_e64 s8, s[16:17], v[20:21]
	v_cmp_gt_i64_e64 s9, v[16:17], v[4:5]
	s_and_b32 s8, s28, s8
	s_or_b32 s6, s6, s9
	s_or_b32 s6, s6, s8
	s_nor_b32 s6, s3, s6
	s_and_saveexec_b32 s9, s6
	s_xor_b32 s9, exec_lo, s9
	s_cbranch_execz .LBB77_17
; %bb.16:                               ;   in Loop: Header=BB77_7 Depth=2
	v_add_co_u32 v6, s6, v43, s12
	v_add_co_ci_u32_e64 v7, null, s13, v44, s6
	global_load_dwordx2 v[6:7], v[6:7], off
	s_waitcnt vmcnt(0)
	ds_write_b64 v40, v[6:7] offset:128
.LBB77_17:                              ;   in Loop: Header=BB77_7 Depth=2
	s_andn2_saveexec_b32 s6, s9
	s_cbranch_execz .LBB77_23
; %bb.18:                               ;   in Loop: Header=BB77_7 Depth=2
	s_xor_b32 s8, s8, -1
	s_and_saveexec_b32 s9, s8
	s_xor_b32 s8, exec_lo, s9
; %bb.19:                               ;   in Loop: Header=BB77_7 Depth=2
	v_mov_b32_e32 v6, v33
	v_mov_b32_e32 v7, v33
	ds_write_b64 v40, v[6:7] offset:128
; %bb.20:                               ;   in Loop: Header=BB77_7 Depth=2
	s_andn2_saveexec_b32 s8, s8
; %bb.21:                               ;   in Loop: Header=BB77_7 Depth=2
	ds_write_b64 v40, v[32:33] offset:128
; %bb.22:                               ;   in Loop: Header=BB77_7 Depth=2
	s_or_b32 exec_lo, exec_lo, s8
.LBB77_23:                              ;   in Loop: Header=BB77_7 Depth=2
	s_or_b32 exec_lo, exec_lo, s6
	v_add_co_u32 v4, s6, v4, 16
	v_add_co_ci_u32_e64 v5, null, 0, v5, s6
	v_cmp_eq_u64_e64 s8, s[16:17], v[24:25]
	v_cmp_le_i64_e64 s6, s[10:11], v[4:5]
	v_cmp_lt_i64_e64 s9, v[4:5], v[10:11]
	s_and_b32 s29, s28, s8
	s_or_b32 s8, s6, s9
	s_or_b32 s8, s8, s29
	s_nor_b32 s8, s0, s8
	s_and_saveexec_b32 s9, s8
	s_xor_b32 s8, exec_lo, s9
	s_cbranch_execz .LBB77_25
; %bb.24:                               ;   in Loop: Header=BB77_7 Depth=2
	global_load_dwordx2 v[2:3], v[2:3], off offset:128
	s_waitcnt vmcnt(0)
	ds_write_b64 v40, v[2:3] offset:4096
.LBB77_25:                              ;   in Loop: Header=BB77_7 Depth=2
	s_andn2_saveexec_b32 s8, s8
	s_cbranch_execz .LBB77_31
; %bb.26:                               ;   in Loop: Header=BB77_7 Depth=2
	s_xor_b32 s9, s29, -1
	s_and_saveexec_b32 s29, s9
	s_xor_b32 s9, exec_lo, s29
; %bb.27:                               ;   in Loop: Header=BB77_7 Depth=2
	v_mov_b32_e32 v2, v33
	v_mov_b32_e32 v3, v33
	ds_write_b64 v40, v[2:3] offset:4096
; %bb.28:                               ;   in Loop: Header=BB77_7 Depth=2
	s_andn2_saveexec_b32 s9, s9
; %bb.29:                               ;   in Loop: Header=BB77_7 Depth=2
	ds_write_b64 v40, v[32:33] offset:4096
; %bb.30:                               ;   in Loop: Header=BB77_7 Depth=2
	s_or_b32 exec_lo, exec_lo, s9
.LBB77_31:                              ;   in Loop: Header=BB77_7 Depth=2
	s_or_b32 exec_lo, exec_lo, s8
	s_or_b32 s5, s6, s5
	s_or_b32 s5, s5, s23
	s_nor_b32 s5, s3, s5
	s_and_saveexec_b32 s6, s5
	s_xor_b32 s6, exec_lo, s6
	s_cbranch_execz .LBB77_33
; %bb.32:                               ;   in Loop: Header=BB77_7 Depth=2
	v_add_co_u32 v2, s5, v43, s12
	v_add_co_ci_u32_e64 v3, null, s13, v44, s5
	global_load_dwordx2 v[2:3], v[2:3], off offset:128
	s_waitcnt vmcnt(0)
	ds_write_b64 v40, v[2:3] offset:4224
.LBB77_33:                              ;   in Loop: Header=BB77_7 Depth=2
	s_andn2_saveexec_b32 s5, s6
	s_cbranch_execz .LBB77_39
; %bb.34:                               ;   in Loop: Header=BB77_7 Depth=2
	s_and_saveexec_b32 s6, s22
	s_xor_b32 s6, exec_lo, s6
; %bb.35:                               ;   in Loop: Header=BB77_7 Depth=2
	v_mov_b32_e32 v2, v33
	v_mov_b32_e32 v3, v33
	ds_write_b64 v40, v[2:3] offset:4224
; %bb.36:                               ;   in Loop: Header=BB77_7 Depth=2
	s_andn2_saveexec_b32 s6, s6
; %bb.37:                               ;   in Loop: Header=BB77_7 Depth=2
	ds_write_b64 v40, v[32:33] offset:4224
; %bb.38:                               ;   in Loop: Header=BB77_7 Depth=2
	s_or_b32 exec_lo, exec_lo, s6
.LBB77_39:                              ;   in Loop: Header=BB77_7 Depth=2
	s_or_b32 exec_lo, exec_lo, s5
	v_add_co_u32 v2, s5, v10, s16
	v_add_co_ci_u32_e64 v3, null, s17, v11, s5
	v_cmp_gt_i64_e64 s5, s[10:11], v[2:3]
	s_and_b32 s6, vcc_lo, s5
	s_xor_b32 s6, s6, -1
	s_and_saveexec_b32 s8, s6
	s_xor_b32 s6, exec_lo, s8
; %bb.40:                               ;   in Loop: Header=BB77_7 Depth=2
	v_mov_b32_e32 v4, v33
	v_mov_b32_e32 v5, v33
	ds_write_b64 v41, v[4:5]
; %bb.41:                               ;   in Loop: Header=BB77_7 Depth=2
	s_or_saveexec_b32 s8, s6
	v_add_co_u32 v4, s6, v34, s12
	v_add_co_ci_u32_e64 v5, null, s13, v35, s6
	s_xor_b32 exec_lo, exec_lo, s8
	s_cbranch_execz .LBB77_43
; %bb.42:                               ;   in Loop: Header=BB77_7 Depth=2
	global_load_dwordx2 v[6:7], v[4:5], off offset:-128
	s_waitcnt vmcnt(0)
	ds_write_b64 v41, v[6:7]
.LBB77_43:                              ;   in Loop: Header=BB77_7 Depth=2
	s_or_b32 exec_lo, exec_lo, s8
	v_cmp_gt_i64_e64 s6, s[14:15], v[2:3]
	s_and_b32 s8, vcc_lo, s6
	s_xor_b32 s8, s8, -1
	s_and_saveexec_b32 s9, s8
	s_xor_b32 s8, exec_lo, s9
; %bb.44:                               ;   in Loop: Header=BB77_7 Depth=2
	v_mov_b32_e32 v2, v33
	v_mov_b32_e32 v3, v33
                                        ; implicit-def: $vgpr4_vgpr5
	ds_write_b64 v41, v[2:3] offset:128
; %bb.45:                               ;   in Loop: Header=BB77_7 Depth=2
	s_andn2_saveexec_b32 s8, s8
	s_cbranch_execz .LBB77_47
; %bb.46:                               ;   in Loop: Header=BB77_7 Depth=2
	global_load_dwordx2 v[2:3], v[4:5], off
	s_waitcnt vmcnt(0)
	ds_write_b64 v41, v[2:3] offset:128
.LBB77_47:                              ;   in Loop: Header=BB77_7 Depth=2
	s_or_b32 exec_lo, exec_lo, s8
	s_and_b32 s5, s4, s5
	s_xor_b32 s5, s5, -1
	s_and_saveexec_b32 s8, s5
	s_xor_b32 s5, exec_lo, s8
; %bb.48:                               ;   in Loop: Header=BB77_7 Depth=2
	v_mov_b32_e32 v2, v33
	v_mov_b32_e32 v3, v33
	ds_write_b64 v41, v[2:3] offset:4096
; %bb.49:                               ;   in Loop: Header=BB77_7 Depth=2
	s_or_saveexec_b32 s8, s5
	v_add_co_u32 v2, s5, v36, s12
	v_add_co_ci_u32_e64 v3, null, s13, v37, s5
	s_xor_b32 exec_lo, exec_lo, s8
	s_cbranch_execz .LBB77_51
; %bb.50:                               ;   in Loop: Header=BB77_7 Depth=2
	global_load_dwordx2 v[4:5], v[2:3], off
	s_waitcnt vmcnt(0)
	ds_write_b64 v41, v[4:5] offset:4096
.LBB77_51:                              ;   in Loop: Header=BB77_7 Depth=2
	s_or_b32 exec_lo, exec_lo, s8
	s_and_b32 s5, s4, s6
	s_xor_b32 s5, s5, -1
	s_and_saveexec_b32 s6, s5
	s_xor_b32 s5, exec_lo, s6
; %bb.52:                               ;   in Loop: Header=BB77_7 Depth=2
	v_mov_b32_e32 v2, v33
	v_mov_b32_e32 v3, v33
	ds_write_b64 v41, v[2:3] offset:4224
                                        ; implicit-def: $vgpr2_vgpr3
; %bb.53:                               ;   in Loop: Header=BB77_7 Depth=2
	s_andn2_saveexec_b32 s5, s5
	s_cbranch_execz .LBB77_6
; %bb.54:                               ;   in Loop: Header=BB77_7 Depth=2
	global_load_dwordx2 v[2:3], v[2:3], off offset:128
	s_waitcnt vmcnt(0)
	ds_write_b64 v41, v[2:3] offset:4224
	s_branch .LBB77_6
.LBB77_55:                              ;   in Loop: Header=BB77_4 Depth=1
	v_mov_b32_e32 v55, 0
	v_mov_b32_e32 v56, 0
	;; [unrolled: 1-line block ×8, first 2 shown]
.LBB77_56:                              ;   in Loop: Header=BB77_4 Depth=1
	v_mul_lo_u32 v4, s41, v48
	v_mul_lo_u32 v5, s40, v49
	v_mad_u64_u32 v[2:3], null, s40, v48, 0
	v_cmp_gt_i32_e32 vcc_lo, s30, v48
	v_add3_u32 v3, v3, v5, v4
	v_lshlrev_b64 v[2:3], 3, v[2:3]
	v_add_co_u32 v2, s4, s27, v2
	v_add_co_ci_u32_e64 v3, null, s36, v3, s4
	s_and_b32 s4, s1, vcc_lo
	s_and_saveexec_b32 s5, s4
	s_cbranch_execz .LBB77_58
; %bb.57:                               ;   in Loop: Header=BB77_4 Depth=1
	v_add_co_u32 v4, s4, v2, v22
	v_add_co_ci_u32_e64 v5, null, v3, v23, s4
	v_mul_f32_e32 v8, s33, v56
	v_mul_f32_e32 v9, s31, v56
	global_load_dwordx2 v[6:7], v[4:5], off
	v_fma_f32 v8, v55, s31, -v8
	v_fmac_f32_e32 v9, s33, v55
	s_waitcnt vmcnt(0)
	v_add_f32_e32 v6, v6, v8
	v_add_f32_e32 v7, v9, v7
	global_store_dwordx2 v[4:5], v[6:7], off
.LBB77_58:                              ;   in Loop: Header=BB77_4 Depth=1
	s_or_b32 exec_lo, exec_lo, s5
	s_and_b32 s5, s2, vcc_lo
	s_and_saveexec_b32 s4, s5
	s_cbranch_execz .LBB77_60
; %bb.59:                               ;   in Loop: Header=BB77_4 Depth=1
	v_lshlrev_b64 v[4:5], 3, v[14:15]
	v_mul_f32_e32 v6, s33, v54
	v_mul_f32_e32 v7, s31, v54
	v_fma_f32 v6, v53, s31, -v6
	v_add_co_u32 v2, vcc_lo, v2, v4
	v_add_co_ci_u32_e64 v3, null, v3, v5, vcc_lo
	v_fmac_f32_e32 v7, s33, v53
	global_load_dwordx2 v[4:5], v[2:3], off
	s_waitcnt vmcnt(0)
	v_add_f32_e32 v4, v4, v6
	v_add_f32_e32 v5, v7, v5
	global_store_dwordx2 v[2:3], v[4:5], off
.LBB77_60:                              ;   in Loop: Header=BB77_4 Depth=1
	s_or_b32 exec_lo, exec_lo, s4
	v_add_nc_u32_e32 v4, 16, v48
	v_ashrrev_i32_e32 v5, 31, v4
	v_mul_lo_u32 v6, s41, v4
	v_mad_u64_u32 v[2:3], null, s40, v4, 0
	v_cmp_gt_i32_e32 vcc_lo, s30, v4
	v_mul_lo_u32 v5, s40, v5
	v_add3_u32 v3, v3, v5, v6
	v_lshlrev_b64 v[2:3], 3, v[2:3]
	v_add_co_u32 v2, s4, s27, v2
	v_add_co_ci_u32_e64 v3, null, s36, v3, s4
	s_and_b32 s4, s1, vcc_lo
	s_and_saveexec_b32 s5, s4
	s_cbranch_execz .LBB77_62
; %bb.61:                               ;   in Loop: Header=BB77_4 Depth=1
	v_add_co_u32 v4, s4, v2, v22
	v_add_co_ci_u32_e64 v5, null, v3, v23, s4
	v_mul_f32_e32 v8, s33, v51
	v_mul_f32_e32 v9, s31, v51
	global_load_dwordx2 v[6:7], v[4:5], off
	v_fma_f32 v8, v52, s31, -v8
	v_fmac_f32_e32 v9, s33, v52
	s_waitcnt vmcnt(0)
	v_add_f32_e32 v6, v6, v8
	v_add_f32_e32 v7, v9, v7
	global_store_dwordx2 v[4:5], v[6:7], off
.LBB77_62:                              ;   in Loop: Header=BB77_4 Depth=1
	s_or_b32 exec_lo, exec_lo, s5
	s_and_b32 s5, s2, vcc_lo
	s_and_saveexec_b32 s4, s5
	s_cbranch_execz .LBB77_3
; %bb.63:                               ;   in Loop: Header=BB77_4 Depth=1
	v_lshlrev_b64 v[4:5], 3, v[14:15]
	v_mul_f32_e32 v6, s33, v31
	v_mul_f32_e32 v7, s31, v31
	v_fma_f32 v6, v50, s31, -v6
	v_add_co_u32 v2, vcc_lo, v2, v4
	v_add_co_ci_u32_e64 v3, null, v3, v5, vcc_lo
	v_fmac_f32_e32 v7, s33, v50
	global_load_dwordx2 v[4:5], v[2:3], off
	s_waitcnt vmcnt(0)
	v_add_f32_e32 v4, v4, v6
	v_add_f32_e32 v5, v7, v5
	global_store_dwordx2 v[2:3], v[4:5], off
	s_branch .LBB77_3
.LBB77_64:
	s_endpgm
	.section	.rodata,"a",@progbits
	.p2align	6, 0x0
	.amdhsa_kernel _ZL30rocblas_trmm_outofplace_kernelI19rocblas_complex_numIfELi32ELi2ELb1ELb0ELb1ELb0ES1_KS1_S1_Ev17rocblas_diagonal_iiT6_lPT7_lllS6_lllPT8_llli
		.amdhsa_group_segment_fixed_size 16384
		.amdhsa_private_segment_fixed_size 0
		.amdhsa_kernarg_size 392
		.amdhsa_user_sgpr_count 6
		.amdhsa_user_sgpr_private_segment_buffer 1
		.amdhsa_user_sgpr_dispatch_ptr 0
		.amdhsa_user_sgpr_queue_ptr 0
		.amdhsa_user_sgpr_kernarg_segment_ptr 1
		.amdhsa_user_sgpr_dispatch_id 0
		.amdhsa_user_sgpr_flat_scratch_init 0
		.amdhsa_user_sgpr_private_segment_size 0
		.amdhsa_wavefront_size32 1
		.amdhsa_uses_dynamic_stack 0
		.amdhsa_system_sgpr_private_segment_wavefront_offset 0
		.amdhsa_system_sgpr_workgroup_id_x 1
		.amdhsa_system_sgpr_workgroup_id_y 1
		.amdhsa_system_sgpr_workgroup_id_z 1
		.amdhsa_system_sgpr_workgroup_info 0
		.amdhsa_system_vgpr_workitem_id 1
		.amdhsa_next_free_vgpr 87
		.amdhsa_next_free_sgpr 46
		.amdhsa_reserve_vcc 1
		.amdhsa_reserve_flat_scratch 0
		.amdhsa_float_round_mode_32 0
		.amdhsa_float_round_mode_16_64 0
		.amdhsa_float_denorm_mode_32 3
		.amdhsa_float_denorm_mode_16_64 3
		.amdhsa_dx10_clamp 1
		.amdhsa_ieee_mode 1
		.amdhsa_fp16_overflow 0
		.amdhsa_workgroup_processor_mode 1
		.amdhsa_memory_ordered 1
		.amdhsa_forward_progress 1
		.amdhsa_shared_vgpr_count 0
		.amdhsa_exception_fp_ieee_invalid_op 0
		.amdhsa_exception_fp_denorm_src 0
		.amdhsa_exception_fp_ieee_div_zero 0
		.amdhsa_exception_fp_ieee_overflow 0
		.amdhsa_exception_fp_ieee_underflow 0
		.amdhsa_exception_fp_ieee_inexact 0
		.amdhsa_exception_int_div_zero 0
	.end_amdhsa_kernel
	.section	.text._ZL30rocblas_trmm_outofplace_kernelI19rocblas_complex_numIfELi32ELi2ELb1ELb0ELb1ELb0ES1_KS1_S1_Ev17rocblas_diagonal_iiT6_lPT7_lllS6_lllPT8_llli,"axG",@progbits,_ZL30rocblas_trmm_outofplace_kernelI19rocblas_complex_numIfELi32ELi2ELb1ELb0ELb1ELb0ES1_KS1_S1_Ev17rocblas_diagonal_iiT6_lPT7_lllS6_lllPT8_llli,comdat
.Lfunc_end77:
	.size	_ZL30rocblas_trmm_outofplace_kernelI19rocblas_complex_numIfELi32ELi2ELb1ELb0ELb1ELb0ES1_KS1_S1_Ev17rocblas_diagonal_iiT6_lPT7_lllS6_lllPT8_llli, .Lfunc_end77-_ZL30rocblas_trmm_outofplace_kernelI19rocblas_complex_numIfELi32ELi2ELb1ELb0ELb1ELb0ES1_KS1_S1_Ev17rocblas_diagonal_iiT6_lPT7_lllS6_lllPT8_llli
                                        ; -- End function
	.set _ZL30rocblas_trmm_outofplace_kernelI19rocblas_complex_numIfELi32ELi2ELb1ELb0ELb1ELb0ES1_KS1_S1_Ev17rocblas_diagonal_iiT6_lPT7_lllS6_lllPT8_llli.num_vgpr, 87
	.set _ZL30rocblas_trmm_outofplace_kernelI19rocblas_complex_numIfELi32ELi2ELb1ELb0ELb1ELb0ES1_KS1_S1_Ev17rocblas_diagonal_iiT6_lPT7_lllS6_lllPT8_llli.num_agpr, 0
	.set _ZL30rocblas_trmm_outofplace_kernelI19rocblas_complex_numIfELi32ELi2ELb1ELb0ELb1ELb0ES1_KS1_S1_Ev17rocblas_diagonal_iiT6_lPT7_lllS6_lllPT8_llli.numbered_sgpr, 46
	.set _ZL30rocblas_trmm_outofplace_kernelI19rocblas_complex_numIfELi32ELi2ELb1ELb0ELb1ELb0ES1_KS1_S1_Ev17rocblas_diagonal_iiT6_lPT7_lllS6_lllPT8_llli.num_named_barrier, 0
	.set _ZL30rocblas_trmm_outofplace_kernelI19rocblas_complex_numIfELi32ELi2ELb1ELb0ELb1ELb0ES1_KS1_S1_Ev17rocblas_diagonal_iiT6_lPT7_lllS6_lllPT8_llli.private_seg_size, 0
	.set _ZL30rocblas_trmm_outofplace_kernelI19rocblas_complex_numIfELi32ELi2ELb1ELb0ELb1ELb0ES1_KS1_S1_Ev17rocblas_diagonal_iiT6_lPT7_lllS6_lllPT8_llli.uses_vcc, 1
	.set _ZL30rocblas_trmm_outofplace_kernelI19rocblas_complex_numIfELi32ELi2ELb1ELb0ELb1ELb0ES1_KS1_S1_Ev17rocblas_diagonal_iiT6_lPT7_lllS6_lllPT8_llli.uses_flat_scratch, 0
	.set _ZL30rocblas_trmm_outofplace_kernelI19rocblas_complex_numIfELi32ELi2ELb1ELb0ELb1ELb0ES1_KS1_S1_Ev17rocblas_diagonal_iiT6_lPT7_lllS6_lllPT8_llli.has_dyn_sized_stack, 0
	.set _ZL30rocblas_trmm_outofplace_kernelI19rocblas_complex_numIfELi32ELi2ELb1ELb0ELb1ELb0ES1_KS1_S1_Ev17rocblas_diagonal_iiT6_lPT7_lllS6_lllPT8_llli.has_recursion, 0
	.set _ZL30rocblas_trmm_outofplace_kernelI19rocblas_complex_numIfELi32ELi2ELb1ELb0ELb1ELb0ES1_KS1_S1_Ev17rocblas_diagonal_iiT6_lPT7_lllS6_lllPT8_llli.has_indirect_call, 0
	.section	.AMDGPU.csdata,"",@progbits
; Kernel info:
; codeLenInByte = 6604
; TotalNumSgprs: 48
; NumVgprs: 87
; ScratchSize: 0
; MemoryBound: 1
; FloatMode: 240
; IeeeMode: 1
; LDSByteSize: 16384 bytes/workgroup (compile time only)
; SGPRBlocks: 0
; VGPRBlocks: 10
; NumSGPRsForWavesPerEU: 48
; NumVGPRsForWavesPerEU: 87
; Occupancy: 10
; WaveLimiterHint : 0
; COMPUTE_PGM_RSRC2:SCRATCH_EN: 0
; COMPUTE_PGM_RSRC2:USER_SGPR: 6
; COMPUTE_PGM_RSRC2:TRAP_HANDLER: 0
; COMPUTE_PGM_RSRC2:TGID_X_EN: 1
; COMPUTE_PGM_RSRC2:TGID_Y_EN: 1
; COMPUTE_PGM_RSRC2:TGID_Z_EN: 1
; COMPUTE_PGM_RSRC2:TIDIG_COMP_CNT: 1
	.section	.text._ZL30rocblas_trmm_outofplace_kernelI19rocblas_complex_numIfELi32ELi2ELb1ELb1ELb1ELb0EPKS1_S2_S1_Ev17rocblas_diagonal_iiT6_lPT7_lllS7_lllPT8_llli,"axG",@progbits,_ZL30rocblas_trmm_outofplace_kernelI19rocblas_complex_numIfELi32ELi2ELb1ELb1ELb1ELb0EPKS1_S2_S1_Ev17rocblas_diagonal_iiT6_lPT7_lllS7_lllPT8_llli,comdat
	.globl	_ZL30rocblas_trmm_outofplace_kernelI19rocblas_complex_numIfELi32ELi2ELb1ELb1ELb1ELb0EPKS1_S2_S1_Ev17rocblas_diagonal_iiT6_lPT7_lllS7_lllPT8_llli ; -- Begin function _ZL30rocblas_trmm_outofplace_kernelI19rocblas_complex_numIfELi32ELi2ELb1ELb1ELb1ELb0EPKS1_S2_S1_Ev17rocblas_diagonal_iiT6_lPT7_lllS7_lllPT8_llli
	.p2align	8
	.type	_ZL30rocblas_trmm_outofplace_kernelI19rocblas_complex_numIfELi32ELi2ELb1ELb1ELb1ELb0EPKS1_S2_S1_Ev17rocblas_diagonal_iiT6_lPT7_lllS7_lllPT8_llli,@function
_ZL30rocblas_trmm_outofplace_kernelI19rocblas_complex_numIfELi32ELi2ELb1ELb1ELb1ELb0EPKS1_S2_S1_Ev17rocblas_diagonal_iiT6_lPT7_lllS7_lllPT8_llli: ; @_ZL30rocblas_trmm_outofplace_kernelI19rocblas_complex_numIfELi32ELi2ELb1ELb1ELb1ELb0EPKS1_S2_S1_Ev17rocblas_diagonal_iiT6_lPT7_lllS7_lllPT8_llli
; %bb.0:
	s_load_dwordx16 s[12:27], s[4:5], 0x10
	s_waitcnt lgkmcnt(0)
	s_mul_i32 s0, s15, s8
	s_mul_hi_u32 s1, s14, s8
	s_add_i32 s1, s1, s0
	s_mul_i32 s0, s14, s8
	s_lshl_b64 s[0:1], s[0:1], 3
	s_add_u32 s0, s12, s0
	s_addc_u32 s1, s13, s1
	s_load_dwordx2 s[10:11], s[0:1], 0x0
	s_waitcnt lgkmcnt(0)
	s_or_b32 s0, s10, s11
	s_bitset0_b32 s0, 31
	s_cmp_eq_u32 s0, 0
	s_cbranch_scc1 .LBB78_63
; %bb.1:
	s_load_dwordx4 s[12:15], s[4:5], 0x0
	s_waitcnt lgkmcnt(0)
	s_add_i32 s0, s14, -1
	s_ashr_i32 s1, s0, 31
	s_lshr_b32 s1, s1, 27
	s_add_i32 s0, s0, s1
	s_ashr_i32 s15, s0, 5
	s_cmp_gt_i32 s7, s15
	s_cbranch_scc1 .LBB78_63
; %bb.2:
	s_clause 0x1
	s_load_dwordx4 s[28:31], s[4:5], 0x70
	s_load_dwordx8 s[36:43], s[4:5], 0x50
	s_mul_i32 s1, s23, s8
	s_mul_hi_u32 s2, s22, s8
	s_mul_i32 s0, s22, s8
	s_add_i32 s1, s2, s1
	s_load_dword s33, s[4:5], 0x8c
	s_lshl_b64 s[34:35], s[0:1], 3
	v_lshlrev_b32_e32 v2, 8, v1
	s_add_u32 s0, s16, s34
	s_addc_u32 s1, s17, s35
	s_lshl_b64 s[44:45], s[18:19], 3
	v_lshlrev_b32_e32 v36, 3, v0
	s_add_u32 s3, s0, s44
	s_addc_u32 s4, s1, s45
	v_add_nc_u32_e32 v37, 0x2000, v2
	v_lshlrev_b32_e32 v6, 3, v1
	v_add_nc_u32_e32 v38, v36, v2
	s_mov_b32 s18, s13
	v_mov_b32_e32 v11, 0
	s_waitcnt lgkmcnt(0)
	s_mul_i32 s1, s31, s8
	s_mul_hi_u32 s2, s30, s8
	s_mul_i32 s0, s30, s8
	s_add_i32 s1, s2, s1
	v_add_nc_u32_e32 v39, v37, v36
	s_lshl_b64 s[0:1], s[0:1], 3
	v_lshl_add_u32 v28, s7, 5, v1
	s_add_u32 s2, s40, s0
	s_addc_u32 s5, s41, s1
	s_lshl_b64 s[0:1], s[42:43], 3
	v_mov_b32_e32 v10, 1.0
	s_add_u32 s30, s2, s0
	s_addc_u32 s31, s5, s1
	s_lshl_b32 s40, s6, 5
	s_cmp_gt_i32 s6, -1
	v_add_nc_u32_e32 v12, s40, v0
	s_mul_i32 s5, s39, s8
	s_cselect_b32 s39, -1, 0
	s_cmpk_eq_i32 s12, 0x84
	s_mul_hi_u32 s6, s38, s8
	v_ashrrev_i32_e32 v13, 31, v12
	v_mul_lo_u32 v4, s21, v12
	v_mad_u64_u32 v[2:3], null, s20, v12, 0
	v_add_co_u32 v14, vcc_lo, v12, 16
	v_mul_lo_u32 v5, s20, v13
	v_add_co_ci_u32_e64 v15, null, 0, v13, vcc_lo
	s_cselect_b32 s41, -1, 0
	s_ashr_i32 s19, s13, 31
	s_ashr_i32 s42, s14, 31
	v_lshlrev_b64 v[20:21], 3, v[12:13]
	s_add_u32 s22, s13, -16
	v_add3_u32 v3, v3, v5, v4
	s_addc_u32 s23, s19, -1
	s_add_i32 s5, s6, s5
	v_add_nc_u32_e32 v4, 16, v12
	v_cmp_le_i32_e64 s0, s13, v12
	v_lshlrev_b64 v[2:3], 3, v[2:3]
	v_cmp_gt_i32_e64 s1, s13, v12
	v_add_nc_u32_e32 v44, 0x800, v36
	v_cmp_gt_i32_e64 s2, s13, v4
	v_ashrrev_i32_e32 v5, 31, v4
	v_add_nc_u32_e32 v45, 0x1000, v36
	v_add_co_u32 v2, vcc_lo, s3, v2
	v_add_co_ci_u32_e64 v3, null, s4, v3, vcc_lo
	s_mul_i32 s4, s38, s8
	v_add_co_u32 v40, vcc_lo, v2, v6
	v_add_co_ci_u32_e64 v41, null, 0, v3, vcc_lo
	v_sub_co_u32 v16, vcc_lo, v12, v1
	v_subrev_co_ci_u32_e64 v17, null, 0, v13, vcc_lo
	s_lshl_b64 s[4:5], s[4:5], 3
	s_lshl_b64 s[8:9], s[26:27], 3
	v_add_co_u32 v18, vcc_lo, v16, 16
	v_add_co_ci_u32_e64 v19, null, 0, v17, vcc_lo
	s_add_u32 s4, s4, s8
	v_add_co_u32 v7, vcc_lo, 0x80, v20
	s_addc_u32 s5, s5, s9
	s_add_u32 s6, s24, s4
	v_add_co_ci_u32_e64 v8, null, 0, v21, vcc_lo
	s_addc_u32 s8, s25, s5
	s_lshl_b64 s[12:13], s[36:37], 3
	s_lshl_b32 s24, s33, 5
	s_add_u32 s4, s44, s34
	s_addc_u32 s5, s45, s35
	v_mul_lo_u32 v8, s20, v8
	v_mad_u64_u32 v[2:3], null, s20, v7, s[4:5]
	v_mul_lo_u32 v7, s21, v7
	v_add_co_u32 v24, s4, s6, v36
	v_add_co_ci_u32_e64 v25, null, s8, 0, s4
	v_add_co_u32 v22, vcc_lo, v16, -16
	v_add_co_ci_u32_e64 v23, null, -1, v17, vcc_lo
	v_add3_u32 v3, v7, v3, v8
	v_add_co_u32 v26, vcc_lo, 0x80, v24
	v_add_co_ci_u32_e64 v27, null, 0, v25, vcc_lo
	v_add_co_u32 v2, vcc_lo, v2, v6
	v_add_co_ci_u32_e64 v3, null, 0, v3, vcc_lo
	v_cmp_le_i64_e64 s3, s[18:19], v[14:15]
	v_add_co_u32 v42, vcc_lo, s16, v2
	v_lshlrev_b64 v[30:31], 3, v[4:5]
	v_add_co_ci_u32_e64 v43, null, s17, v3, vcc_lo
	v_add_nc_u32_e32 v46, 0x1800, v36
	s_branch .LBB78_4
.LBB78_3:                               ;   in Loop: Header=BB78_4 Depth=1
	s_or_b32 exec_lo, exec_lo, s4
	v_add_nc_u32_e32 v28, s24, v28
	s_add_i32 s7, s33, s7
	s_cmp_le_i32 s7, s15
	s_cbranch_scc0 .LBB78_63
.LBB78_4:                               ; =>This Loop Header: Depth=1
                                        ;     Child Loop BB78_7 Depth 2
	v_lshl_add_u32 v47, s7, 5, v1
	v_mov_b32_e32 v54, v11
	v_mov_b32_e32 v55, v11
	;; [unrolled: 1-line block ×4, first 2 shown]
	v_ashrrev_i32_e32 v48, 31, v47
	v_mov_b32_e32 v51, v11
	v_mov_b32_e32 v50, v11
	;; [unrolled: 1-line block ×4, first 2 shown]
	s_andn2_b32 vcc_lo, exec_lo, s39
	s_cbranch_vccnz .LBB78_55
; %bb.5:                                ;   in Loop: Header=BB78_4 Depth=1
	v_ashrrev_i32_e32 v29, 31, v28
	v_mad_u64_u32 v[32:33], null, s12, v28, v[26:27]
	v_mul_lo_u32 v4, s13, v28
	v_mov_b32_e32 v49, 0
	v_lshlrev_b64 v[2:3], 3, v[28:29]
	v_mul_lo_u32 v7, s12, v29
	v_mov_b32_e32 v29, 0
	v_mov_b32_e32 v50, 0
	v_mov_b32_e32 v51, 0
	v_mov_b32_e32 v53, 0
	v_add_co_u32 v5, vcc_lo, 0x80, v2
	v_add_co_ci_u32_e64 v6, null, 0, v3, vcc_lo
	v_sub_co_u32 v2, vcc_lo, s14, v47
	v_mul_lo_u32 v8, s37, v5
	v_mul_lo_u32 v6, s36, v6
	v_mad_u64_u32 v[34:35], null, s36, v5, v[24:25]
	v_sub_co_ci_u32_e64 v3, null, s42, v48, vcc_lo
	v_add3_u32 v33, v4, v33, v7
	v_mov_b32_e32 v52, 0
	v_mov_b32_e32 v55, 0
	v_cmp_lt_i64_e64 s4, 16, v[2:3]
	v_add3_u32 v35, v8, v35, v6
	v_mov_b32_e32 v54, 0
	s_mov_b64 s[16:17], 0
	s_mov_b64 s[20:21], 0
	v_cmp_lt_i64_e32 vcc_lo, 0, v[2:3]
	s_branch .LBB78_7
.LBB78_6:                               ;   in Loop: Header=BB78_7 Depth=2
	s_or_b32 exec_lo, exec_lo, s5
	s_waitcnt lgkmcnt(0)
	s_barrier
	buffer_gl0_inv
	ds_read_b128 v[56:59], v37
	ds_read2_b64 v[60:63], v36 offset1:16
	ds_read_b128 v[64:67], v37 offset:4096
	ds_read_b128 v[68:71], v37 offset:16
	;; [unrolled: 1-line block ×4, first 2 shown]
	ds_read2_b64 v[72:75], v36 offset0:32 offset1:48
	ds_read_b128 v[76:79], v37 offset:4112
	s_add_u32 s20, s20, 32
	s_addc_u32 s21, s21, 0
	s_sub_i32 s5, s20, 32
	s_add_u32 s16, s16, 0x100
	s_addc_u32 s17, s17, 0
	s_cmp_ge_i32 s5, s40
	s_waitcnt lgkmcnt(6)
	v_mul_f32_e32 v80, v57, v61
	v_mul_f32_e32 v81, v56, v61
	;; [unrolled: 1-line block ×4, first 2 shown]
	s_waitcnt lgkmcnt(5)
	v_mul_f32_e32 v84, v65, v61
	v_mul_f32_e32 v61, v64, v61
	;; [unrolled: 1-line block ×3, first 2 shown]
	v_fma_f32 v80, v56, v60, -v80
	v_fmac_f32_e32 v81, v57, v60
	v_fma_f32 v56, v56, v62, -v82
	v_fmac_f32_e32 v83, v57, v62
	;; [unrolled: 2-line block ×3, first 2 shown]
	v_fma_f32 v60, v64, v62, -v85
	v_mul_f32_e32 v63, v64, v63
	v_add_f32_e32 v56, v52, v56
	v_add_f32_e32 v57, v51, v57
	v_add_f32_e32 v61, v50, v61
	s_waitcnt lgkmcnt(1)
	v_mul_f32_e32 v64, v59, v73
	v_add_f32_e32 v60, v49, v60
	ds_read2_b64 v[49:52], v36 offset0:64 offset1:80
	v_add_f32_e32 v54, v54, v80
	v_fmac_f32_e32 v63, v65, v62
	v_mul_f32_e32 v62, v58, v73
	v_fma_f32 v64, v58, v72, -v64
	v_mul_f32_e32 v65, v59, v75
	v_add_f32_e32 v55, v55, v81
	v_add_f32_e32 v29, v29, v63
	v_fmac_f32_e32 v62, v59, v72
	v_mul_f32_e32 v63, v58, v75
	v_add_f32_e32 v64, v54, v64
	v_fma_f32 v54, v58, v74, -v65
	v_mul_f32_e32 v58, v67, v73
	v_add_f32_e32 v53, v53, v83
	v_add_f32_e32 v62, v55, v62
	v_fmac_f32_e32 v63, v59, v74
	v_mul_f32_e32 v55, v66, v73
	v_add_f32_e32 v59, v56, v54
	v_fma_f32 v54, v66, v72, -v58
	v_mul_f32_e32 v56, v67, v75
	v_add_f32_e32 v58, v53, v63
	v_fmac_f32_e32 v55, v67, v72
	v_mul_f32_e32 v63, v66, v75
	v_add_f32_e32 v57, v57, v54
	v_fma_f32 v53, v66, v74, -v56
	s_waitcnt lgkmcnt(0)
	v_mul_f32_e32 v54, v69, v50
	v_add_f32_e32 v61, v61, v55
	v_fmac_f32_e32 v63, v67, v74
	v_mul_f32_e32 v65, v68, v50
	v_add_f32_e32 v60, v60, v53
	v_fma_f32 v66, v68, v49, -v54
	v_mul_f32_e32 v67, v69, v52
	ds_read2_b64 v[53:56], v36 offset0:96 offset1:112
	v_fmac_f32_e32 v65, v69, v49
	v_add_f32_e32 v29, v29, v63
	v_add_f32_e32 v63, v64, v66
	v_fma_f32 v66, v68, v51, -v67
	v_mul_f32_e32 v64, v68, v52
	v_add_f32_e32 v62, v62, v65
	v_mul_f32_e32 v65, v77, v50
	v_mul_f32_e32 v50, v76, v50
	v_add_f32_e32 v59, v59, v66
	v_mul_f32_e32 v66, v77, v52
	v_fmac_f32_e32 v64, v69, v51
	v_fma_f32 v65, v76, v49, -v65
	v_fmac_f32_e32 v50, v77, v49
	v_mul_f32_e32 v67, v76, v52
	v_fma_f32 v49, v76, v51, -v66
	v_add_f32_e32 v58, v58, v64
	v_add_f32_e32 v64, v57, v65
	;; [unrolled: 1-line block ×3, first 2 shown]
	v_fmac_f32_e32 v67, v77, v51
	s_waitcnt lgkmcnt(0)
	v_mul_f32_e32 v57, v71, v54
	v_add_f32_e32 v65, v60, v49
	ds_read2_b64 v[49:52], v36 offset0:128 offset1:144
	v_mul_f32_e32 v60, v70, v54
	v_mul_f32_e32 v66, v71, v56
	v_fma_f32 v57, v70, v53, -v57
	v_add_f32_e32 v29, v29, v67
	v_mul_f32_e32 v67, v70, v56
	v_fmac_f32_e32 v60, v71, v53
	v_fma_f32 v66, v70, v55, -v66
	v_add_f32_e32 v63, v63, v57
	v_mul_f32_e32 v57, v79, v54
	v_fmac_f32_e32 v67, v71, v55
	v_mul_f32_e32 v54, v78, v54
	v_mul_f32_e32 v69, v79, v56
	v_add_f32_e32 v62, v62, v60
	v_fma_f32 v68, v78, v53, -v57
	v_add_f32_e32 v66, v59, v66
	v_add_f32_e32 v67, v58, v67
	ds_read_b128 v[57:60], v37 offset:4128
	v_fmac_f32_e32 v54, v79, v53
	v_add_f32_e32 v68, v64, v68
	v_mul_f32_e32 v64, v78, v56
	v_fma_f32 v53, v78, v55, -v69
	s_waitcnt lgkmcnt(1)
	v_mul_f32_e32 v56, v7, v50
	v_add_f32_e32 v69, v61, v54
	v_mul_f32_e32 v61, v6, v50
	v_fmac_f32_e32 v64, v79, v55
	v_add_f32_e32 v65, v65, v53
	v_fma_f32 v70, v6, v49, -v56
	ds_read2_b64 v[53:56], v36 offset0:160 offset1:176
	v_fmac_f32_e32 v61, v7, v49
	v_mul_f32_e32 v71, v7, v52
	v_mul_f32_e32 v72, v6, v52
	v_add_f32_e32 v29, v29, v64
	v_add_f32_e32 v70, v63, v70
	;; [unrolled: 1-line block ×3, first 2 shown]
	v_fma_f32 v6, v6, v51, -v71
	ds_read_b128 v[61:64], v37 offset:4144
	s_waitcnt lgkmcnt(2)
	v_mul_f32_e32 v71, v58, v50
	v_fmac_f32_e32 v72, v7, v51
	v_mul_f32_e32 v7, v57, v50
	v_mul_f32_e32 v50, v58, v52
	v_add_f32_e32 v6, v66, v6
	v_fma_f32 v66, v57, v49, -v71
	v_mul_f32_e32 v71, v57, v52
	v_fmac_f32_e32 v7, v58, v49
	v_fma_f32 v49, v57, v51, -v50
	v_add_f32_e32 v67, v67, v72
	v_add_f32_e32 v57, v68, v66
	s_waitcnt lgkmcnt(1)
	v_mul_f32_e32 v50, v9, v54
	v_fmac_f32_e32 v71, v58, v51
	v_add_f32_e32 v58, v65, v49
	v_mul_f32_e32 v68, v9, v56
	v_add_f32_e32 v7, v69, v7
	v_fma_f32 v66, v8, v53, -v50
	ds_read2_b64 v[49:52], v36 offset0:192 offset1:208
	v_mul_f32_e32 v65, v8, v54
	v_mul_f32_e32 v69, v8, v56
	v_fma_f32 v8, v8, v55, -v68
	v_mul_f32_e32 v68, v60, v54
	v_mul_f32_e32 v54, v59, v54
	v_add_f32_e32 v66, v70, v66
	v_fmac_f32_e32 v65, v9, v53
	v_add_f32_e32 v70, v6, v8
	v_fma_f32 v6, v59, v53, -v68
	v_fmac_f32_e32 v54, v60, v53
	v_mul_f32_e32 v8, v60, v56
	v_fmac_f32_e32 v69, v9, v55
	v_mul_f32_e32 v56, v59, v56
	v_add_f32_e32 v57, v57, v6
	v_add_f32_e32 v54, v7, v54
	v_fma_f32 v59, v59, v55, -v8
	ds_read2_b64 v[6:9], v36 offset0:224 offset1:240
	v_add_f32_e32 v53, v67, v69
	v_fmac_f32_e32 v56, v60, v55
	s_waitcnt lgkmcnt(1)
	v_mul_f32_e32 v67, v3, v50
	v_mul_f32_e32 v55, v2, v50
	v_add_f32_e32 v65, v73, v65
	v_add_f32_e32 v58, v58, v59
	v_mul_f32_e32 v60, v3, v52
	v_fma_f32 v59, v2, v49, -v67
	v_fmac_f32_e32 v55, v3, v49
	v_mul_f32_e32 v67, v2, v52
	v_add_f32_e32 v29, v29, v71
	v_fma_f32 v2, v2, v51, -v60
	v_add_f32_e32 v59, v66, v59
	v_add_f32_e32 v60, v65, v55
	v_fmac_f32_e32 v67, v3, v51
	v_mul_f32_e32 v3, v62, v50
	v_mul_f32_e32 v50, v61, v50
	;; [unrolled: 1-line block ×4, first 2 shown]
	s_waitcnt lgkmcnt(0)
	v_mul_f32_e32 v52, v5, v7
	v_fma_f32 v3, v61, v49, -v3
	v_fmac_f32_e32 v50, v62, v49
	v_fma_f32 v49, v61, v51, -v55
	v_add_f32_e32 v29, v29, v56
	v_add_f32_e32 v65, v53, v67
	;; [unrolled: 1-line block ×4, first 2 shown]
	v_fmac_f32_e32 v66, v62, v51
	v_add_f32_e32 v62, v58, v49
	v_fma_f32 v3, v4, v6, -v52
	ds_read_b128 v[49:52], v37 offset:64
	ds_read2_b64 v[53:56], v44 offset1:16
	v_mul_f32_e32 v58, v4, v7
	v_mul_f32_e32 v67, v5, v9
	v_add_f32_e32 v2, v70, v2
	v_add_f32_e32 v29, v29, v66
	v_mul_f32_e32 v66, v4, v9
	v_fmac_f32_e32 v58, v5, v6
	v_add_f32_e32 v68, v59, v3
	v_fma_f32 v3, v4, v8, -v67
	v_mul_f32_e32 v4, v64, v7
	v_mul_f32_e32 v7, v63, v7
	;; [unrolled: 1-line block ×3, first 2 shown]
	v_add_f32_e32 v67, v60, v58
	v_fmac_f32_e32 v66, v5, v8
	v_add_f32_e32 v69, v2, v3
	v_fma_f32 v58, v63, v6, -v4
	v_fmac_f32_e32 v7, v64, v6
	ds_read_b128 v[2:5], v37 offset:4160
	v_fma_f32 v6, v63, v8, -v59
	v_mul_f32_e32 v63, v63, v9
	s_waitcnt lgkmcnt(1)
	v_mul_f32_e32 v9, v50, v54
	v_add_f32_e32 v70, v61, v7
	v_mul_f32_e32 v61, v49, v54
	v_add_f32_e32 v71, v62, v6
	v_fmac_f32_e32 v63, v64, v8
	v_fma_f32 v62, v49, v53, -v9
	ds_read2_b64 v[6:9], v44 offset0:32 offset1:48
	v_mul_f32_e32 v64, v50, v56
	v_mul_f32_e32 v72, v49, v56
	v_add_f32_e32 v65, v65, v66
	v_add_f32_e32 v66, v57, v58
	ds_read_b128 v[57:60], v37 offset:80
	v_fmac_f32_e32 v61, v50, v53
	v_fma_f32 v49, v49, v55, -v64
	v_fmac_f32_e32 v72, v50, v55
	v_add_f32_e32 v68, v68, v62
	v_add_f32_e32 v29, v29, v63
	s_waitcnt lgkmcnt(2)
	v_mul_f32_e32 v73, v3, v54
	v_mul_f32_e32 v50, v2, v54
	;; [unrolled: 1-line block ×3, first 2 shown]
	v_add_f32_e32 v49, v69, v49
	v_add_f32_e32 v65, v65, v72
	v_fma_f32 v69, v2, v53, -v73
	v_fmac_f32_e32 v50, v3, v53
	v_mul_f32_e32 v72, v2, v56
	v_fma_f32 v2, v2, v55, -v54
	s_waitcnt lgkmcnt(1)
	v_mul_f32_e32 v53, v52, v7
	v_add_f32_e32 v66, v66, v69
	v_add_f32_e32 v50, v70, v50
	v_fmac_f32_e32 v72, v3, v55
	v_add_f32_e32 v69, v71, v2
	v_mul_f32_e32 v2, v51, v7
	v_fma_f32 v3, v51, v6, -v53
	ds_read2_b64 v[53:56], v44 offset0:64 offset1:80
	v_mul_f32_e32 v70, v52, v9
	v_add_f32_e32 v67, v67, v61
	v_fmac_f32_e32 v2, v52, v6
	v_add_f32_e32 v68, v68, v3
	v_mul_f32_e32 v3, v51, v9
	v_fma_f32 v51, v51, v8, -v70
	v_mul_f32_e32 v70, v5, v7
	v_mul_f32_e32 v7, v4, v7
	ds_read_b128 v[61:64], v37 offset:4176
	v_add_f32_e32 v67, v67, v2
	v_fmac_f32_e32 v3, v52, v8
	v_fma_f32 v2, v4, v6, -v70
	v_fmac_f32_e32 v7, v5, v6
	v_mul_f32_e32 v6, v5, v9
	v_mul_f32_e32 v9, v4, v9
	v_add_f32_e32 v49, v49, v51
	v_add_f32_e32 v51, v65, v3
	;; [unrolled: 1-line block ×3, first 2 shown]
	v_fma_f32 v6, v4, v8, -v6
	v_fmac_f32_e32 v9, v5, v8
	ds_read2_b64 v[2:5], v44 offset0:96 offset1:112
	v_add_f32_e32 v29, v29, v72
	v_add_f32_e32 v7, v50, v7
	s_waitcnt lgkmcnt(2)
	v_mul_f32_e32 v50, v58, v54
	v_mul_f32_e32 v8, v57, v54
	;; [unrolled: 1-line block ×3, first 2 shown]
	v_add_f32_e32 v29, v29, v9
	v_mul_f32_e32 v66, v57, v56
	v_fma_f32 v50, v57, v53, -v50
	v_fmac_f32_e32 v8, v58, v53
	v_fma_f32 v9, v57, v55, -v65
	v_add_f32_e32 v6, v69, v6
	v_fmac_f32_e32 v66, v58, v55
	v_add_f32_e32 v68, v68, v50
	v_add_f32_e32 v57, v67, v8
	s_waitcnt lgkmcnt(1)
	v_mul_f32_e32 v8, v62, v54
	v_mul_f32_e32 v50, v61, v54
	v_add_f32_e32 v54, v49, v9
	v_mul_f32_e32 v9, v62, v56
	v_add_f32_e32 v58, v51, v66
	v_fma_f32 v8, v61, v53, -v8
	v_fmac_f32_e32 v50, v62, v53
	v_mul_f32_e32 v53, v61, v56
	v_fma_f32 v9, v61, v55, -v9
	s_waitcnt lgkmcnt(0)
	v_mul_f32_e32 v49, v60, v3
	v_add_f32_e32 v61, v52, v8
	v_add_f32_e32 v65, v7, v50
	v_fmac_f32_e32 v53, v62, v55
	v_add_f32_e32 v62, v6, v9
	v_fma_f32 v55, v59, v2, -v49
	ds_read_b128 v[6:9], v37 offset:96
	ds_read2_b64 v[49:52], v44 offset0:128 offset1:144
	v_mul_f32_e32 v56, v59, v3
	v_mul_f32_e32 v66, v60, v5
	v_add_f32_e32 v29, v29, v53
	v_mul_f32_e32 v53, v59, v5
	v_add_f32_e32 v67, v68, v55
	v_fmac_f32_e32 v56, v60, v2
	v_fma_f32 v55, v59, v4, -v66
	v_mul_f32_e32 v59, v64, v3
	v_fmac_f32_e32 v53, v60, v4
	v_mul_f32_e32 v3, v63, v3
	v_add_f32_e32 v66, v57, v56
	v_add_f32_e32 v68, v54, v55
	v_fma_f32 v57, v63, v2, -v59
	v_mul_f32_e32 v59, v64, v5
	v_add_f32_e32 v69, v58, v53
	v_fmac_f32_e32 v3, v64, v2
	ds_read_b128 v[53:56], v37 offset:4192
	v_add_f32_e32 v70, v61, v57
	v_fma_f32 v2, v63, v4, -v59
	v_mul_f32_e32 v61, v63, v5
	s_waitcnt lgkmcnt(1)
	v_mul_f32_e32 v5, v7, v50
	v_add_f32_e32 v65, v65, v3
	v_mul_f32_e32 v63, v6, v50
	v_add_f32_e32 v71, v62, v2
	v_fmac_f32_e32 v61, v64, v4
	v_fma_f32 v62, v6, v49, -v5
	ds_read2_b64 v[2:5], v44 offset0:160 offset1:176
	v_mul_f32_e32 v64, v7, v52
	v_mul_f32_e32 v72, v6, v52
	ds_read_b128 v[57:60], v37 offset:112
	v_fmac_f32_e32 v63, v7, v49
	v_add_f32_e32 v67, v67, v62
	v_fma_f32 v6, v6, v51, -v64
	v_fmac_f32_e32 v72, v7, v51
	v_add_f32_e32 v29, v29, v61
	v_add_f32_e32 v66, v66, v63
	s_waitcnt lgkmcnt(2)
	v_mul_f32_e32 v73, v54, v50
	v_mul_f32_e32 v7, v53, v50
	;; [unrolled: 1-line block ×3, first 2 shown]
	v_add_f32_e32 v6, v68, v6
	v_add_f32_e32 v69, v69, v72
	v_fma_f32 v68, v53, v49, -v73
	v_fmac_f32_e32 v7, v54, v49
	v_mul_f32_e32 v72, v53, v52
	v_fma_f32 v49, v53, v51, -v50
	ds_read_b128 v[61:64], v37 offset:4208
	s_waitcnt lgkmcnt(2)
	v_mul_f32_e32 v50, v9, v3
	v_add_f32_e32 v53, v70, v68
	v_fmac_f32_e32 v72, v54, v51
	v_add_f32_e32 v54, v71, v49
	v_add_f32_e32 v7, v65, v7
	v_fma_f32 v68, v8, v2, -v50
	ds_read2_b64 v[49:52], v44 offset0:192 offset1:208
	v_mul_f32_e32 v65, v8, v3
	v_mul_f32_e32 v70, v9, v5
	v_add_f32_e32 v29, v29, v72
	v_add_f32_e32 v67, v67, v68
	v_mul_f32_e32 v68, v8, v5
	v_fmac_f32_e32 v65, v9, v2
	v_fma_f32 v8, v8, v4, -v70
	v_mul_f32_e32 v70, v56, v3
	v_mul_f32_e32 v3, v55, v3
	v_fmac_f32_e32 v68, v9, v4
	v_add_f32_e32 v65, v66, v65
	v_add_f32_e32 v6, v6, v8
	v_fma_f32 v8, v55, v2, -v70
	v_fmac_f32_e32 v3, v56, v2
	v_mul_f32_e32 v2, v56, v5
	v_mul_f32_e32 v66, v55, v5
	v_add_f32_e32 v9, v69, v68
	v_add_f32_e32 v8, v53, v8
	;; [unrolled: 1-line block ×3, first 2 shown]
	v_fma_f32 v53, v55, v4, -v2
	s_waitcnt lgkmcnt(0)
	v_mul_f32_e32 v55, v58, v50
	v_fmac_f32_e32 v66, v56, v4
	ds_read2_b64 v[2:5], v44 offset0:224 offset1:240
	v_mul_f32_e32 v68, v57, v52
	v_add_f32_e32 v53, v54, v53
	v_fma_f32 v54, v57, v49, -v55
	v_mul_f32_e32 v55, v58, v52
	v_mul_f32_e32 v56, v57, v50
	v_fmac_f32_e32 v68, v58, v51
	v_add_f32_e32 v29, v29, v66
	v_add_f32_e32 v54, v67, v54
	v_fma_f32 v55, v57, v51, -v55
	v_mul_f32_e32 v57, v62, v50
	v_mul_f32_e32 v50, v61, v50
	v_fmac_f32_e32 v56, v58, v49
	v_add_f32_e32 v58, v9, v68
	v_add_f32_e32 v55, v6, v55
	v_mul_f32_e32 v6, v62, v52
	v_fma_f32 v9, v61, v49, -v57
	v_fmac_f32_e32 v50, v62, v49
	v_mul_f32_e32 v57, v61, v52
	v_add_f32_e32 v56, v65, v56
	v_fma_f32 v6, v61, v51, -v6
	s_waitcnt lgkmcnt(0)
	v_mul_f32_e32 v49, v60, v3
	v_add_f32_e32 v61, v8, v9
	v_add_f32_e32 v65, v7, v50
	v_fmac_f32_e32 v57, v62, v51
	v_add_f32_e32 v62, v53, v6
	v_fma_f32 v53, v59, v2, -v49
	ds_read_b128 v[6:9], v37 offset:128
	ds_read2_b64 v[49:52], v45 offset1:16
	v_mul_f32_e32 v66, v59, v3
	v_mul_f32_e32 v67, v60, v5
	v_add_f32_e32 v29, v29, v57
	v_mul_f32_e32 v57, v59, v5
	v_add_f32_e32 v68, v54, v53
	v_mul_f32_e32 v54, v64, v3
	v_fmac_f32_e32 v66, v60, v2
	v_fma_f32 v53, v59, v4, -v67
	v_fmac_f32_e32 v57, v60, v4
	v_mul_f32_e32 v3, v63, v3
	v_fma_f32 v59, v63, v2, -v54
	v_mul_f32_e32 v60, v64, v5
	v_add_f32_e32 v66, v56, v66
	v_add_f32_e32 v67, v55, v53
	v_fmac_f32_e32 v3, v64, v2
	ds_read_b128 v[53:56], v37 offset:4224
	v_add_f32_e32 v70, v61, v59
	v_fma_f32 v2, v63, v4, -v60
	v_mul_f32_e32 v61, v63, v5
	s_waitcnt lgkmcnt(1)
	v_mul_f32_e32 v5, v7, v50
	v_add_f32_e32 v65, v65, v3
	v_mul_f32_e32 v63, v6, v50
	v_add_f32_e32 v71, v62, v2
	v_fmac_f32_e32 v61, v64, v4
	v_fma_f32 v62, v6, v49, -v5
	ds_read2_b64 v[2:5], v45 offset0:32 offset1:48
	v_mul_f32_e32 v64, v7, v52
	v_mul_f32_e32 v72, v6, v52
	v_add_f32_e32 v69, v58, v57
	ds_read_b128 v[57:60], v37 offset:144
	v_fmac_f32_e32 v63, v7, v49
	v_fma_f32 v6, v6, v51, -v64
	v_fmac_f32_e32 v72, v7, v51
	v_add_f32_e32 v68, v68, v62
	v_add_f32_e32 v29, v29, v61
	s_waitcnt lgkmcnt(2)
	v_mul_f32_e32 v73, v54, v50
	v_mul_f32_e32 v7, v53, v50
	;; [unrolled: 1-line block ×3, first 2 shown]
	v_add_f32_e32 v6, v67, v6
	v_add_f32_e32 v69, v69, v72
	v_fma_f32 v67, v53, v49, -v73
	v_fmac_f32_e32 v7, v54, v49
	v_mul_f32_e32 v72, v53, v52
	v_fma_f32 v49, v53, v51, -v50
	v_add_f32_e32 v66, v66, v63
	s_waitcnt lgkmcnt(1)
	v_mul_f32_e32 v50, v9, v3
	v_add_f32_e32 v53, v70, v67
	v_fmac_f32_e32 v72, v54, v51
	v_add_f32_e32 v54, v71, v49
	v_add_f32_e32 v7, v65, v7
	v_fma_f32 v67, v8, v2, -v50
	ds_read2_b64 v[49:52], v45 offset0:64 offset1:80
	v_mul_f32_e32 v65, v8, v3
	v_mul_f32_e32 v70, v9, v5
	ds_read_b128 v[61:64], v37 offset:4240
	v_add_f32_e32 v67, v68, v67
	v_mul_f32_e32 v68, v8, v5
	v_fmac_f32_e32 v65, v9, v2
	v_fma_f32 v8, v8, v4, -v70
	v_mul_f32_e32 v70, v56, v3
	v_mul_f32_e32 v3, v55, v3
	v_fmac_f32_e32 v68, v9, v4
	v_add_f32_e32 v65, v66, v65
	v_add_f32_e32 v6, v6, v8
	v_fma_f32 v8, v55, v2, -v70
	v_fmac_f32_e32 v3, v56, v2
	v_mul_f32_e32 v2, v56, v5
	v_mul_f32_e32 v66, v55, v5
	v_add_f32_e32 v9, v69, v68
	v_add_f32_e32 v8, v53, v8
	;; [unrolled: 1-line block ×3, first 2 shown]
	v_fma_f32 v53, v55, v4, -v2
	s_waitcnt lgkmcnt(1)
	v_mul_f32_e32 v55, v58, v50
	v_fmac_f32_e32 v66, v56, v4
	ds_read2_b64 v[2:5], v45 offset0:96 offset1:112
	v_mul_f32_e32 v68, v57, v52
	v_add_f32_e32 v53, v54, v53
	v_fma_f32 v54, v57, v49, -v55
	v_mul_f32_e32 v55, v58, v52
	v_mul_f32_e32 v56, v57, v50
	v_fmac_f32_e32 v68, v58, v51
	v_add_f32_e32 v29, v29, v72
	v_add_f32_e32 v54, v67, v54
	v_fma_f32 v55, v57, v51, -v55
	s_waitcnt lgkmcnt(1)
	v_mul_f32_e32 v57, v62, v50
	v_mul_f32_e32 v50, v61, v50
	v_fmac_f32_e32 v56, v58, v49
	v_add_f32_e32 v58, v9, v68
	v_add_f32_e32 v55, v6, v55
	v_mul_f32_e32 v6, v62, v52
	v_fma_f32 v9, v61, v49, -v57
	v_fmac_f32_e32 v50, v62, v49
	v_mul_f32_e32 v57, v61, v52
	v_add_f32_e32 v56, v65, v56
	v_fma_f32 v6, v61, v51, -v6
	s_waitcnt lgkmcnt(0)
	v_mul_f32_e32 v49, v60, v3
	v_add_f32_e32 v61, v8, v9
	v_add_f32_e32 v65, v7, v50
	v_fmac_f32_e32 v57, v62, v51
	v_add_f32_e32 v62, v53, v6
	v_fma_f32 v53, v59, v2, -v49
	ds_read_b128 v[6:9], v37 offset:160
	ds_read2_b64 v[49:52], v45 offset0:128 offset1:144
	v_add_f32_e32 v29, v29, v66
	v_mul_f32_e32 v66, v59, v3
	v_mul_f32_e32 v67, v60, v5
	v_add_f32_e32 v68, v54, v53
	v_mul_f32_e32 v54, v64, v3
	v_add_f32_e32 v29, v29, v57
	v_mul_f32_e32 v57, v59, v5
	v_fmac_f32_e32 v66, v60, v2
	v_fma_f32 v53, v59, v4, -v67
	v_mul_f32_e32 v3, v63, v3
	v_fma_f32 v59, v63, v2, -v54
	v_fmac_f32_e32 v57, v60, v4
	v_mul_f32_e32 v60, v64, v5
	v_add_f32_e32 v66, v56, v66
	v_add_f32_e32 v67, v55, v53
	v_fmac_f32_e32 v3, v64, v2
	ds_read_b128 v[53:56], v37 offset:4256
	v_add_f32_e32 v70, v61, v59
	v_fma_f32 v2, v63, v4, -v60
	v_mul_f32_e32 v61, v63, v5
	s_waitcnt lgkmcnt(1)
	v_mul_f32_e32 v5, v7, v50
	v_add_f32_e32 v65, v65, v3
	v_mul_f32_e32 v63, v6, v50
	v_add_f32_e32 v71, v62, v2
	v_fmac_f32_e32 v61, v64, v4
	v_fma_f32 v62, v6, v49, -v5
	ds_read2_b64 v[2:5], v45 offset0:160 offset1:176
	v_mul_f32_e32 v64, v7, v52
	v_mul_f32_e32 v72, v6, v52
	v_add_f32_e32 v69, v58, v57
	ds_read_b128 v[57:60], v37 offset:176
	v_fmac_f32_e32 v63, v7, v49
	v_fma_f32 v6, v6, v51, -v64
	v_fmac_f32_e32 v72, v7, v51
	v_add_f32_e32 v68, v68, v62
	v_add_f32_e32 v29, v29, v61
	s_waitcnt lgkmcnt(2)
	v_mul_f32_e32 v73, v54, v50
	v_mul_f32_e32 v7, v53, v50
	;; [unrolled: 1-line block ×3, first 2 shown]
	v_add_f32_e32 v6, v67, v6
	v_add_f32_e32 v69, v69, v72
	v_fma_f32 v67, v53, v49, -v73
	v_fmac_f32_e32 v7, v54, v49
	v_mul_f32_e32 v72, v53, v52
	v_fma_f32 v49, v53, v51, -v50
	v_add_f32_e32 v66, v66, v63
	s_waitcnt lgkmcnt(1)
	v_mul_f32_e32 v50, v9, v3
	v_add_f32_e32 v53, v70, v67
	v_fmac_f32_e32 v72, v54, v51
	v_add_f32_e32 v54, v71, v49
	v_add_f32_e32 v7, v65, v7
	v_fma_f32 v67, v8, v2, -v50
	ds_read2_b64 v[49:52], v45 offset0:192 offset1:208
	v_mul_f32_e32 v65, v8, v3
	v_mul_f32_e32 v70, v9, v5
	ds_read_b128 v[61:64], v37 offset:4272
	v_add_f32_e32 v67, v68, v67
	v_mul_f32_e32 v68, v8, v5
	v_fmac_f32_e32 v65, v9, v2
	v_fma_f32 v8, v8, v4, -v70
	v_mul_f32_e32 v70, v56, v3
	v_mul_f32_e32 v3, v55, v3
	v_fmac_f32_e32 v68, v9, v4
	v_add_f32_e32 v65, v66, v65
	v_add_f32_e32 v6, v6, v8
	v_fma_f32 v8, v55, v2, -v70
	v_fmac_f32_e32 v3, v56, v2
	v_mul_f32_e32 v2, v56, v5
	v_mul_f32_e32 v66, v55, v5
	v_add_f32_e32 v9, v69, v68
	v_add_f32_e32 v8, v53, v8
	;; [unrolled: 1-line block ×3, first 2 shown]
	v_fma_f32 v53, v55, v4, -v2
	s_waitcnt lgkmcnt(1)
	v_mul_f32_e32 v55, v58, v50
	v_fmac_f32_e32 v66, v56, v4
	ds_read2_b64 v[2:5], v45 offset0:224 offset1:240
	v_mul_f32_e32 v68, v57, v52
	v_add_f32_e32 v53, v54, v53
	v_fma_f32 v54, v57, v49, -v55
	v_mul_f32_e32 v55, v58, v52
	v_mul_f32_e32 v56, v57, v50
	v_fmac_f32_e32 v68, v58, v51
	v_add_f32_e32 v29, v29, v72
	v_add_f32_e32 v54, v67, v54
	v_fma_f32 v55, v57, v51, -v55
	s_waitcnt lgkmcnt(1)
	v_mul_f32_e32 v57, v62, v50
	v_mul_f32_e32 v50, v61, v50
	v_fmac_f32_e32 v56, v58, v49
	v_add_f32_e32 v58, v9, v68
	v_add_f32_e32 v55, v6, v55
	v_mul_f32_e32 v6, v62, v52
	v_fma_f32 v9, v61, v49, -v57
	v_fmac_f32_e32 v50, v62, v49
	v_mul_f32_e32 v57, v61, v52
	v_add_f32_e32 v56, v65, v56
	v_fma_f32 v6, v61, v51, -v6
	s_waitcnt lgkmcnt(0)
	v_mul_f32_e32 v49, v60, v3
	v_add_f32_e32 v61, v8, v9
	v_add_f32_e32 v65, v7, v50
	v_fmac_f32_e32 v57, v62, v51
	v_add_f32_e32 v62, v53, v6
	v_fma_f32 v53, v59, v2, -v49
	ds_read_b128 v[6:9], v37 offset:192
	ds_read2_b64 v[49:52], v46 offset1:16
	v_add_f32_e32 v29, v29, v66
	v_mul_f32_e32 v66, v59, v3
	v_mul_f32_e32 v67, v60, v5
	v_add_f32_e32 v68, v54, v53
	v_mul_f32_e32 v54, v64, v3
	v_add_f32_e32 v29, v29, v57
	v_mul_f32_e32 v57, v59, v5
	v_fmac_f32_e32 v66, v60, v2
	v_fma_f32 v53, v59, v4, -v67
	v_mul_f32_e32 v3, v63, v3
	v_fma_f32 v59, v63, v2, -v54
	v_fmac_f32_e32 v57, v60, v4
	v_mul_f32_e32 v60, v64, v5
	v_add_f32_e32 v66, v56, v66
	v_add_f32_e32 v67, v55, v53
	v_fmac_f32_e32 v3, v64, v2
	ds_read_b128 v[53:56], v37 offset:4288
	v_add_f32_e32 v70, v61, v59
	v_fma_f32 v2, v63, v4, -v60
	v_mul_f32_e32 v61, v63, v5
	s_waitcnt lgkmcnt(1)
	v_mul_f32_e32 v5, v7, v50
	v_add_f32_e32 v65, v65, v3
	v_mul_f32_e32 v63, v6, v50
	v_add_f32_e32 v71, v62, v2
	v_fmac_f32_e32 v61, v64, v4
	v_fma_f32 v62, v6, v49, -v5
	ds_read2_b64 v[2:5], v46 offset0:32 offset1:48
	v_mul_f32_e32 v64, v7, v52
	v_mul_f32_e32 v72, v6, v52
	v_add_f32_e32 v69, v58, v57
	ds_read_b128 v[57:60], v37 offset:208
	v_fmac_f32_e32 v63, v7, v49
	v_fma_f32 v6, v6, v51, -v64
	v_fmac_f32_e32 v72, v7, v51
	v_add_f32_e32 v68, v68, v62
	v_add_f32_e32 v29, v29, v61
	s_waitcnt lgkmcnt(2)
	v_mul_f32_e32 v73, v54, v50
	v_mul_f32_e32 v7, v53, v50
	;; [unrolled: 1-line block ×3, first 2 shown]
	v_add_f32_e32 v6, v67, v6
	v_add_f32_e32 v69, v69, v72
	v_fma_f32 v67, v53, v49, -v73
	v_fmac_f32_e32 v7, v54, v49
	v_mul_f32_e32 v72, v53, v52
	v_fma_f32 v49, v53, v51, -v50
	v_add_f32_e32 v66, v66, v63
	s_waitcnt lgkmcnt(1)
	v_mul_f32_e32 v50, v9, v3
	v_add_f32_e32 v53, v70, v67
	v_fmac_f32_e32 v72, v54, v51
	v_add_f32_e32 v54, v71, v49
	v_add_f32_e32 v7, v65, v7
	v_fma_f32 v67, v8, v2, -v50
	ds_read2_b64 v[49:52], v46 offset0:64 offset1:80
	v_mul_f32_e32 v65, v8, v3
	v_mul_f32_e32 v70, v9, v5
	ds_read_b128 v[61:64], v37 offset:4304
	v_add_f32_e32 v67, v68, v67
	v_mul_f32_e32 v68, v8, v5
	v_fmac_f32_e32 v65, v9, v2
	v_fma_f32 v8, v8, v4, -v70
	v_mul_f32_e32 v70, v56, v3
	v_mul_f32_e32 v3, v55, v3
	v_fmac_f32_e32 v68, v9, v4
	v_add_f32_e32 v65, v66, v65
	v_add_f32_e32 v6, v6, v8
	v_fma_f32 v8, v55, v2, -v70
	v_fmac_f32_e32 v3, v56, v2
	v_mul_f32_e32 v2, v56, v5
	v_mul_f32_e32 v66, v55, v5
	v_add_f32_e32 v9, v69, v68
	v_add_f32_e32 v8, v53, v8
	;; [unrolled: 1-line block ×3, first 2 shown]
	v_fma_f32 v53, v55, v4, -v2
	s_waitcnt lgkmcnt(1)
	v_mul_f32_e32 v55, v58, v50
	v_fmac_f32_e32 v66, v56, v4
	ds_read2_b64 v[2:5], v46 offset0:96 offset1:112
	v_mul_f32_e32 v68, v57, v52
	v_add_f32_e32 v53, v54, v53
	v_fma_f32 v54, v57, v49, -v55
	v_mul_f32_e32 v55, v58, v52
	v_mul_f32_e32 v56, v57, v50
	v_fmac_f32_e32 v68, v58, v51
	v_add_f32_e32 v29, v29, v72
	v_add_f32_e32 v54, v67, v54
	v_fma_f32 v55, v57, v51, -v55
	s_waitcnt lgkmcnt(1)
	v_mul_f32_e32 v57, v62, v50
	v_mul_f32_e32 v50, v61, v50
	v_fmac_f32_e32 v56, v58, v49
	v_add_f32_e32 v58, v9, v68
	v_add_f32_e32 v55, v6, v55
	v_mul_f32_e32 v6, v62, v52
	v_fma_f32 v9, v61, v49, -v57
	v_fmac_f32_e32 v50, v62, v49
	v_mul_f32_e32 v57, v61, v52
	v_add_f32_e32 v29, v29, v66
	v_fma_f32 v6, v61, v51, -v6
	s_waitcnt lgkmcnt(0)
	v_mul_f32_e32 v49, v60, v3
	v_add_f32_e32 v56, v65, v56
	v_add_f32_e32 v61, v8, v9
	;; [unrolled: 1-line block ×3, first 2 shown]
	v_fmac_f32_e32 v57, v62, v51
	v_add_f32_e32 v62, v53, v6
	v_fma_f32 v53, v59, v2, -v49
	ds_read_b128 v[6:9], v37 offset:224
	ds_read2_b64 v[49:52], v46 offset0:128 offset1:144
	v_mul_f32_e32 v66, v59, v3
	v_mul_f32_e32 v67, v60, v5
	v_add_f32_e32 v29, v29, v57
	v_mul_f32_e32 v57, v59, v5
	v_fmac_f32_e32 v66, v60, v2
	v_fma_f32 v59, v59, v4, -v67
	v_add_f32_e32 v67, v54, v53
	v_mul_f32_e32 v53, v64, v3
	v_fmac_f32_e32 v57, v60, v4
	v_add_f32_e32 v66, v56, v66
	v_add_f32_e32 v68, v55, v59
	v_mul_f32_e32 v3, v63, v3
	v_fma_f32 v59, v63, v2, -v53
	v_add_f32_e32 v69, v58, v57
	v_mul_f32_e32 v57, v64, v5
	ds_read_b128 v[53:56], v37 offset:4320
	v_fmac_f32_e32 v3, v64, v2
	v_add_f32_e32 v70, v61, v59
	v_mul_f32_e32 v61, v63, v5
	v_fma_f32 v2, v63, v4, -v57
	s_waitcnt lgkmcnt(1)
	v_mul_f32_e32 v5, v7, v50
	v_add_f32_e32 v65, v65, v3
	v_mul_f32_e32 v63, v7, v52
	v_fmac_f32_e32 v61, v64, v4
	v_add_f32_e32 v71, v62, v2
	v_fma_f32 v62, v6, v49, -v5
	ds_read2_b64 v[2:5], v46 offset0:160 offset1:176
	ds_read_b128 v[57:60], v37 offset:240
	v_mul_f32_e32 v72, v6, v50
	v_mul_f32_e32 v73, v6, v52
	v_fma_f32 v6, v6, v51, -v63
	v_add_f32_e32 v67, v67, v62
	v_add_f32_e32 v29, v29, v61
	v_fmac_f32_e32 v72, v7, v49
	v_fmac_f32_e32 v73, v7, v51
	s_waitcnt lgkmcnt(2)
	v_mul_f32_e32 v74, v54, v50
	v_mul_f32_e32 v7, v53, v50
	v_add_f32_e32 v6, v68, v6
	v_mul_f32_e32 v68, v54, v52
	v_add_f32_e32 v66, v66, v72
	v_fma_f32 v50, v53, v49, -v74
	v_fmac_f32_e32 v7, v54, v49
	v_mul_f32_e32 v72, v53, v52
	v_fma_f32 v49, v53, v51, -v68
	ds_read_b128 v[61:64], v37 offset:4336
	v_add_f32_e32 v70, v70, v50
	s_waitcnt lgkmcnt(2)
	v_mul_f32_e32 v50, v9, v3
	v_add_f32_e32 v7, v65, v7
	v_fmac_f32_e32 v72, v54, v51
	v_mul_f32_e32 v53, v8, v3
	v_add_f32_e32 v54, v71, v49
	v_fma_f32 v65, v8, v2, -v50
	ds_read2_b64 v[49:52], v46 offset0:192 offset1:208
	v_mul_f32_e32 v68, v9, v5
	v_fmac_f32_e32 v53, v9, v2
	v_add_f32_e32 v69, v69, v73
	v_add_f32_e32 v65, v67, v65
	v_mul_f32_e32 v67, v8, v5
	v_fma_f32 v8, v8, v4, -v68
	v_add_f32_e32 v53, v66, v53
	v_mul_f32_e32 v66, v56, v3
	v_mul_f32_e32 v3, v55, v3
	v_fmac_f32_e32 v67, v9, v4
	v_add_f32_e32 v6, v6, v8
	v_mul_f32_e32 v8, v56, v5
	v_fma_f32 v9, v55, v2, -v66
	v_fmac_f32_e32 v3, v56, v2
	v_add_f32_e32 v66, v69, v67
	v_mul_f32_e32 v67, v55, v5
	v_fma_f32 v2, v55, v4, -v8
	v_add_f32_e32 v8, v70, v9
	v_add_f32_e32 v7, v7, v3
	s_waitcnt lgkmcnt(0)
	v_mul_f32_e32 v9, v58, v50
	v_fmac_f32_e32 v67, v56, v4
	v_add_f32_e32 v54, v54, v2
	ds_read2_b64 v[2:5], v46 offset0:224 offset1:240
	v_mul_f32_e32 v55, v57, v50
	v_fma_f32 v9, v57, v49, -v9
	v_mul_f32_e32 v56, v58, v52
	v_add_f32_e32 v29, v29, v72
	s_waitcnt lgkmcnt(0)
	v_fmac_f32_e32 v55, v58, v49
	v_add_f32_e32 v9, v65, v9
	v_mul_f32_e32 v65, v62, v50
	v_fma_f32 v56, v57, v51, -v56
	v_mul_f32_e32 v50, v61, v50
	v_add_f32_e32 v53, v53, v55
	v_add_f32_e32 v29, v29, v67
	v_fma_f32 v55, v61, v49, -v65
	v_mul_f32_e32 v67, v57, v52
	v_add_f32_e32 v6, v6, v56
	v_mul_f32_e32 v56, v62, v52
	v_fmac_f32_e32 v50, v62, v49
	v_add_f32_e32 v8, v8, v55
	v_mul_f32_e32 v49, v61, v52
	v_mul_f32_e32 v55, v60, v3
	v_fmac_f32_e32 v67, v58, v51
	v_fma_f32 v52, v61, v51, -v56
	v_add_f32_e32 v7, v7, v50
	v_fmac_f32_e32 v49, v62, v51
	v_fma_f32 v50, v59, v2, -v55
	v_mul_f32_e32 v51, v60, v5
	v_mul_f32_e32 v56, v59, v3
	v_add_f32_e32 v58, v54, v52
	v_mul_f32_e32 v61, v59, v5
	v_add_f32_e32 v29, v29, v49
	v_add_f32_e32 v54, v9, v50
	v_fma_f32 v9, v59, v4, -v51
	v_mul_f32_e32 v49, v64, v3
	v_mul_f32_e32 v3, v63, v3
	;; [unrolled: 1-line block ×4, first 2 shown]
	v_add_f32_e32 v57, v66, v67
	v_fmac_f32_e32 v56, v60, v2
	v_fmac_f32_e32 v61, v60, v4
	v_add_f32_e32 v52, v6, v9
	v_fma_f32 v6, v63, v2, -v49
	v_fmac_f32_e32 v3, v64, v2
	v_fma_f32 v2, v63, v4, -v50
	v_fmac_f32_e32 v5, v64, v4
	v_add_f32_e32 v55, v53, v56
	v_add_f32_e32 v53, v57, v61
	;; [unrolled: 1-line block ×6, first 2 shown]
	s_barrier
	buffer_gl0_inv
	s_cbranch_scc1 .LBB78_55
.LBB78_7:                               ;   Parent Loop BB78_4 Depth=1
                                        ; =>  This Inner Loop Header: Depth=2
	v_add_co_u32 v4, s5, v1, s20
	v_add_co_ci_u32_e64 v5, null, 0, s21, s5
	v_cmp_eq_u64_e64 s8, s[20:21], v[16:17]
	v_cmp_le_i64_e64 s6, s[18:19], v[4:5]
	v_cmp_gt_i64_e64 s5, v[4:5], v[12:13]
	s_and_b32 s26, s41, s8
	v_add_co_u32 v2, s8, v40, s16
	v_add_co_ci_u32_e64 v3, null, s17, v41, s8
	s_or_b32 s9, s6, s5
	s_or_b32 s8, s9, s26
	s_nor_b32 s8, s0, s8
	s_and_saveexec_b32 s9, s8
	s_xor_b32 s8, exec_lo, s9
	s_cbranch_execz .LBB78_9
; %bb.8:                                ;   in Loop: Header=BB78_7 Depth=2
	global_load_dwordx2 v[6:7], v[2:3], off
	s_waitcnt vmcnt(0)
	ds_write_b64 v38, v[6:7]
.LBB78_9:                               ;   in Loop: Header=BB78_7 Depth=2
	s_or_saveexec_b32 s8, s8
	s_xor_b32 s25, s26, -1
	s_xor_b32 exec_lo, exec_lo, s8
	s_cbranch_execz .LBB78_15
; %bb.10:                               ;   in Loop: Header=BB78_7 Depth=2
	s_and_saveexec_b32 s9, s25
	s_xor_b32 s9, exec_lo, s9
; %bb.11:                               ;   in Loop: Header=BB78_7 Depth=2
	v_mov_b32_e32 v6, v11
	v_mov_b32_e32 v7, v11
	ds_write_b64 v38, v[6:7]
; %bb.12:                               ;   in Loop: Header=BB78_7 Depth=2
	s_andn2_saveexec_b32 s9, s9
; %bb.13:                               ;   in Loop: Header=BB78_7 Depth=2
	ds_write_b64 v38, v[10:11]
; %bb.14:                               ;   in Loop: Header=BB78_7 Depth=2
	s_or_b32 exec_lo, exec_lo, s9
.LBB78_15:                              ;   in Loop: Header=BB78_7 Depth=2
	s_or_b32 exec_lo, exec_lo, s8
	v_cmp_eq_u64_e64 s8, s[20:21], v[18:19]
	v_cmp_lt_i64_e64 s9, v[14:15], v[4:5]
	s_and_b32 s8, s41, s8
	s_or_b32 s6, s6, s9
	s_or_b32 s6, s6, s8
	s_nor_b32 s6, s3, s6
	s_and_saveexec_b32 s9, s6
	s_xor_b32 s9, exec_lo, s9
	s_cbranch_execz .LBB78_17
; %bb.16:                               ;   in Loop: Header=BB78_7 Depth=2
	v_add_co_u32 v6, s6, v42, s16
	v_add_co_ci_u32_e64 v7, null, s17, v43, s6
	global_load_dwordx2 v[6:7], v[6:7], off
	s_waitcnt vmcnt(0)
	ds_write_b64 v38, v[6:7] offset:128
.LBB78_17:                              ;   in Loop: Header=BB78_7 Depth=2
	s_andn2_saveexec_b32 s6, s9
	s_cbranch_execz .LBB78_23
; %bb.18:                               ;   in Loop: Header=BB78_7 Depth=2
	s_xor_b32 s8, s8, -1
	s_and_saveexec_b32 s9, s8
	s_xor_b32 s8, exec_lo, s9
; %bb.19:                               ;   in Loop: Header=BB78_7 Depth=2
	v_mov_b32_e32 v6, v11
	v_mov_b32_e32 v7, v11
	ds_write_b64 v38, v[6:7] offset:128
; %bb.20:                               ;   in Loop: Header=BB78_7 Depth=2
	s_andn2_saveexec_b32 s8, s8
; %bb.21:                               ;   in Loop: Header=BB78_7 Depth=2
	ds_write_b64 v38, v[10:11] offset:128
; %bb.22:                               ;   in Loop: Header=BB78_7 Depth=2
	s_or_b32 exec_lo, exec_lo, s8
.LBB78_23:                              ;   in Loop: Header=BB78_7 Depth=2
	s_or_b32 exec_lo, exec_lo, s6
	v_add_co_u32 v4, s6, v4, 16
	v_add_co_ci_u32_e64 v5, null, 0, v5, s6
	v_cmp_eq_u64_e64 s8, s[20:21], v[22:23]
	v_cmp_le_i64_e64 s6, s[18:19], v[4:5]
	v_cmp_gt_i64_e64 s9, v[4:5], v[12:13]
	s_and_b32 s27, s41, s8
	s_or_b32 s8, s6, s9
	s_or_b32 s8, s8, s27
	s_nor_b32 s8, s0, s8
	s_and_saveexec_b32 s9, s8
	s_xor_b32 s8, exec_lo, s9
	s_cbranch_execz .LBB78_25
; %bb.24:                               ;   in Loop: Header=BB78_7 Depth=2
	global_load_dwordx2 v[2:3], v[2:3], off offset:128
	s_waitcnt vmcnt(0)
	ds_write_b64 v38, v[2:3] offset:4096
.LBB78_25:                              ;   in Loop: Header=BB78_7 Depth=2
	s_andn2_saveexec_b32 s8, s8
	s_cbranch_execz .LBB78_31
; %bb.26:                               ;   in Loop: Header=BB78_7 Depth=2
	s_xor_b32 s9, s27, -1
	s_and_saveexec_b32 s27, s9
	s_xor_b32 s9, exec_lo, s27
; %bb.27:                               ;   in Loop: Header=BB78_7 Depth=2
	v_mov_b32_e32 v2, v11
	v_mov_b32_e32 v3, v11
	ds_write_b64 v38, v[2:3] offset:4096
; %bb.28:                               ;   in Loop: Header=BB78_7 Depth=2
	s_andn2_saveexec_b32 s9, s9
; %bb.29:                               ;   in Loop: Header=BB78_7 Depth=2
	ds_write_b64 v38, v[10:11] offset:4096
; %bb.30:                               ;   in Loop: Header=BB78_7 Depth=2
	s_or_b32 exec_lo, exec_lo, s9
.LBB78_31:                              ;   in Loop: Header=BB78_7 Depth=2
	s_or_b32 exec_lo, exec_lo, s8
	s_or_b32 s5, s6, s5
	s_or_b32 s5, s5, s26
	s_nor_b32 s5, s3, s5
	s_and_saveexec_b32 s6, s5
	s_xor_b32 s6, exec_lo, s6
	s_cbranch_execz .LBB78_33
; %bb.32:                               ;   in Loop: Header=BB78_7 Depth=2
	v_add_co_u32 v2, s5, v42, s16
	v_add_co_ci_u32_e64 v3, null, s17, v43, s5
	global_load_dwordx2 v[2:3], v[2:3], off offset:128
	s_waitcnt vmcnt(0)
	ds_write_b64 v38, v[2:3] offset:4224
.LBB78_33:                              ;   in Loop: Header=BB78_7 Depth=2
	s_andn2_saveexec_b32 s5, s6
	s_cbranch_execz .LBB78_39
; %bb.34:                               ;   in Loop: Header=BB78_7 Depth=2
	s_and_saveexec_b32 s6, s25
	s_xor_b32 s6, exec_lo, s6
; %bb.35:                               ;   in Loop: Header=BB78_7 Depth=2
	v_mov_b32_e32 v2, v11
	v_mov_b32_e32 v3, v11
	ds_write_b64 v38, v[2:3] offset:4224
; %bb.36:                               ;   in Loop: Header=BB78_7 Depth=2
	s_andn2_saveexec_b32 s6, s6
; %bb.37:                               ;   in Loop: Header=BB78_7 Depth=2
	ds_write_b64 v38, v[10:11] offset:4224
; %bb.38:                               ;   in Loop: Header=BB78_7 Depth=2
	s_or_b32 exec_lo, exec_lo, s6
.LBB78_39:                              ;   in Loop: Header=BB78_7 Depth=2
	s_or_b32 exec_lo, exec_lo, s5
	v_add_co_u32 v2, s5, v0, s20
	v_add_co_ci_u32_e64 v3, null, 0, s21, s5
	v_cmp_gt_i64_e64 s5, s[18:19], v[2:3]
	s_and_b32 s6, vcc_lo, s5
	s_xor_b32 s6, s6, -1
	s_and_saveexec_b32 s8, s6
	s_xor_b32 s6, exec_lo, s8
; %bb.40:                               ;   in Loop: Header=BB78_7 Depth=2
	v_mov_b32_e32 v4, v11
	v_mov_b32_e32 v5, v11
	ds_write_b64 v39, v[4:5]
; %bb.41:                               ;   in Loop: Header=BB78_7 Depth=2
	s_or_saveexec_b32 s8, s6
	v_add_co_u32 v4, s6, v32, s16
	v_add_co_ci_u32_e64 v5, null, s17, v33, s6
	s_xor_b32 exec_lo, exec_lo, s8
	s_cbranch_execz .LBB78_43
; %bb.42:                               ;   in Loop: Header=BB78_7 Depth=2
	global_load_dwordx2 v[6:7], v[4:5], off offset:-128
	s_waitcnt vmcnt(0)
	ds_write_b64 v39, v[6:7]
.LBB78_43:                              ;   in Loop: Header=BB78_7 Depth=2
	s_or_b32 exec_lo, exec_lo, s8
	v_cmp_gt_i64_e64 s6, s[22:23], v[2:3]
	s_and_b32 s8, vcc_lo, s6
	s_xor_b32 s8, s8, -1
	s_and_saveexec_b32 s9, s8
	s_xor_b32 s8, exec_lo, s9
; %bb.44:                               ;   in Loop: Header=BB78_7 Depth=2
	v_mov_b32_e32 v2, v11
	v_mov_b32_e32 v3, v11
                                        ; implicit-def: $vgpr4_vgpr5
	ds_write_b64 v39, v[2:3] offset:128
; %bb.45:                               ;   in Loop: Header=BB78_7 Depth=2
	s_andn2_saveexec_b32 s8, s8
	s_cbranch_execz .LBB78_47
; %bb.46:                               ;   in Loop: Header=BB78_7 Depth=2
	global_load_dwordx2 v[2:3], v[4:5], off
	s_waitcnt vmcnt(0)
	ds_write_b64 v39, v[2:3] offset:128
.LBB78_47:                              ;   in Loop: Header=BB78_7 Depth=2
	s_or_b32 exec_lo, exec_lo, s8
	s_and_b32 s5, s4, s5
	s_xor_b32 s5, s5, -1
	s_and_saveexec_b32 s8, s5
	s_xor_b32 s5, exec_lo, s8
; %bb.48:                               ;   in Loop: Header=BB78_7 Depth=2
	v_mov_b32_e32 v2, v11
	v_mov_b32_e32 v3, v11
	ds_write_b64 v39, v[2:3] offset:4096
; %bb.49:                               ;   in Loop: Header=BB78_7 Depth=2
	s_or_saveexec_b32 s8, s5
	v_add_co_u32 v2, s5, v34, s16
	v_add_co_ci_u32_e64 v3, null, s17, v35, s5
	s_xor_b32 exec_lo, exec_lo, s8
	s_cbranch_execz .LBB78_51
; %bb.50:                               ;   in Loop: Header=BB78_7 Depth=2
	global_load_dwordx2 v[4:5], v[2:3], off
	s_waitcnt vmcnt(0)
	ds_write_b64 v39, v[4:5] offset:4096
.LBB78_51:                              ;   in Loop: Header=BB78_7 Depth=2
	s_or_b32 exec_lo, exec_lo, s8
	s_and_b32 s5, s4, s6
	s_xor_b32 s5, s5, -1
	s_and_saveexec_b32 s6, s5
	s_xor_b32 s5, exec_lo, s6
; %bb.52:                               ;   in Loop: Header=BB78_7 Depth=2
	v_mov_b32_e32 v2, v11
	v_mov_b32_e32 v3, v11
	ds_write_b64 v39, v[2:3] offset:4224
                                        ; implicit-def: $vgpr2_vgpr3
; %bb.53:                               ;   in Loop: Header=BB78_7 Depth=2
	s_andn2_saveexec_b32 s5, s5
	s_cbranch_execz .LBB78_6
; %bb.54:                               ;   in Loop: Header=BB78_7 Depth=2
	global_load_dwordx2 v[2:3], v[2:3], off offset:128
	s_waitcnt vmcnt(0)
	ds_write_b64 v39, v[2:3] offset:4224
	s_branch .LBB78_6
.LBB78_55:                              ;   in Loop: Header=BB78_4 Depth=1
	v_mul_lo_u32 v4, s29, v47
	v_mul_lo_u32 v5, s28, v48
	v_mad_u64_u32 v[2:3], null, s28, v47, 0
	v_cmp_gt_i32_e32 vcc_lo, s14, v47
	v_add3_u32 v3, v3, v5, v4
	v_lshlrev_b64 v[2:3], 3, v[2:3]
	v_add_co_u32 v2, s4, s30, v2
	v_add_co_ci_u32_e64 v3, null, s31, v3, s4
	s_and_b32 s4, s1, vcc_lo
	s_and_saveexec_b32 s5, s4
	s_cbranch_execz .LBB78_57
; %bb.56:                               ;   in Loop: Header=BB78_4 Depth=1
	v_add_co_u32 v4, s4, v2, v20
	v_add_co_ci_u32_e64 v5, null, v3, v21, s4
	v_mul_f32_e32 v8, s11, v55
	v_mul_f32_e32 v9, s10, v55
	global_load_dwordx2 v[6:7], v[4:5], off
	v_fma_f32 v8, v54, s10, -v8
	v_fmac_f32_e32 v9, s11, v54
	s_waitcnt vmcnt(0)
	v_add_f32_e32 v6, v6, v8
	v_add_f32_e32 v7, v9, v7
	global_store_dwordx2 v[4:5], v[6:7], off
.LBB78_57:                              ;   in Loop: Header=BB78_4 Depth=1
	s_or_b32 exec_lo, exec_lo, s5
	s_and_b32 s5, s2, vcc_lo
	s_and_saveexec_b32 s4, s5
	s_cbranch_execz .LBB78_59
; %bb.58:                               ;   in Loop: Header=BB78_4 Depth=1
	v_add_co_u32 v2, vcc_lo, v2, v30
	v_add_co_ci_u32_e64 v3, null, v3, v31, vcc_lo
	v_mul_f32_e32 v6, s11, v53
	v_mul_f32_e32 v7, s10, v53
	global_load_dwordx2 v[4:5], v[2:3], off
	v_fma_f32 v6, v52, s10, -v6
	v_fmac_f32_e32 v7, s11, v52
	s_waitcnt vmcnt(0)
	v_add_f32_e32 v4, v4, v6
	v_add_f32_e32 v5, v7, v5
	global_store_dwordx2 v[2:3], v[4:5], off
.LBB78_59:                              ;   in Loop: Header=BB78_4 Depth=1
	s_or_b32 exec_lo, exec_lo, s4
	v_add_nc_u32_e32 v4, 16, v47
	v_ashrrev_i32_e32 v5, 31, v4
	v_mul_lo_u32 v6, s29, v4
	v_mad_u64_u32 v[2:3], null, s28, v4, 0
	v_cmp_gt_i32_e32 vcc_lo, s14, v4
	v_mul_lo_u32 v5, s28, v5
	v_add3_u32 v3, v3, v5, v6
	v_lshlrev_b64 v[2:3], 3, v[2:3]
	v_add_co_u32 v2, s4, s30, v2
	v_add_co_ci_u32_e64 v3, null, s31, v3, s4
	s_and_b32 s4, s1, vcc_lo
	s_and_saveexec_b32 s5, s4
	s_cbranch_execz .LBB78_61
; %bb.60:                               ;   in Loop: Header=BB78_4 Depth=1
	v_add_co_u32 v4, s4, v2, v20
	v_add_co_ci_u32_e64 v5, null, v3, v21, s4
	v_mul_f32_e32 v8, s11, v50
	v_mul_f32_e32 v9, s10, v50
	global_load_dwordx2 v[6:7], v[4:5], off
	v_fma_f32 v8, v51, s10, -v8
	v_fmac_f32_e32 v9, s11, v51
	s_waitcnt vmcnt(0)
	v_add_f32_e32 v6, v6, v8
	v_add_f32_e32 v7, v9, v7
	global_store_dwordx2 v[4:5], v[6:7], off
.LBB78_61:                              ;   in Loop: Header=BB78_4 Depth=1
	s_or_b32 exec_lo, exec_lo, s5
	s_and_b32 s5, s2, vcc_lo
	s_and_saveexec_b32 s4, s5
	s_cbranch_execz .LBB78_3
; %bb.62:                               ;   in Loop: Header=BB78_4 Depth=1
	v_add_co_u32 v2, vcc_lo, v2, v30
	v_add_co_ci_u32_e64 v3, null, v3, v31, vcc_lo
	v_mul_f32_e32 v6, s11, v29
	v_mul_f32_e32 v7, s10, v29
	global_load_dwordx2 v[4:5], v[2:3], off
	v_fma_f32 v6, v49, s10, -v6
	v_fmac_f32_e32 v7, s11, v49
	s_waitcnt vmcnt(0)
	v_add_f32_e32 v4, v4, v6
	v_add_f32_e32 v5, v7, v5
	global_store_dwordx2 v[2:3], v[4:5], off
	s_branch .LBB78_3
.LBB78_63:
	s_endpgm
	.section	.rodata,"a",@progbits
	.p2align	6, 0x0
	.amdhsa_kernel _ZL30rocblas_trmm_outofplace_kernelI19rocblas_complex_numIfELi32ELi2ELb1ELb1ELb1ELb0EPKS1_S2_S1_Ev17rocblas_diagonal_iiT6_lPT7_lllS7_lllPT8_llli
		.amdhsa_group_segment_fixed_size 16384
		.amdhsa_private_segment_fixed_size 0
		.amdhsa_kernarg_size 392
		.amdhsa_user_sgpr_count 6
		.amdhsa_user_sgpr_private_segment_buffer 1
		.amdhsa_user_sgpr_dispatch_ptr 0
		.amdhsa_user_sgpr_queue_ptr 0
		.amdhsa_user_sgpr_kernarg_segment_ptr 1
		.amdhsa_user_sgpr_dispatch_id 0
		.amdhsa_user_sgpr_flat_scratch_init 0
		.amdhsa_user_sgpr_private_segment_size 0
		.amdhsa_wavefront_size32 1
		.amdhsa_uses_dynamic_stack 0
		.amdhsa_system_sgpr_private_segment_wavefront_offset 0
		.amdhsa_system_sgpr_workgroup_id_x 1
		.amdhsa_system_sgpr_workgroup_id_y 1
		.amdhsa_system_sgpr_workgroup_id_z 1
		.amdhsa_system_sgpr_workgroup_info 0
		.amdhsa_system_vgpr_workitem_id 1
		.amdhsa_next_free_vgpr 86
		.amdhsa_next_free_sgpr 46
		.amdhsa_reserve_vcc 1
		.amdhsa_reserve_flat_scratch 0
		.amdhsa_float_round_mode_32 0
		.amdhsa_float_round_mode_16_64 0
		.amdhsa_float_denorm_mode_32 3
		.amdhsa_float_denorm_mode_16_64 3
		.amdhsa_dx10_clamp 1
		.amdhsa_ieee_mode 1
		.amdhsa_fp16_overflow 0
		.amdhsa_workgroup_processor_mode 1
		.amdhsa_memory_ordered 1
		.amdhsa_forward_progress 1
		.amdhsa_shared_vgpr_count 0
		.amdhsa_exception_fp_ieee_invalid_op 0
		.amdhsa_exception_fp_denorm_src 0
		.amdhsa_exception_fp_ieee_div_zero 0
		.amdhsa_exception_fp_ieee_overflow 0
		.amdhsa_exception_fp_ieee_underflow 0
		.amdhsa_exception_fp_ieee_inexact 0
		.amdhsa_exception_int_div_zero 0
	.end_amdhsa_kernel
	.section	.text._ZL30rocblas_trmm_outofplace_kernelI19rocblas_complex_numIfELi32ELi2ELb1ELb1ELb1ELb0EPKS1_S2_S1_Ev17rocblas_diagonal_iiT6_lPT7_lllS7_lllPT8_llli,"axG",@progbits,_ZL30rocblas_trmm_outofplace_kernelI19rocblas_complex_numIfELi32ELi2ELb1ELb1ELb1ELb0EPKS1_S2_S1_Ev17rocblas_diagonal_iiT6_lPT7_lllS7_lllPT8_llli,comdat
.Lfunc_end78:
	.size	_ZL30rocblas_trmm_outofplace_kernelI19rocblas_complex_numIfELi32ELi2ELb1ELb1ELb1ELb0EPKS1_S2_S1_Ev17rocblas_diagonal_iiT6_lPT7_lllS7_lllPT8_llli, .Lfunc_end78-_ZL30rocblas_trmm_outofplace_kernelI19rocblas_complex_numIfELi32ELi2ELb1ELb1ELb1ELb0EPKS1_S2_S1_Ev17rocblas_diagonal_iiT6_lPT7_lllS7_lllPT8_llli
                                        ; -- End function
	.set _ZL30rocblas_trmm_outofplace_kernelI19rocblas_complex_numIfELi32ELi2ELb1ELb1ELb1ELb0EPKS1_S2_S1_Ev17rocblas_diagonal_iiT6_lPT7_lllS7_lllPT8_llli.num_vgpr, 86
	.set _ZL30rocblas_trmm_outofplace_kernelI19rocblas_complex_numIfELi32ELi2ELb1ELb1ELb1ELb0EPKS1_S2_S1_Ev17rocblas_diagonal_iiT6_lPT7_lllS7_lllPT8_llli.num_agpr, 0
	.set _ZL30rocblas_trmm_outofplace_kernelI19rocblas_complex_numIfELi32ELi2ELb1ELb1ELb1ELb0EPKS1_S2_S1_Ev17rocblas_diagonal_iiT6_lPT7_lllS7_lllPT8_llli.numbered_sgpr, 46
	.set _ZL30rocblas_trmm_outofplace_kernelI19rocblas_complex_numIfELi32ELi2ELb1ELb1ELb1ELb0EPKS1_S2_S1_Ev17rocblas_diagonal_iiT6_lPT7_lllS7_lllPT8_llli.num_named_barrier, 0
	.set _ZL30rocblas_trmm_outofplace_kernelI19rocblas_complex_numIfELi32ELi2ELb1ELb1ELb1ELb0EPKS1_S2_S1_Ev17rocblas_diagonal_iiT6_lPT7_lllS7_lllPT8_llli.private_seg_size, 0
	.set _ZL30rocblas_trmm_outofplace_kernelI19rocblas_complex_numIfELi32ELi2ELb1ELb1ELb1ELb0EPKS1_S2_S1_Ev17rocblas_diagonal_iiT6_lPT7_lllS7_lllPT8_llli.uses_vcc, 1
	.set _ZL30rocblas_trmm_outofplace_kernelI19rocblas_complex_numIfELi32ELi2ELb1ELb1ELb1ELb0EPKS1_S2_S1_Ev17rocblas_diagonal_iiT6_lPT7_lllS7_lllPT8_llli.uses_flat_scratch, 0
	.set _ZL30rocblas_trmm_outofplace_kernelI19rocblas_complex_numIfELi32ELi2ELb1ELb1ELb1ELb0EPKS1_S2_S1_Ev17rocblas_diagonal_iiT6_lPT7_lllS7_lllPT8_llli.has_dyn_sized_stack, 0
	.set _ZL30rocblas_trmm_outofplace_kernelI19rocblas_complex_numIfELi32ELi2ELb1ELb1ELb1ELb0EPKS1_S2_S1_Ev17rocblas_diagonal_iiT6_lPT7_lllS7_lllPT8_llli.has_recursion, 0
	.set _ZL30rocblas_trmm_outofplace_kernelI19rocblas_complex_numIfELi32ELi2ELb1ELb1ELb1ELb0EPKS1_S2_S1_Ev17rocblas_diagonal_iiT6_lPT7_lllS7_lllPT8_llli.has_indirect_call, 0
	.section	.AMDGPU.csdata,"",@progbits
; Kernel info:
; codeLenInByte = 6620
; TotalNumSgprs: 48
; NumVgprs: 86
; ScratchSize: 0
; MemoryBound: 1
; FloatMode: 240
; IeeeMode: 1
; LDSByteSize: 16384 bytes/workgroup (compile time only)
; SGPRBlocks: 0
; VGPRBlocks: 10
; NumSGPRsForWavesPerEU: 48
; NumVGPRsForWavesPerEU: 86
; Occupancy: 10
; WaveLimiterHint : 0
; COMPUTE_PGM_RSRC2:SCRATCH_EN: 0
; COMPUTE_PGM_RSRC2:USER_SGPR: 6
; COMPUTE_PGM_RSRC2:TRAP_HANDLER: 0
; COMPUTE_PGM_RSRC2:TGID_X_EN: 1
; COMPUTE_PGM_RSRC2:TGID_Y_EN: 1
; COMPUTE_PGM_RSRC2:TGID_Z_EN: 1
; COMPUTE_PGM_RSRC2:TIDIG_COMP_CNT: 1
	.section	.text._ZL30rocblas_trmm_outofplace_kernelI19rocblas_complex_numIfELi32ELi2ELb1ELb1ELb1ELb0ES1_KS1_S1_Ev17rocblas_diagonal_iiT6_lPT7_lllS6_lllPT8_llli,"axG",@progbits,_ZL30rocblas_trmm_outofplace_kernelI19rocblas_complex_numIfELi32ELi2ELb1ELb1ELb1ELb0ES1_KS1_S1_Ev17rocblas_diagonal_iiT6_lPT7_lllS6_lllPT8_llli,comdat
	.globl	_ZL30rocblas_trmm_outofplace_kernelI19rocblas_complex_numIfELi32ELi2ELb1ELb1ELb1ELb0ES1_KS1_S1_Ev17rocblas_diagonal_iiT6_lPT7_lllS6_lllPT8_llli ; -- Begin function _ZL30rocblas_trmm_outofplace_kernelI19rocblas_complex_numIfELi32ELi2ELb1ELb1ELb1ELb0ES1_KS1_S1_Ev17rocblas_diagonal_iiT6_lPT7_lllS6_lllPT8_llli
	.p2align	8
	.type	_ZL30rocblas_trmm_outofplace_kernelI19rocblas_complex_numIfELi32ELi2ELb1ELb1ELb1ELb0ES1_KS1_S1_Ev17rocblas_diagonal_iiT6_lPT7_lllS6_lllPT8_llli,@function
_ZL30rocblas_trmm_outofplace_kernelI19rocblas_complex_numIfELi32ELi2ELb1ELb1ELb1ELb0ES1_KS1_S1_Ev17rocblas_diagonal_iiT6_lPT7_lllS6_lllPT8_llli: ; @_ZL30rocblas_trmm_outofplace_kernelI19rocblas_complex_numIfELi32ELi2ELb1ELb1ELb1ELb0ES1_KS1_S1_Ev17rocblas_diagonal_iiT6_lPT7_lllS6_lllPT8_llli
; %bb.0:
	s_clause 0x1
	s_load_dwordx4 s[28:31], s[4:5], 0x0
	s_load_dword s33, s[4:5], 0x10
	s_waitcnt lgkmcnt(0)
	s_or_b32 s0, s31, s33
	s_bitset0_b32 s0, 31
	s_cmp_eq_u32 s0, 0
	s_cbranch_scc1 .LBB79_63
; %bb.1:
	s_add_i32 s0, s30, -1
	s_ashr_i32 s1, s0, 31
	s_lshr_b32 s1, s1, 27
	s_add_i32 s0, s0, s1
	s_ashr_i32 s44, s0, 5
	s_cmp_gt_i32 s7, s44
	s_cbranch_scc1 .LBB79_63
; %bb.2:
	s_clause 0x2
	s_load_dwordx16 s[12:27], s[4:5], 0x20
	s_load_dwordx8 s[36:43], s[4:5], 0x60
	s_load_dword s45, s[4:5], 0x8c
	v_lshlrev_b32_e32 v2, 8, v1
	v_lshlrev_b32_e32 v36, 3, v0
	;; [unrolled: 1-line block ×3, first 2 shown]
	s_mov_b32 s10, s29
	v_mov_b32_e32 v11, 0
	v_add_nc_u32_e32 v38, 0x2000, v2
	v_add_nc_u32_e32 v37, v36, v2
	v_lshl_add_u32 v28, s7, 5, v1
	v_mov_b32_e32 v10, 1.0
	v_add_nc_u32_e32 v44, 0x800, v36
	v_add_nc_u32_e32 v39, v38, v36
	;; [unrolled: 1-line block ×4, first 2 shown]
	s_waitcnt lgkmcnt(0)
	s_mul_i32 s1, s19, s8
	s_mul_hi_u32 s2, s18, s8
	s_mul_i32 s0, s18, s8
	s_add_i32 s1, s2, s1
	s_mul_i32 s2, s43, s8
	s_lshl_b64 s[4:5], s[0:1], 3
	s_mul_hi_u32 s1, s42, s8
	s_add_u32 s3, s12, s4
	s_addc_u32 s9, s13, s5
	s_lshl_b64 s[34:35], s[14:15], 3
	s_mul_i32 s0, s42, s8
	s_add_u32 s18, s3, s34
	s_addc_u32 s19, s9, s35
	s_add_i32 s1, s1, s2
	s_mul_i32 s3, s27, s8
	s_lshl_b64 s[0:1], s[0:1], 3
	s_add_u32 s2, s36, s0
	s_addc_u32 s9, s37, s1
	s_lshl_b64 s[0:1], s[38:39], 3
	s_mul_hi_u32 s39, s26, s8
	s_add_u32 s27, s2, s0
	s_addc_u32 s36, s9, s1
	s_lshl_b32 s37, s6, 5
	s_cmp_gt_i32 s6, -1
	v_add_nc_u32_e32 v12, s37, v0
	s_cselect_b32 s38, -1, 0
	s_cmpk_eq_i32 s28, 0x84
	s_mul_i32 s2, s26, s8
	s_cselect_b32 s26, -1, 0
	v_ashrrev_i32_e32 v13, 31, v12
	v_mul_lo_u32 v5, s17, v12
	v_mad_u64_u32 v[2:3], null, s16, v12, 0
	v_add_co_u32 v14, vcc_lo, v12, 16
	v_mul_lo_u32 v7, s16, v13
	v_add_co_ci_u32_e64 v15, null, 0, v13, vcc_lo
	v_sub_co_u32 v16, vcc_lo, v12, v1
	v_subrev_co_ci_u32_e64 v17, null, 0, v13, vcc_lo
	s_ashr_i32 s11, s29, 31
	v_add3_u32 v3, v3, v7, v5
	s_ashr_i32 s28, s30, 31
	v_lshlrev_b64 v[20:21], 3, v[12:13]
	s_add_u32 s14, s29, -16
	s_addc_u32 s15, s11, -1
	v_lshlrev_b64 v[2:3], 3, v[2:3]
	s_add_i32 s3, s39, s3
	v_add_nc_u32_e32 v4, 16, v12
	s_lshl_b64 s[8:9], s[2:3], 3
	v_cmp_le_i64_e64 s3, s[10:11], v[14:15]
	v_cmp_le_i32_e64 s0, s29, v12
	v_add_co_u32 v2, vcc_lo, s18, v2
	v_add_co_ci_u32_e64 v3, null, s19, v3, vcc_lo
	s_lshl_b64 s[18:19], s[22:23], 3
	v_add_co_u32 v40, vcc_lo, v2, v6
	v_add_co_ci_u32_e64 v41, null, 0, v3, vcc_lo
	v_add_co_u32 v18, vcc_lo, v16, 16
	v_add_co_ci_u32_e64 v19, null, 0, v17, vcc_lo
	s_add_u32 s6, s8, s18
	v_add_co_u32 v7, vcc_lo, 0x80, v20
	s_addc_u32 s8, s9, s19
	s_add_u32 s6, s20, s6
	v_add_co_ci_u32_e64 v8, null, 0, v21, vcc_lo
	s_addc_u32 s8, s21, s8
	s_lshl_b64 s[18:19], s[24:25], 3
	s_lshl_b32 s20, s45, 5
	s_add_u32 s4, s34, s4
	s_addc_u32 s5, s35, s5
	v_mul_lo_u32 v8, s16, v8
	v_mad_u64_u32 v[2:3], null, s16, v7, s[4:5]
	v_mul_lo_u32 v7, s17, v7
	v_add_co_u32 v24, s4, s6, v36
	v_add_co_ci_u32_e64 v25, null, s8, 0, s4
	v_add_co_u32 v22, vcc_lo, v16, -16
	v_add_co_ci_u32_e64 v23, null, -1, v17, vcc_lo
	v_add3_u32 v3, v7, v3, v8
	v_add_co_u32 v26, vcc_lo, 0x80, v24
	v_add_co_ci_u32_e64 v27, null, 0, v25, vcc_lo
	v_add_co_u32 v2, vcc_lo, v2, v6
	v_ashrrev_i32_e32 v5, 31, v4
	v_add_co_ci_u32_e64 v3, null, 0, v3, vcc_lo
	v_add_co_u32 v42, vcc_lo, s12, v2
	v_lshlrev_b64 v[30:31], 3, v[4:5]
	v_cmp_gt_i32_e64 s1, s29, v12
	v_cmp_gt_i32_e64 s2, s29, v4
	v_add_co_ci_u32_e64 v43, null, s13, v3, vcc_lo
	s_mov_b32 s21, s30
	s_branch .LBB79_4
.LBB79_3:                               ;   in Loop: Header=BB79_4 Depth=1
	s_or_b32 exec_lo, exec_lo, s4
	v_add_nc_u32_e32 v28, s20, v28
	s_add_i32 s7, s45, s7
	s_cmp_le_i32 s7, s44
	s_cbranch_scc0 .LBB79_63
.LBB79_4:                               ; =>This Loop Header: Depth=1
                                        ;     Child Loop BB79_7 Depth 2
	v_lshl_add_u32 v47, s7, 5, v1
	v_mov_b32_e32 v54, v11
	v_mov_b32_e32 v55, v11
	;; [unrolled: 1-line block ×4, first 2 shown]
	v_ashrrev_i32_e32 v48, 31, v47
	v_mov_b32_e32 v51, v11
	v_mov_b32_e32 v50, v11
	;; [unrolled: 1-line block ×4, first 2 shown]
	s_andn2_b32 vcc_lo, exec_lo, s38
	s_cbranch_vccnz .LBB79_55
; %bb.5:                                ;   in Loop: Header=BB79_4 Depth=1
	v_ashrrev_i32_e32 v29, 31, v28
	v_mad_u64_u32 v[32:33], null, s18, v28, v[26:27]
	v_mul_lo_u32 v4, s19, v28
	v_mov_b32_e32 v49, 0
	v_lshlrev_b64 v[2:3], 3, v[28:29]
	v_mul_lo_u32 v7, s18, v29
	v_mov_b32_e32 v29, 0
	v_mov_b32_e32 v50, 0
	;; [unrolled: 1-line block ×4, first 2 shown]
	v_add_co_u32 v5, vcc_lo, 0x80, v2
	v_add_co_ci_u32_e64 v6, null, 0, v3, vcc_lo
	v_sub_co_u32 v2, vcc_lo, s21, v47
	v_mul_lo_u32 v8, s25, v5
	v_mul_lo_u32 v6, s24, v6
	v_mad_u64_u32 v[34:35], null, s24, v5, v[24:25]
	v_sub_co_ci_u32_e64 v3, null, s28, v48, vcc_lo
	v_add3_u32 v33, v4, v33, v7
	v_mov_b32_e32 v52, 0
	v_mov_b32_e32 v55, 0
	v_cmp_lt_i64_e64 s4, 16, v[2:3]
	v_add3_u32 v35, v8, v35, v6
	v_mov_b32_e32 v54, 0
	s_mov_b64 s[12:13], 0
	s_mov_b64 s[16:17], 0
	v_cmp_lt_i64_e32 vcc_lo, 0, v[2:3]
	s_branch .LBB79_7
.LBB79_6:                               ;   in Loop: Header=BB79_7 Depth=2
	s_or_b32 exec_lo, exec_lo, s5
	s_waitcnt lgkmcnt(0)
	s_barrier
	buffer_gl0_inv
	ds_read_b128 v[56:59], v38
	ds_read2_b64 v[60:63], v36 offset1:16
	ds_read_b128 v[64:67], v38 offset:4096
	ds_read_b128 v[68:71], v38 offset:16
	;; [unrolled: 1-line block ×4, first 2 shown]
	ds_read2_b64 v[72:75], v36 offset0:32 offset1:48
	ds_read_b128 v[76:79], v38 offset:4112
	s_add_u32 s16, s16, 32
	s_addc_u32 s17, s17, 0
	s_sub_i32 s5, s16, 32
	s_add_u32 s12, s12, 0x100
	s_addc_u32 s13, s13, 0
	s_cmp_ge_i32 s5, s37
	s_waitcnt lgkmcnt(6)
	v_mul_f32_e32 v80, v57, v61
	v_mul_f32_e32 v81, v56, v61
	;; [unrolled: 1-line block ×4, first 2 shown]
	s_waitcnt lgkmcnt(5)
	v_mul_f32_e32 v84, v65, v61
	v_mul_f32_e32 v61, v64, v61
	;; [unrolled: 1-line block ×3, first 2 shown]
	v_fma_f32 v80, v56, v60, -v80
	v_fmac_f32_e32 v81, v57, v60
	v_fma_f32 v56, v56, v62, -v82
	v_fmac_f32_e32 v83, v57, v62
	;; [unrolled: 2-line block ×3, first 2 shown]
	v_fma_f32 v60, v64, v62, -v85
	v_mul_f32_e32 v63, v64, v63
	v_add_f32_e32 v56, v52, v56
	v_add_f32_e32 v57, v51, v57
	;; [unrolled: 1-line block ×3, first 2 shown]
	s_waitcnt lgkmcnt(1)
	v_mul_f32_e32 v64, v59, v73
	v_add_f32_e32 v60, v49, v60
	ds_read2_b64 v[49:52], v36 offset0:64 offset1:80
	v_add_f32_e32 v54, v54, v80
	v_fmac_f32_e32 v63, v65, v62
	v_mul_f32_e32 v62, v58, v73
	v_fma_f32 v64, v58, v72, -v64
	v_mul_f32_e32 v65, v59, v75
	v_add_f32_e32 v55, v55, v81
	v_add_f32_e32 v29, v29, v63
	v_fmac_f32_e32 v62, v59, v72
	v_mul_f32_e32 v63, v58, v75
	v_add_f32_e32 v64, v54, v64
	v_fma_f32 v54, v58, v74, -v65
	v_mul_f32_e32 v58, v67, v73
	v_add_f32_e32 v53, v53, v83
	v_add_f32_e32 v62, v55, v62
	v_fmac_f32_e32 v63, v59, v74
	v_mul_f32_e32 v55, v66, v73
	v_add_f32_e32 v59, v56, v54
	v_fma_f32 v54, v66, v72, -v58
	v_mul_f32_e32 v56, v67, v75
	v_add_f32_e32 v58, v53, v63
	v_fmac_f32_e32 v55, v67, v72
	v_mul_f32_e32 v63, v66, v75
	v_add_f32_e32 v57, v57, v54
	v_fma_f32 v53, v66, v74, -v56
	s_waitcnt lgkmcnt(0)
	v_mul_f32_e32 v54, v69, v50
	v_add_f32_e32 v61, v61, v55
	v_fmac_f32_e32 v63, v67, v74
	v_mul_f32_e32 v65, v68, v50
	v_add_f32_e32 v60, v60, v53
	v_fma_f32 v66, v68, v49, -v54
	v_mul_f32_e32 v67, v69, v52
	ds_read2_b64 v[53:56], v36 offset0:96 offset1:112
	v_fmac_f32_e32 v65, v69, v49
	v_add_f32_e32 v29, v29, v63
	v_add_f32_e32 v63, v64, v66
	v_fma_f32 v66, v68, v51, -v67
	v_mul_f32_e32 v64, v68, v52
	v_add_f32_e32 v62, v62, v65
	v_mul_f32_e32 v65, v77, v50
	v_mul_f32_e32 v50, v76, v50
	v_add_f32_e32 v59, v59, v66
	v_mul_f32_e32 v66, v77, v52
	v_fmac_f32_e32 v64, v69, v51
	v_fma_f32 v65, v76, v49, -v65
	v_fmac_f32_e32 v50, v77, v49
	v_mul_f32_e32 v67, v76, v52
	v_fma_f32 v49, v76, v51, -v66
	v_add_f32_e32 v58, v58, v64
	v_add_f32_e32 v64, v57, v65
	;; [unrolled: 1-line block ×3, first 2 shown]
	v_fmac_f32_e32 v67, v77, v51
	s_waitcnt lgkmcnt(0)
	v_mul_f32_e32 v57, v71, v54
	v_add_f32_e32 v65, v60, v49
	ds_read2_b64 v[49:52], v36 offset0:128 offset1:144
	v_mul_f32_e32 v60, v70, v54
	v_mul_f32_e32 v66, v71, v56
	v_fma_f32 v57, v70, v53, -v57
	v_add_f32_e32 v29, v29, v67
	v_mul_f32_e32 v67, v70, v56
	v_fmac_f32_e32 v60, v71, v53
	v_fma_f32 v66, v70, v55, -v66
	v_add_f32_e32 v63, v63, v57
	v_mul_f32_e32 v57, v79, v54
	v_fmac_f32_e32 v67, v71, v55
	v_mul_f32_e32 v54, v78, v54
	v_mul_f32_e32 v69, v79, v56
	v_add_f32_e32 v62, v62, v60
	v_fma_f32 v68, v78, v53, -v57
	v_add_f32_e32 v66, v59, v66
	v_add_f32_e32 v67, v58, v67
	ds_read_b128 v[57:60], v38 offset:4128
	v_fmac_f32_e32 v54, v79, v53
	v_add_f32_e32 v68, v64, v68
	v_mul_f32_e32 v64, v78, v56
	v_fma_f32 v53, v78, v55, -v69
	s_waitcnt lgkmcnt(1)
	v_mul_f32_e32 v56, v7, v50
	v_add_f32_e32 v69, v61, v54
	v_mul_f32_e32 v61, v6, v50
	v_fmac_f32_e32 v64, v79, v55
	v_add_f32_e32 v65, v65, v53
	v_fma_f32 v70, v6, v49, -v56
	ds_read2_b64 v[53:56], v36 offset0:160 offset1:176
	v_fmac_f32_e32 v61, v7, v49
	v_mul_f32_e32 v71, v7, v52
	v_mul_f32_e32 v72, v6, v52
	v_add_f32_e32 v29, v29, v64
	v_add_f32_e32 v70, v63, v70
	;; [unrolled: 1-line block ×3, first 2 shown]
	v_fma_f32 v6, v6, v51, -v71
	ds_read_b128 v[61:64], v38 offset:4144
	s_waitcnt lgkmcnt(2)
	v_mul_f32_e32 v71, v58, v50
	v_fmac_f32_e32 v72, v7, v51
	v_mul_f32_e32 v7, v57, v50
	v_mul_f32_e32 v50, v58, v52
	v_add_f32_e32 v6, v66, v6
	v_fma_f32 v66, v57, v49, -v71
	v_mul_f32_e32 v71, v57, v52
	v_fmac_f32_e32 v7, v58, v49
	v_fma_f32 v49, v57, v51, -v50
	v_add_f32_e32 v67, v67, v72
	v_add_f32_e32 v57, v68, v66
	s_waitcnt lgkmcnt(1)
	v_mul_f32_e32 v50, v9, v54
	v_fmac_f32_e32 v71, v58, v51
	v_add_f32_e32 v58, v65, v49
	v_mul_f32_e32 v68, v9, v56
	v_add_f32_e32 v7, v69, v7
	v_fma_f32 v66, v8, v53, -v50
	ds_read2_b64 v[49:52], v36 offset0:192 offset1:208
	v_mul_f32_e32 v65, v8, v54
	v_mul_f32_e32 v69, v8, v56
	v_fma_f32 v8, v8, v55, -v68
	v_mul_f32_e32 v68, v60, v54
	v_mul_f32_e32 v54, v59, v54
	v_add_f32_e32 v66, v70, v66
	v_fmac_f32_e32 v65, v9, v53
	v_add_f32_e32 v70, v6, v8
	v_fma_f32 v6, v59, v53, -v68
	v_fmac_f32_e32 v54, v60, v53
	v_mul_f32_e32 v8, v60, v56
	v_fmac_f32_e32 v69, v9, v55
	v_mul_f32_e32 v56, v59, v56
	v_add_f32_e32 v57, v57, v6
	v_add_f32_e32 v54, v7, v54
	v_fma_f32 v59, v59, v55, -v8
	ds_read2_b64 v[6:9], v36 offset0:224 offset1:240
	v_add_f32_e32 v53, v67, v69
	v_fmac_f32_e32 v56, v60, v55
	s_waitcnt lgkmcnt(1)
	v_mul_f32_e32 v67, v3, v50
	v_mul_f32_e32 v55, v2, v50
	v_add_f32_e32 v65, v73, v65
	v_add_f32_e32 v58, v58, v59
	v_mul_f32_e32 v60, v3, v52
	v_fma_f32 v59, v2, v49, -v67
	v_fmac_f32_e32 v55, v3, v49
	v_mul_f32_e32 v67, v2, v52
	v_add_f32_e32 v29, v29, v71
	v_fma_f32 v2, v2, v51, -v60
	v_add_f32_e32 v59, v66, v59
	v_add_f32_e32 v60, v65, v55
	v_fmac_f32_e32 v67, v3, v51
	v_mul_f32_e32 v3, v62, v50
	v_mul_f32_e32 v50, v61, v50
	;; [unrolled: 1-line block ×4, first 2 shown]
	s_waitcnt lgkmcnt(0)
	v_mul_f32_e32 v52, v5, v7
	v_fma_f32 v3, v61, v49, -v3
	v_fmac_f32_e32 v50, v62, v49
	v_fma_f32 v49, v61, v51, -v55
	v_add_f32_e32 v29, v29, v56
	v_add_f32_e32 v65, v53, v67
	;; [unrolled: 1-line block ×4, first 2 shown]
	v_fmac_f32_e32 v66, v62, v51
	v_add_f32_e32 v62, v58, v49
	v_fma_f32 v3, v4, v6, -v52
	ds_read_b128 v[49:52], v38 offset:64
	ds_read2_b64 v[53:56], v44 offset1:16
	v_mul_f32_e32 v58, v4, v7
	v_mul_f32_e32 v67, v5, v9
	v_add_f32_e32 v2, v70, v2
	v_add_f32_e32 v29, v29, v66
	v_mul_f32_e32 v66, v4, v9
	v_fmac_f32_e32 v58, v5, v6
	v_add_f32_e32 v68, v59, v3
	v_fma_f32 v3, v4, v8, -v67
	v_mul_f32_e32 v4, v64, v7
	v_mul_f32_e32 v7, v63, v7
	;; [unrolled: 1-line block ×3, first 2 shown]
	v_add_f32_e32 v67, v60, v58
	v_fmac_f32_e32 v66, v5, v8
	v_add_f32_e32 v69, v2, v3
	v_fma_f32 v58, v63, v6, -v4
	v_fmac_f32_e32 v7, v64, v6
	ds_read_b128 v[2:5], v38 offset:4160
	v_fma_f32 v6, v63, v8, -v59
	v_mul_f32_e32 v63, v63, v9
	s_waitcnt lgkmcnt(1)
	v_mul_f32_e32 v9, v50, v54
	v_add_f32_e32 v70, v61, v7
	v_mul_f32_e32 v61, v49, v54
	v_add_f32_e32 v71, v62, v6
	v_fmac_f32_e32 v63, v64, v8
	v_fma_f32 v62, v49, v53, -v9
	ds_read2_b64 v[6:9], v44 offset0:32 offset1:48
	v_mul_f32_e32 v64, v50, v56
	v_mul_f32_e32 v72, v49, v56
	v_add_f32_e32 v65, v65, v66
	v_add_f32_e32 v66, v57, v58
	ds_read_b128 v[57:60], v38 offset:80
	v_fmac_f32_e32 v61, v50, v53
	v_fma_f32 v49, v49, v55, -v64
	v_fmac_f32_e32 v72, v50, v55
	v_add_f32_e32 v68, v68, v62
	v_add_f32_e32 v29, v29, v63
	s_waitcnt lgkmcnt(2)
	v_mul_f32_e32 v73, v3, v54
	v_mul_f32_e32 v50, v2, v54
	;; [unrolled: 1-line block ×3, first 2 shown]
	v_add_f32_e32 v49, v69, v49
	v_add_f32_e32 v65, v65, v72
	v_fma_f32 v69, v2, v53, -v73
	v_fmac_f32_e32 v50, v3, v53
	v_mul_f32_e32 v72, v2, v56
	v_fma_f32 v2, v2, v55, -v54
	s_waitcnt lgkmcnt(1)
	v_mul_f32_e32 v53, v52, v7
	v_add_f32_e32 v66, v66, v69
	v_add_f32_e32 v50, v70, v50
	v_fmac_f32_e32 v72, v3, v55
	v_add_f32_e32 v69, v71, v2
	v_mul_f32_e32 v2, v51, v7
	v_fma_f32 v3, v51, v6, -v53
	ds_read2_b64 v[53:56], v44 offset0:64 offset1:80
	v_mul_f32_e32 v70, v52, v9
	v_add_f32_e32 v67, v67, v61
	v_fmac_f32_e32 v2, v52, v6
	v_add_f32_e32 v68, v68, v3
	v_mul_f32_e32 v3, v51, v9
	v_fma_f32 v51, v51, v8, -v70
	v_mul_f32_e32 v70, v5, v7
	v_mul_f32_e32 v7, v4, v7
	ds_read_b128 v[61:64], v38 offset:4176
	v_add_f32_e32 v67, v67, v2
	v_fmac_f32_e32 v3, v52, v8
	v_fma_f32 v2, v4, v6, -v70
	v_fmac_f32_e32 v7, v5, v6
	v_mul_f32_e32 v6, v5, v9
	v_mul_f32_e32 v9, v4, v9
	v_add_f32_e32 v49, v49, v51
	v_add_f32_e32 v51, v65, v3
	;; [unrolled: 1-line block ×3, first 2 shown]
	v_fma_f32 v6, v4, v8, -v6
	v_fmac_f32_e32 v9, v5, v8
	ds_read2_b64 v[2:5], v44 offset0:96 offset1:112
	v_add_f32_e32 v29, v29, v72
	v_add_f32_e32 v7, v50, v7
	s_waitcnt lgkmcnt(2)
	v_mul_f32_e32 v50, v58, v54
	v_mul_f32_e32 v8, v57, v54
	v_mul_f32_e32 v65, v58, v56
	v_add_f32_e32 v29, v29, v9
	v_mul_f32_e32 v66, v57, v56
	v_fma_f32 v50, v57, v53, -v50
	v_fmac_f32_e32 v8, v58, v53
	v_fma_f32 v9, v57, v55, -v65
	v_add_f32_e32 v6, v69, v6
	v_fmac_f32_e32 v66, v58, v55
	v_add_f32_e32 v68, v68, v50
	v_add_f32_e32 v57, v67, v8
	s_waitcnt lgkmcnt(1)
	v_mul_f32_e32 v8, v62, v54
	v_mul_f32_e32 v50, v61, v54
	v_add_f32_e32 v54, v49, v9
	v_mul_f32_e32 v9, v62, v56
	v_add_f32_e32 v58, v51, v66
	v_fma_f32 v8, v61, v53, -v8
	v_fmac_f32_e32 v50, v62, v53
	v_mul_f32_e32 v53, v61, v56
	v_fma_f32 v9, v61, v55, -v9
	s_waitcnt lgkmcnt(0)
	v_mul_f32_e32 v49, v60, v3
	v_add_f32_e32 v61, v52, v8
	v_add_f32_e32 v65, v7, v50
	v_fmac_f32_e32 v53, v62, v55
	v_add_f32_e32 v62, v6, v9
	v_fma_f32 v55, v59, v2, -v49
	ds_read_b128 v[6:9], v38 offset:96
	ds_read2_b64 v[49:52], v44 offset0:128 offset1:144
	v_mul_f32_e32 v56, v59, v3
	v_mul_f32_e32 v66, v60, v5
	v_add_f32_e32 v29, v29, v53
	v_mul_f32_e32 v53, v59, v5
	v_add_f32_e32 v67, v68, v55
	v_fmac_f32_e32 v56, v60, v2
	v_fma_f32 v55, v59, v4, -v66
	v_mul_f32_e32 v59, v64, v3
	v_fmac_f32_e32 v53, v60, v4
	v_mul_f32_e32 v3, v63, v3
	v_add_f32_e32 v66, v57, v56
	v_add_f32_e32 v68, v54, v55
	v_fma_f32 v57, v63, v2, -v59
	v_mul_f32_e32 v59, v64, v5
	v_add_f32_e32 v69, v58, v53
	v_fmac_f32_e32 v3, v64, v2
	ds_read_b128 v[53:56], v38 offset:4192
	v_add_f32_e32 v70, v61, v57
	v_fma_f32 v2, v63, v4, -v59
	v_mul_f32_e32 v61, v63, v5
	s_waitcnt lgkmcnt(1)
	v_mul_f32_e32 v5, v7, v50
	v_add_f32_e32 v65, v65, v3
	v_mul_f32_e32 v63, v6, v50
	v_add_f32_e32 v71, v62, v2
	v_fmac_f32_e32 v61, v64, v4
	v_fma_f32 v62, v6, v49, -v5
	ds_read2_b64 v[2:5], v44 offset0:160 offset1:176
	v_mul_f32_e32 v64, v7, v52
	v_mul_f32_e32 v72, v6, v52
	ds_read_b128 v[57:60], v38 offset:112
	v_fmac_f32_e32 v63, v7, v49
	v_add_f32_e32 v67, v67, v62
	v_fma_f32 v6, v6, v51, -v64
	v_fmac_f32_e32 v72, v7, v51
	v_add_f32_e32 v29, v29, v61
	v_add_f32_e32 v66, v66, v63
	s_waitcnt lgkmcnt(2)
	v_mul_f32_e32 v73, v54, v50
	v_mul_f32_e32 v7, v53, v50
	;; [unrolled: 1-line block ×3, first 2 shown]
	v_add_f32_e32 v6, v68, v6
	v_add_f32_e32 v69, v69, v72
	v_fma_f32 v68, v53, v49, -v73
	v_fmac_f32_e32 v7, v54, v49
	v_mul_f32_e32 v72, v53, v52
	v_fma_f32 v49, v53, v51, -v50
	ds_read_b128 v[61:64], v38 offset:4208
	s_waitcnt lgkmcnt(2)
	v_mul_f32_e32 v50, v9, v3
	v_add_f32_e32 v53, v70, v68
	v_fmac_f32_e32 v72, v54, v51
	v_add_f32_e32 v54, v71, v49
	v_add_f32_e32 v7, v65, v7
	v_fma_f32 v68, v8, v2, -v50
	ds_read2_b64 v[49:52], v44 offset0:192 offset1:208
	v_mul_f32_e32 v65, v8, v3
	v_mul_f32_e32 v70, v9, v5
	v_add_f32_e32 v29, v29, v72
	v_add_f32_e32 v67, v67, v68
	v_mul_f32_e32 v68, v8, v5
	v_fmac_f32_e32 v65, v9, v2
	v_fma_f32 v8, v8, v4, -v70
	v_mul_f32_e32 v70, v56, v3
	v_mul_f32_e32 v3, v55, v3
	v_fmac_f32_e32 v68, v9, v4
	v_add_f32_e32 v65, v66, v65
	v_add_f32_e32 v6, v6, v8
	v_fma_f32 v8, v55, v2, -v70
	v_fmac_f32_e32 v3, v56, v2
	v_mul_f32_e32 v2, v56, v5
	v_mul_f32_e32 v66, v55, v5
	v_add_f32_e32 v9, v69, v68
	v_add_f32_e32 v8, v53, v8
	;; [unrolled: 1-line block ×3, first 2 shown]
	v_fma_f32 v53, v55, v4, -v2
	s_waitcnt lgkmcnt(0)
	v_mul_f32_e32 v55, v58, v50
	v_fmac_f32_e32 v66, v56, v4
	ds_read2_b64 v[2:5], v44 offset0:224 offset1:240
	v_mul_f32_e32 v68, v57, v52
	v_add_f32_e32 v53, v54, v53
	v_fma_f32 v54, v57, v49, -v55
	v_mul_f32_e32 v55, v58, v52
	v_mul_f32_e32 v56, v57, v50
	v_fmac_f32_e32 v68, v58, v51
	v_add_f32_e32 v29, v29, v66
	v_add_f32_e32 v54, v67, v54
	v_fma_f32 v55, v57, v51, -v55
	v_mul_f32_e32 v57, v62, v50
	v_mul_f32_e32 v50, v61, v50
	v_fmac_f32_e32 v56, v58, v49
	v_add_f32_e32 v58, v9, v68
	v_add_f32_e32 v55, v6, v55
	v_mul_f32_e32 v6, v62, v52
	v_fma_f32 v9, v61, v49, -v57
	v_fmac_f32_e32 v50, v62, v49
	v_mul_f32_e32 v57, v61, v52
	v_add_f32_e32 v56, v65, v56
	v_fma_f32 v6, v61, v51, -v6
	s_waitcnt lgkmcnt(0)
	v_mul_f32_e32 v49, v60, v3
	v_add_f32_e32 v61, v8, v9
	v_add_f32_e32 v65, v7, v50
	v_fmac_f32_e32 v57, v62, v51
	v_add_f32_e32 v62, v53, v6
	v_fma_f32 v53, v59, v2, -v49
	ds_read_b128 v[6:9], v38 offset:128
	ds_read2_b64 v[49:52], v45 offset1:16
	v_mul_f32_e32 v66, v59, v3
	v_mul_f32_e32 v67, v60, v5
	v_add_f32_e32 v29, v29, v57
	v_mul_f32_e32 v57, v59, v5
	v_add_f32_e32 v68, v54, v53
	v_mul_f32_e32 v54, v64, v3
	v_fmac_f32_e32 v66, v60, v2
	v_fma_f32 v53, v59, v4, -v67
	v_fmac_f32_e32 v57, v60, v4
	v_mul_f32_e32 v3, v63, v3
	v_fma_f32 v59, v63, v2, -v54
	v_mul_f32_e32 v60, v64, v5
	v_add_f32_e32 v66, v56, v66
	v_add_f32_e32 v67, v55, v53
	v_fmac_f32_e32 v3, v64, v2
	ds_read_b128 v[53:56], v38 offset:4224
	v_add_f32_e32 v70, v61, v59
	v_fma_f32 v2, v63, v4, -v60
	v_mul_f32_e32 v61, v63, v5
	s_waitcnt lgkmcnt(1)
	v_mul_f32_e32 v5, v7, v50
	v_add_f32_e32 v65, v65, v3
	v_mul_f32_e32 v63, v6, v50
	v_add_f32_e32 v71, v62, v2
	v_fmac_f32_e32 v61, v64, v4
	v_fma_f32 v62, v6, v49, -v5
	ds_read2_b64 v[2:5], v45 offset0:32 offset1:48
	v_mul_f32_e32 v64, v7, v52
	v_mul_f32_e32 v72, v6, v52
	v_add_f32_e32 v69, v58, v57
	ds_read_b128 v[57:60], v38 offset:144
	v_fmac_f32_e32 v63, v7, v49
	v_fma_f32 v6, v6, v51, -v64
	v_fmac_f32_e32 v72, v7, v51
	v_add_f32_e32 v68, v68, v62
	v_add_f32_e32 v29, v29, v61
	s_waitcnt lgkmcnt(2)
	v_mul_f32_e32 v73, v54, v50
	v_mul_f32_e32 v7, v53, v50
	;; [unrolled: 1-line block ×3, first 2 shown]
	v_add_f32_e32 v6, v67, v6
	v_add_f32_e32 v69, v69, v72
	v_fma_f32 v67, v53, v49, -v73
	v_fmac_f32_e32 v7, v54, v49
	v_mul_f32_e32 v72, v53, v52
	v_fma_f32 v49, v53, v51, -v50
	v_add_f32_e32 v66, v66, v63
	s_waitcnt lgkmcnt(1)
	v_mul_f32_e32 v50, v9, v3
	v_add_f32_e32 v53, v70, v67
	v_fmac_f32_e32 v72, v54, v51
	v_add_f32_e32 v54, v71, v49
	v_add_f32_e32 v7, v65, v7
	v_fma_f32 v67, v8, v2, -v50
	ds_read2_b64 v[49:52], v45 offset0:64 offset1:80
	v_mul_f32_e32 v65, v8, v3
	v_mul_f32_e32 v70, v9, v5
	ds_read_b128 v[61:64], v38 offset:4240
	v_add_f32_e32 v67, v68, v67
	v_mul_f32_e32 v68, v8, v5
	v_fmac_f32_e32 v65, v9, v2
	v_fma_f32 v8, v8, v4, -v70
	v_mul_f32_e32 v70, v56, v3
	v_mul_f32_e32 v3, v55, v3
	v_fmac_f32_e32 v68, v9, v4
	v_add_f32_e32 v65, v66, v65
	v_add_f32_e32 v6, v6, v8
	v_fma_f32 v8, v55, v2, -v70
	v_fmac_f32_e32 v3, v56, v2
	v_mul_f32_e32 v2, v56, v5
	v_mul_f32_e32 v66, v55, v5
	v_add_f32_e32 v9, v69, v68
	v_add_f32_e32 v8, v53, v8
	;; [unrolled: 1-line block ×3, first 2 shown]
	v_fma_f32 v53, v55, v4, -v2
	s_waitcnt lgkmcnt(1)
	v_mul_f32_e32 v55, v58, v50
	v_fmac_f32_e32 v66, v56, v4
	ds_read2_b64 v[2:5], v45 offset0:96 offset1:112
	v_mul_f32_e32 v68, v57, v52
	v_add_f32_e32 v53, v54, v53
	v_fma_f32 v54, v57, v49, -v55
	v_mul_f32_e32 v55, v58, v52
	v_mul_f32_e32 v56, v57, v50
	v_fmac_f32_e32 v68, v58, v51
	v_add_f32_e32 v29, v29, v72
	v_add_f32_e32 v54, v67, v54
	v_fma_f32 v55, v57, v51, -v55
	s_waitcnt lgkmcnt(1)
	v_mul_f32_e32 v57, v62, v50
	v_mul_f32_e32 v50, v61, v50
	v_fmac_f32_e32 v56, v58, v49
	v_add_f32_e32 v58, v9, v68
	v_add_f32_e32 v55, v6, v55
	v_mul_f32_e32 v6, v62, v52
	v_fma_f32 v9, v61, v49, -v57
	v_fmac_f32_e32 v50, v62, v49
	v_mul_f32_e32 v57, v61, v52
	v_add_f32_e32 v56, v65, v56
	v_fma_f32 v6, v61, v51, -v6
	s_waitcnt lgkmcnt(0)
	v_mul_f32_e32 v49, v60, v3
	v_add_f32_e32 v61, v8, v9
	v_add_f32_e32 v65, v7, v50
	v_fmac_f32_e32 v57, v62, v51
	v_add_f32_e32 v62, v53, v6
	v_fma_f32 v53, v59, v2, -v49
	ds_read_b128 v[6:9], v38 offset:160
	ds_read2_b64 v[49:52], v45 offset0:128 offset1:144
	v_add_f32_e32 v29, v29, v66
	v_mul_f32_e32 v66, v59, v3
	v_mul_f32_e32 v67, v60, v5
	v_add_f32_e32 v68, v54, v53
	v_mul_f32_e32 v54, v64, v3
	v_add_f32_e32 v29, v29, v57
	v_mul_f32_e32 v57, v59, v5
	v_fmac_f32_e32 v66, v60, v2
	v_fma_f32 v53, v59, v4, -v67
	v_mul_f32_e32 v3, v63, v3
	v_fma_f32 v59, v63, v2, -v54
	v_fmac_f32_e32 v57, v60, v4
	v_mul_f32_e32 v60, v64, v5
	v_add_f32_e32 v66, v56, v66
	v_add_f32_e32 v67, v55, v53
	v_fmac_f32_e32 v3, v64, v2
	ds_read_b128 v[53:56], v38 offset:4256
	v_add_f32_e32 v70, v61, v59
	v_fma_f32 v2, v63, v4, -v60
	v_mul_f32_e32 v61, v63, v5
	s_waitcnt lgkmcnt(1)
	v_mul_f32_e32 v5, v7, v50
	v_add_f32_e32 v65, v65, v3
	v_mul_f32_e32 v63, v6, v50
	v_add_f32_e32 v71, v62, v2
	v_fmac_f32_e32 v61, v64, v4
	v_fma_f32 v62, v6, v49, -v5
	ds_read2_b64 v[2:5], v45 offset0:160 offset1:176
	v_mul_f32_e32 v64, v7, v52
	v_mul_f32_e32 v72, v6, v52
	v_add_f32_e32 v69, v58, v57
	ds_read_b128 v[57:60], v38 offset:176
	v_fmac_f32_e32 v63, v7, v49
	v_fma_f32 v6, v6, v51, -v64
	v_fmac_f32_e32 v72, v7, v51
	v_add_f32_e32 v68, v68, v62
	v_add_f32_e32 v29, v29, v61
	s_waitcnt lgkmcnt(2)
	v_mul_f32_e32 v73, v54, v50
	v_mul_f32_e32 v7, v53, v50
	;; [unrolled: 1-line block ×3, first 2 shown]
	v_add_f32_e32 v6, v67, v6
	v_add_f32_e32 v69, v69, v72
	v_fma_f32 v67, v53, v49, -v73
	v_fmac_f32_e32 v7, v54, v49
	v_mul_f32_e32 v72, v53, v52
	v_fma_f32 v49, v53, v51, -v50
	v_add_f32_e32 v66, v66, v63
	s_waitcnt lgkmcnt(1)
	v_mul_f32_e32 v50, v9, v3
	v_add_f32_e32 v53, v70, v67
	v_fmac_f32_e32 v72, v54, v51
	v_add_f32_e32 v54, v71, v49
	v_add_f32_e32 v7, v65, v7
	v_fma_f32 v67, v8, v2, -v50
	ds_read2_b64 v[49:52], v45 offset0:192 offset1:208
	v_mul_f32_e32 v65, v8, v3
	v_mul_f32_e32 v70, v9, v5
	ds_read_b128 v[61:64], v38 offset:4272
	v_add_f32_e32 v67, v68, v67
	v_mul_f32_e32 v68, v8, v5
	v_fmac_f32_e32 v65, v9, v2
	v_fma_f32 v8, v8, v4, -v70
	v_mul_f32_e32 v70, v56, v3
	v_mul_f32_e32 v3, v55, v3
	v_fmac_f32_e32 v68, v9, v4
	v_add_f32_e32 v65, v66, v65
	v_add_f32_e32 v6, v6, v8
	v_fma_f32 v8, v55, v2, -v70
	v_fmac_f32_e32 v3, v56, v2
	v_mul_f32_e32 v2, v56, v5
	v_mul_f32_e32 v66, v55, v5
	v_add_f32_e32 v9, v69, v68
	v_add_f32_e32 v8, v53, v8
	;; [unrolled: 1-line block ×3, first 2 shown]
	v_fma_f32 v53, v55, v4, -v2
	s_waitcnt lgkmcnt(1)
	v_mul_f32_e32 v55, v58, v50
	v_fmac_f32_e32 v66, v56, v4
	ds_read2_b64 v[2:5], v45 offset0:224 offset1:240
	v_mul_f32_e32 v68, v57, v52
	v_add_f32_e32 v53, v54, v53
	v_fma_f32 v54, v57, v49, -v55
	v_mul_f32_e32 v55, v58, v52
	v_mul_f32_e32 v56, v57, v50
	v_fmac_f32_e32 v68, v58, v51
	v_add_f32_e32 v29, v29, v72
	v_add_f32_e32 v54, v67, v54
	v_fma_f32 v55, v57, v51, -v55
	s_waitcnt lgkmcnt(1)
	v_mul_f32_e32 v57, v62, v50
	v_mul_f32_e32 v50, v61, v50
	v_fmac_f32_e32 v56, v58, v49
	v_add_f32_e32 v58, v9, v68
	v_add_f32_e32 v55, v6, v55
	v_mul_f32_e32 v6, v62, v52
	v_fma_f32 v9, v61, v49, -v57
	v_fmac_f32_e32 v50, v62, v49
	v_mul_f32_e32 v57, v61, v52
	v_add_f32_e32 v56, v65, v56
	v_fma_f32 v6, v61, v51, -v6
	s_waitcnt lgkmcnt(0)
	v_mul_f32_e32 v49, v60, v3
	v_add_f32_e32 v61, v8, v9
	v_add_f32_e32 v65, v7, v50
	v_fmac_f32_e32 v57, v62, v51
	v_add_f32_e32 v62, v53, v6
	v_fma_f32 v53, v59, v2, -v49
	ds_read_b128 v[6:9], v38 offset:192
	ds_read2_b64 v[49:52], v46 offset1:16
	v_add_f32_e32 v29, v29, v66
	v_mul_f32_e32 v66, v59, v3
	v_mul_f32_e32 v67, v60, v5
	v_add_f32_e32 v68, v54, v53
	v_mul_f32_e32 v54, v64, v3
	v_add_f32_e32 v29, v29, v57
	v_mul_f32_e32 v57, v59, v5
	v_fmac_f32_e32 v66, v60, v2
	v_fma_f32 v53, v59, v4, -v67
	v_mul_f32_e32 v3, v63, v3
	v_fma_f32 v59, v63, v2, -v54
	v_fmac_f32_e32 v57, v60, v4
	v_mul_f32_e32 v60, v64, v5
	v_add_f32_e32 v66, v56, v66
	v_add_f32_e32 v67, v55, v53
	v_fmac_f32_e32 v3, v64, v2
	ds_read_b128 v[53:56], v38 offset:4288
	v_add_f32_e32 v70, v61, v59
	v_fma_f32 v2, v63, v4, -v60
	v_mul_f32_e32 v61, v63, v5
	s_waitcnt lgkmcnt(1)
	v_mul_f32_e32 v5, v7, v50
	v_add_f32_e32 v65, v65, v3
	v_mul_f32_e32 v63, v6, v50
	v_add_f32_e32 v71, v62, v2
	v_fmac_f32_e32 v61, v64, v4
	v_fma_f32 v62, v6, v49, -v5
	ds_read2_b64 v[2:5], v46 offset0:32 offset1:48
	v_mul_f32_e32 v64, v7, v52
	v_mul_f32_e32 v72, v6, v52
	v_add_f32_e32 v69, v58, v57
	ds_read_b128 v[57:60], v38 offset:208
	v_fmac_f32_e32 v63, v7, v49
	v_fma_f32 v6, v6, v51, -v64
	v_fmac_f32_e32 v72, v7, v51
	v_add_f32_e32 v68, v68, v62
	v_add_f32_e32 v29, v29, v61
	s_waitcnt lgkmcnt(2)
	v_mul_f32_e32 v73, v54, v50
	v_mul_f32_e32 v7, v53, v50
	;; [unrolled: 1-line block ×3, first 2 shown]
	v_add_f32_e32 v6, v67, v6
	v_add_f32_e32 v69, v69, v72
	v_fma_f32 v67, v53, v49, -v73
	v_fmac_f32_e32 v7, v54, v49
	v_mul_f32_e32 v72, v53, v52
	v_fma_f32 v49, v53, v51, -v50
	v_add_f32_e32 v66, v66, v63
	s_waitcnt lgkmcnt(1)
	v_mul_f32_e32 v50, v9, v3
	v_add_f32_e32 v53, v70, v67
	v_fmac_f32_e32 v72, v54, v51
	v_add_f32_e32 v54, v71, v49
	v_add_f32_e32 v7, v65, v7
	v_fma_f32 v67, v8, v2, -v50
	ds_read2_b64 v[49:52], v46 offset0:64 offset1:80
	v_mul_f32_e32 v65, v8, v3
	v_mul_f32_e32 v70, v9, v5
	ds_read_b128 v[61:64], v38 offset:4304
	v_add_f32_e32 v67, v68, v67
	v_mul_f32_e32 v68, v8, v5
	v_fmac_f32_e32 v65, v9, v2
	v_fma_f32 v8, v8, v4, -v70
	v_mul_f32_e32 v70, v56, v3
	v_mul_f32_e32 v3, v55, v3
	v_fmac_f32_e32 v68, v9, v4
	v_add_f32_e32 v65, v66, v65
	v_add_f32_e32 v6, v6, v8
	v_fma_f32 v8, v55, v2, -v70
	v_fmac_f32_e32 v3, v56, v2
	v_mul_f32_e32 v2, v56, v5
	v_mul_f32_e32 v66, v55, v5
	v_add_f32_e32 v9, v69, v68
	v_add_f32_e32 v8, v53, v8
	;; [unrolled: 1-line block ×3, first 2 shown]
	v_fma_f32 v53, v55, v4, -v2
	s_waitcnt lgkmcnt(1)
	v_mul_f32_e32 v55, v58, v50
	v_fmac_f32_e32 v66, v56, v4
	ds_read2_b64 v[2:5], v46 offset0:96 offset1:112
	v_mul_f32_e32 v68, v57, v52
	v_add_f32_e32 v53, v54, v53
	v_fma_f32 v54, v57, v49, -v55
	v_mul_f32_e32 v55, v58, v52
	v_mul_f32_e32 v56, v57, v50
	v_fmac_f32_e32 v68, v58, v51
	v_add_f32_e32 v29, v29, v72
	v_add_f32_e32 v54, v67, v54
	v_fma_f32 v55, v57, v51, -v55
	s_waitcnt lgkmcnt(1)
	v_mul_f32_e32 v57, v62, v50
	v_mul_f32_e32 v50, v61, v50
	v_fmac_f32_e32 v56, v58, v49
	v_add_f32_e32 v58, v9, v68
	v_add_f32_e32 v55, v6, v55
	v_mul_f32_e32 v6, v62, v52
	v_fma_f32 v9, v61, v49, -v57
	v_fmac_f32_e32 v50, v62, v49
	v_mul_f32_e32 v57, v61, v52
	v_add_f32_e32 v29, v29, v66
	v_fma_f32 v6, v61, v51, -v6
	s_waitcnt lgkmcnt(0)
	v_mul_f32_e32 v49, v60, v3
	v_add_f32_e32 v56, v65, v56
	v_add_f32_e32 v61, v8, v9
	;; [unrolled: 1-line block ×3, first 2 shown]
	v_fmac_f32_e32 v57, v62, v51
	v_add_f32_e32 v62, v53, v6
	v_fma_f32 v53, v59, v2, -v49
	ds_read_b128 v[6:9], v38 offset:224
	ds_read2_b64 v[49:52], v46 offset0:128 offset1:144
	v_mul_f32_e32 v66, v59, v3
	v_mul_f32_e32 v67, v60, v5
	v_add_f32_e32 v29, v29, v57
	v_mul_f32_e32 v57, v59, v5
	v_fmac_f32_e32 v66, v60, v2
	v_fma_f32 v59, v59, v4, -v67
	v_add_f32_e32 v67, v54, v53
	v_mul_f32_e32 v53, v64, v3
	v_fmac_f32_e32 v57, v60, v4
	v_add_f32_e32 v66, v56, v66
	v_add_f32_e32 v68, v55, v59
	v_mul_f32_e32 v3, v63, v3
	v_fma_f32 v59, v63, v2, -v53
	v_add_f32_e32 v69, v58, v57
	v_mul_f32_e32 v57, v64, v5
	ds_read_b128 v[53:56], v38 offset:4320
	v_fmac_f32_e32 v3, v64, v2
	v_add_f32_e32 v70, v61, v59
	v_mul_f32_e32 v61, v63, v5
	v_fma_f32 v2, v63, v4, -v57
	s_waitcnt lgkmcnt(1)
	v_mul_f32_e32 v5, v7, v50
	v_add_f32_e32 v65, v65, v3
	v_mul_f32_e32 v63, v7, v52
	v_fmac_f32_e32 v61, v64, v4
	v_add_f32_e32 v71, v62, v2
	v_fma_f32 v62, v6, v49, -v5
	ds_read2_b64 v[2:5], v46 offset0:160 offset1:176
	ds_read_b128 v[57:60], v38 offset:240
	v_mul_f32_e32 v72, v6, v50
	v_mul_f32_e32 v73, v6, v52
	v_fma_f32 v6, v6, v51, -v63
	v_add_f32_e32 v67, v67, v62
	v_add_f32_e32 v29, v29, v61
	v_fmac_f32_e32 v72, v7, v49
	v_fmac_f32_e32 v73, v7, v51
	s_waitcnt lgkmcnt(2)
	v_mul_f32_e32 v74, v54, v50
	v_mul_f32_e32 v7, v53, v50
	v_add_f32_e32 v6, v68, v6
	v_mul_f32_e32 v68, v54, v52
	v_add_f32_e32 v66, v66, v72
	v_fma_f32 v50, v53, v49, -v74
	v_fmac_f32_e32 v7, v54, v49
	v_mul_f32_e32 v72, v53, v52
	v_fma_f32 v49, v53, v51, -v68
	ds_read_b128 v[61:64], v38 offset:4336
	v_add_f32_e32 v70, v70, v50
	s_waitcnt lgkmcnt(2)
	v_mul_f32_e32 v50, v9, v3
	v_add_f32_e32 v7, v65, v7
	v_fmac_f32_e32 v72, v54, v51
	v_mul_f32_e32 v53, v8, v3
	v_add_f32_e32 v54, v71, v49
	v_fma_f32 v65, v8, v2, -v50
	ds_read2_b64 v[49:52], v46 offset0:192 offset1:208
	v_mul_f32_e32 v68, v9, v5
	v_fmac_f32_e32 v53, v9, v2
	v_add_f32_e32 v69, v69, v73
	v_add_f32_e32 v65, v67, v65
	v_mul_f32_e32 v67, v8, v5
	v_fma_f32 v8, v8, v4, -v68
	v_add_f32_e32 v53, v66, v53
	v_mul_f32_e32 v66, v56, v3
	v_mul_f32_e32 v3, v55, v3
	v_fmac_f32_e32 v67, v9, v4
	v_add_f32_e32 v6, v6, v8
	v_mul_f32_e32 v8, v56, v5
	v_fma_f32 v9, v55, v2, -v66
	v_fmac_f32_e32 v3, v56, v2
	v_add_f32_e32 v66, v69, v67
	v_mul_f32_e32 v67, v55, v5
	v_fma_f32 v2, v55, v4, -v8
	v_add_f32_e32 v8, v70, v9
	v_add_f32_e32 v7, v7, v3
	s_waitcnt lgkmcnt(0)
	v_mul_f32_e32 v9, v58, v50
	v_fmac_f32_e32 v67, v56, v4
	v_add_f32_e32 v54, v54, v2
	ds_read2_b64 v[2:5], v46 offset0:224 offset1:240
	v_mul_f32_e32 v55, v57, v50
	v_fma_f32 v9, v57, v49, -v9
	v_mul_f32_e32 v56, v58, v52
	v_add_f32_e32 v29, v29, v72
	s_waitcnt lgkmcnt(0)
	v_fmac_f32_e32 v55, v58, v49
	v_add_f32_e32 v9, v65, v9
	v_mul_f32_e32 v65, v62, v50
	v_fma_f32 v56, v57, v51, -v56
	v_mul_f32_e32 v50, v61, v50
	v_add_f32_e32 v53, v53, v55
	v_add_f32_e32 v29, v29, v67
	v_fma_f32 v55, v61, v49, -v65
	v_mul_f32_e32 v67, v57, v52
	v_add_f32_e32 v6, v6, v56
	v_mul_f32_e32 v56, v62, v52
	v_fmac_f32_e32 v50, v62, v49
	v_add_f32_e32 v8, v8, v55
	v_mul_f32_e32 v49, v61, v52
	v_mul_f32_e32 v55, v60, v3
	v_fmac_f32_e32 v67, v58, v51
	v_fma_f32 v52, v61, v51, -v56
	v_add_f32_e32 v7, v7, v50
	v_fmac_f32_e32 v49, v62, v51
	v_fma_f32 v50, v59, v2, -v55
	v_mul_f32_e32 v51, v60, v5
	v_mul_f32_e32 v56, v59, v3
	v_add_f32_e32 v58, v54, v52
	v_mul_f32_e32 v61, v59, v5
	v_add_f32_e32 v29, v29, v49
	v_add_f32_e32 v54, v9, v50
	v_fma_f32 v9, v59, v4, -v51
	v_mul_f32_e32 v49, v64, v3
	v_mul_f32_e32 v3, v63, v3
	v_mul_f32_e32 v50, v64, v5
	v_mul_f32_e32 v5, v63, v5
	v_add_f32_e32 v57, v66, v67
	v_fmac_f32_e32 v56, v60, v2
	v_fmac_f32_e32 v61, v60, v4
	v_add_f32_e32 v52, v6, v9
	v_fma_f32 v6, v63, v2, -v49
	v_fmac_f32_e32 v3, v64, v2
	v_fma_f32 v2, v63, v4, -v50
	v_fmac_f32_e32 v5, v64, v4
	v_add_f32_e32 v55, v53, v56
	v_add_f32_e32 v53, v57, v61
	;; [unrolled: 1-line block ×6, first 2 shown]
	s_barrier
	buffer_gl0_inv
	s_cbranch_scc1 .LBB79_55
.LBB79_7:                               ;   Parent Loop BB79_4 Depth=1
                                        ; =>  This Inner Loop Header: Depth=2
	v_add_co_u32 v4, s5, v1, s16
	v_add_co_ci_u32_e64 v5, null, 0, s17, s5
	v_cmp_eq_u64_e64 s8, s[16:17], v[16:17]
	v_cmp_le_i64_e64 s6, s[10:11], v[4:5]
	v_cmp_gt_i64_e64 s5, v[4:5], v[12:13]
	s_and_b32 s23, s26, s8
	v_add_co_u32 v2, s8, v40, s12
	v_add_co_ci_u32_e64 v3, null, s13, v41, s8
	s_or_b32 s9, s6, s5
	s_or_b32 s8, s9, s23
	s_nor_b32 s8, s0, s8
	s_and_saveexec_b32 s9, s8
	s_xor_b32 s8, exec_lo, s9
	s_cbranch_execz .LBB79_9
; %bb.8:                                ;   in Loop: Header=BB79_7 Depth=2
	global_load_dwordx2 v[6:7], v[2:3], off
	s_waitcnt vmcnt(0)
	ds_write_b64 v37, v[6:7]
.LBB79_9:                               ;   in Loop: Header=BB79_7 Depth=2
	s_or_saveexec_b32 s8, s8
	s_xor_b32 s22, s23, -1
	s_xor_b32 exec_lo, exec_lo, s8
	s_cbranch_execz .LBB79_15
; %bb.10:                               ;   in Loop: Header=BB79_7 Depth=2
	s_and_saveexec_b32 s9, s22
	s_xor_b32 s9, exec_lo, s9
; %bb.11:                               ;   in Loop: Header=BB79_7 Depth=2
	v_mov_b32_e32 v6, v11
	v_mov_b32_e32 v7, v11
	ds_write_b64 v37, v[6:7]
; %bb.12:                               ;   in Loop: Header=BB79_7 Depth=2
	s_andn2_saveexec_b32 s9, s9
; %bb.13:                               ;   in Loop: Header=BB79_7 Depth=2
	ds_write_b64 v37, v[10:11]
; %bb.14:                               ;   in Loop: Header=BB79_7 Depth=2
	s_or_b32 exec_lo, exec_lo, s9
.LBB79_15:                              ;   in Loop: Header=BB79_7 Depth=2
	s_or_b32 exec_lo, exec_lo, s8
	v_cmp_eq_u64_e64 s8, s[16:17], v[18:19]
	v_cmp_lt_i64_e64 s9, v[14:15], v[4:5]
	s_and_b32 s8, s26, s8
	s_or_b32 s6, s6, s9
	s_or_b32 s6, s6, s8
	s_nor_b32 s6, s3, s6
	s_and_saveexec_b32 s9, s6
	s_xor_b32 s9, exec_lo, s9
	s_cbranch_execz .LBB79_17
; %bb.16:                               ;   in Loop: Header=BB79_7 Depth=2
	v_add_co_u32 v6, s6, v42, s12
	v_add_co_ci_u32_e64 v7, null, s13, v43, s6
	global_load_dwordx2 v[6:7], v[6:7], off
	s_waitcnt vmcnt(0)
	ds_write_b64 v37, v[6:7] offset:128
.LBB79_17:                              ;   in Loop: Header=BB79_7 Depth=2
	s_andn2_saveexec_b32 s6, s9
	s_cbranch_execz .LBB79_23
; %bb.18:                               ;   in Loop: Header=BB79_7 Depth=2
	s_xor_b32 s8, s8, -1
	s_and_saveexec_b32 s9, s8
	s_xor_b32 s8, exec_lo, s9
; %bb.19:                               ;   in Loop: Header=BB79_7 Depth=2
	v_mov_b32_e32 v6, v11
	v_mov_b32_e32 v7, v11
	ds_write_b64 v37, v[6:7] offset:128
; %bb.20:                               ;   in Loop: Header=BB79_7 Depth=2
	s_andn2_saveexec_b32 s8, s8
; %bb.21:                               ;   in Loop: Header=BB79_7 Depth=2
	ds_write_b64 v37, v[10:11] offset:128
; %bb.22:                               ;   in Loop: Header=BB79_7 Depth=2
	s_or_b32 exec_lo, exec_lo, s8
.LBB79_23:                              ;   in Loop: Header=BB79_7 Depth=2
	s_or_b32 exec_lo, exec_lo, s6
	v_add_co_u32 v4, s6, v4, 16
	v_add_co_ci_u32_e64 v5, null, 0, v5, s6
	v_cmp_eq_u64_e64 s8, s[16:17], v[22:23]
	v_cmp_le_i64_e64 s6, s[10:11], v[4:5]
	v_cmp_gt_i64_e64 s9, v[4:5], v[12:13]
	s_and_b32 s29, s26, s8
	s_or_b32 s8, s6, s9
	s_or_b32 s8, s8, s29
	s_nor_b32 s8, s0, s8
	s_and_saveexec_b32 s9, s8
	s_xor_b32 s8, exec_lo, s9
	s_cbranch_execz .LBB79_25
; %bb.24:                               ;   in Loop: Header=BB79_7 Depth=2
	global_load_dwordx2 v[2:3], v[2:3], off offset:128
	s_waitcnt vmcnt(0)
	ds_write_b64 v37, v[2:3] offset:4096
.LBB79_25:                              ;   in Loop: Header=BB79_7 Depth=2
	s_andn2_saveexec_b32 s8, s8
	s_cbranch_execz .LBB79_31
; %bb.26:                               ;   in Loop: Header=BB79_7 Depth=2
	s_xor_b32 s9, s29, -1
	s_and_saveexec_b32 s29, s9
	s_xor_b32 s9, exec_lo, s29
; %bb.27:                               ;   in Loop: Header=BB79_7 Depth=2
	v_mov_b32_e32 v2, v11
	v_mov_b32_e32 v3, v11
	ds_write_b64 v37, v[2:3] offset:4096
; %bb.28:                               ;   in Loop: Header=BB79_7 Depth=2
	s_andn2_saveexec_b32 s9, s9
; %bb.29:                               ;   in Loop: Header=BB79_7 Depth=2
	ds_write_b64 v37, v[10:11] offset:4096
; %bb.30:                               ;   in Loop: Header=BB79_7 Depth=2
	s_or_b32 exec_lo, exec_lo, s9
.LBB79_31:                              ;   in Loop: Header=BB79_7 Depth=2
	s_or_b32 exec_lo, exec_lo, s8
	s_or_b32 s5, s6, s5
	s_or_b32 s5, s5, s23
	s_nor_b32 s5, s3, s5
	s_and_saveexec_b32 s6, s5
	s_xor_b32 s6, exec_lo, s6
	s_cbranch_execz .LBB79_33
; %bb.32:                               ;   in Loop: Header=BB79_7 Depth=2
	v_add_co_u32 v2, s5, v42, s12
	v_add_co_ci_u32_e64 v3, null, s13, v43, s5
	global_load_dwordx2 v[2:3], v[2:3], off offset:128
	s_waitcnt vmcnt(0)
	ds_write_b64 v37, v[2:3] offset:4224
.LBB79_33:                              ;   in Loop: Header=BB79_7 Depth=2
	s_andn2_saveexec_b32 s5, s6
	s_cbranch_execz .LBB79_39
; %bb.34:                               ;   in Loop: Header=BB79_7 Depth=2
	s_and_saveexec_b32 s6, s22
	s_xor_b32 s6, exec_lo, s6
; %bb.35:                               ;   in Loop: Header=BB79_7 Depth=2
	v_mov_b32_e32 v2, v11
	v_mov_b32_e32 v3, v11
	ds_write_b64 v37, v[2:3] offset:4224
; %bb.36:                               ;   in Loop: Header=BB79_7 Depth=2
	s_andn2_saveexec_b32 s6, s6
; %bb.37:                               ;   in Loop: Header=BB79_7 Depth=2
	ds_write_b64 v37, v[10:11] offset:4224
; %bb.38:                               ;   in Loop: Header=BB79_7 Depth=2
	s_or_b32 exec_lo, exec_lo, s6
.LBB79_39:                              ;   in Loop: Header=BB79_7 Depth=2
	s_or_b32 exec_lo, exec_lo, s5
	v_add_co_u32 v2, s5, v0, s16
	v_add_co_ci_u32_e64 v3, null, 0, s17, s5
	v_cmp_gt_i64_e64 s5, s[10:11], v[2:3]
	s_and_b32 s6, vcc_lo, s5
	s_xor_b32 s6, s6, -1
	s_and_saveexec_b32 s8, s6
	s_xor_b32 s6, exec_lo, s8
; %bb.40:                               ;   in Loop: Header=BB79_7 Depth=2
	v_mov_b32_e32 v4, v11
	v_mov_b32_e32 v5, v11
	ds_write_b64 v39, v[4:5]
; %bb.41:                               ;   in Loop: Header=BB79_7 Depth=2
	s_or_saveexec_b32 s8, s6
	v_add_co_u32 v4, s6, v32, s12
	v_add_co_ci_u32_e64 v5, null, s13, v33, s6
	s_xor_b32 exec_lo, exec_lo, s8
	s_cbranch_execz .LBB79_43
; %bb.42:                               ;   in Loop: Header=BB79_7 Depth=2
	global_load_dwordx2 v[6:7], v[4:5], off offset:-128
	s_waitcnt vmcnt(0)
	ds_write_b64 v39, v[6:7]
.LBB79_43:                              ;   in Loop: Header=BB79_7 Depth=2
	s_or_b32 exec_lo, exec_lo, s8
	v_cmp_gt_i64_e64 s6, s[14:15], v[2:3]
	s_and_b32 s8, vcc_lo, s6
	s_xor_b32 s8, s8, -1
	s_and_saveexec_b32 s9, s8
	s_xor_b32 s8, exec_lo, s9
; %bb.44:                               ;   in Loop: Header=BB79_7 Depth=2
	v_mov_b32_e32 v2, v11
	v_mov_b32_e32 v3, v11
                                        ; implicit-def: $vgpr4_vgpr5
	ds_write_b64 v39, v[2:3] offset:128
; %bb.45:                               ;   in Loop: Header=BB79_7 Depth=2
	s_andn2_saveexec_b32 s8, s8
	s_cbranch_execz .LBB79_47
; %bb.46:                               ;   in Loop: Header=BB79_7 Depth=2
	global_load_dwordx2 v[2:3], v[4:5], off
	s_waitcnt vmcnt(0)
	ds_write_b64 v39, v[2:3] offset:128
.LBB79_47:                              ;   in Loop: Header=BB79_7 Depth=2
	s_or_b32 exec_lo, exec_lo, s8
	s_and_b32 s5, s4, s5
	s_xor_b32 s5, s5, -1
	s_and_saveexec_b32 s8, s5
	s_xor_b32 s5, exec_lo, s8
; %bb.48:                               ;   in Loop: Header=BB79_7 Depth=2
	v_mov_b32_e32 v2, v11
	v_mov_b32_e32 v3, v11
	ds_write_b64 v39, v[2:3] offset:4096
; %bb.49:                               ;   in Loop: Header=BB79_7 Depth=2
	s_or_saveexec_b32 s8, s5
	v_add_co_u32 v2, s5, v34, s12
	v_add_co_ci_u32_e64 v3, null, s13, v35, s5
	s_xor_b32 exec_lo, exec_lo, s8
	s_cbranch_execz .LBB79_51
; %bb.50:                               ;   in Loop: Header=BB79_7 Depth=2
	global_load_dwordx2 v[4:5], v[2:3], off
	s_waitcnt vmcnt(0)
	ds_write_b64 v39, v[4:5] offset:4096
.LBB79_51:                              ;   in Loop: Header=BB79_7 Depth=2
	s_or_b32 exec_lo, exec_lo, s8
	s_and_b32 s5, s4, s6
	s_xor_b32 s5, s5, -1
	s_and_saveexec_b32 s6, s5
	s_xor_b32 s5, exec_lo, s6
; %bb.52:                               ;   in Loop: Header=BB79_7 Depth=2
	v_mov_b32_e32 v2, v11
	v_mov_b32_e32 v3, v11
	ds_write_b64 v39, v[2:3] offset:4224
                                        ; implicit-def: $vgpr2_vgpr3
; %bb.53:                               ;   in Loop: Header=BB79_7 Depth=2
	s_andn2_saveexec_b32 s5, s5
	s_cbranch_execz .LBB79_6
; %bb.54:                               ;   in Loop: Header=BB79_7 Depth=2
	global_load_dwordx2 v[2:3], v[2:3], off offset:128
	s_waitcnt vmcnt(0)
	ds_write_b64 v39, v[2:3] offset:4224
	s_branch .LBB79_6
.LBB79_55:                              ;   in Loop: Header=BB79_4 Depth=1
	v_mul_lo_u32 v4, s41, v47
	v_mul_lo_u32 v5, s40, v48
	v_mad_u64_u32 v[2:3], null, s40, v47, 0
	v_cmp_gt_i32_e32 vcc_lo, s30, v47
	v_add3_u32 v3, v3, v5, v4
	v_lshlrev_b64 v[2:3], 3, v[2:3]
	v_add_co_u32 v2, s4, s27, v2
	v_add_co_ci_u32_e64 v3, null, s36, v3, s4
	s_and_b32 s4, s1, vcc_lo
	s_and_saveexec_b32 s5, s4
	s_cbranch_execz .LBB79_57
; %bb.56:                               ;   in Loop: Header=BB79_4 Depth=1
	v_add_co_u32 v4, s4, v2, v20
	v_add_co_ci_u32_e64 v5, null, v3, v21, s4
	v_mul_f32_e32 v8, s33, v55
	v_mul_f32_e32 v9, s31, v55
	global_load_dwordx2 v[6:7], v[4:5], off
	v_fma_f32 v8, v54, s31, -v8
	v_fmac_f32_e32 v9, s33, v54
	s_waitcnt vmcnt(0)
	v_add_f32_e32 v6, v6, v8
	v_add_f32_e32 v7, v9, v7
	global_store_dwordx2 v[4:5], v[6:7], off
.LBB79_57:                              ;   in Loop: Header=BB79_4 Depth=1
	s_or_b32 exec_lo, exec_lo, s5
	s_and_b32 s5, s2, vcc_lo
	s_and_saveexec_b32 s4, s5
	s_cbranch_execz .LBB79_59
; %bb.58:                               ;   in Loop: Header=BB79_4 Depth=1
	v_add_co_u32 v2, vcc_lo, v2, v30
	v_add_co_ci_u32_e64 v3, null, v3, v31, vcc_lo
	v_mul_f32_e32 v6, s33, v53
	v_mul_f32_e32 v7, s31, v53
	global_load_dwordx2 v[4:5], v[2:3], off
	v_fma_f32 v6, v52, s31, -v6
	v_fmac_f32_e32 v7, s33, v52
	s_waitcnt vmcnt(0)
	v_add_f32_e32 v4, v4, v6
	v_add_f32_e32 v5, v7, v5
	global_store_dwordx2 v[2:3], v[4:5], off
.LBB79_59:                              ;   in Loop: Header=BB79_4 Depth=1
	s_or_b32 exec_lo, exec_lo, s4
	v_add_nc_u32_e32 v4, 16, v47
	v_ashrrev_i32_e32 v5, 31, v4
	v_mul_lo_u32 v6, s41, v4
	v_mad_u64_u32 v[2:3], null, s40, v4, 0
	v_cmp_gt_i32_e32 vcc_lo, s30, v4
	v_mul_lo_u32 v5, s40, v5
	v_add3_u32 v3, v3, v5, v6
	v_lshlrev_b64 v[2:3], 3, v[2:3]
	v_add_co_u32 v2, s4, s27, v2
	v_add_co_ci_u32_e64 v3, null, s36, v3, s4
	s_and_b32 s4, s1, vcc_lo
	s_and_saveexec_b32 s5, s4
	s_cbranch_execz .LBB79_61
; %bb.60:                               ;   in Loop: Header=BB79_4 Depth=1
	v_add_co_u32 v4, s4, v2, v20
	v_add_co_ci_u32_e64 v5, null, v3, v21, s4
	v_mul_f32_e32 v8, s33, v50
	v_mul_f32_e32 v9, s31, v50
	global_load_dwordx2 v[6:7], v[4:5], off
	v_fma_f32 v8, v51, s31, -v8
	v_fmac_f32_e32 v9, s33, v51
	s_waitcnt vmcnt(0)
	v_add_f32_e32 v6, v6, v8
	v_add_f32_e32 v7, v9, v7
	global_store_dwordx2 v[4:5], v[6:7], off
.LBB79_61:                              ;   in Loop: Header=BB79_4 Depth=1
	s_or_b32 exec_lo, exec_lo, s5
	s_and_b32 s5, s2, vcc_lo
	s_and_saveexec_b32 s4, s5
	s_cbranch_execz .LBB79_3
; %bb.62:                               ;   in Loop: Header=BB79_4 Depth=1
	v_add_co_u32 v2, vcc_lo, v2, v30
	v_add_co_ci_u32_e64 v3, null, v3, v31, vcc_lo
	v_mul_f32_e32 v6, s33, v29
	v_mul_f32_e32 v7, s31, v29
	global_load_dwordx2 v[4:5], v[2:3], off
	v_fma_f32 v6, v49, s31, -v6
	v_fmac_f32_e32 v7, s33, v49
	s_waitcnt vmcnt(0)
	v_add_f32_e32 v4, v4, v6
	v_add_f32_e32 v5, v7, v5
	global_store_dwordx2 v[2:3], v[4:5], off
	s_branch .LBB79_3
.LBB79_63:
	s_endpgm
	.section	.rodata,"a",@progbits
	.p2align	6, 0x0
	.amdhsa_kernel _ZL30rocblas_trmm_outofplace_kernelI19rocblas_complex_numIfELi32ELi2ELb1ELb1ELb1ELb0ES1_KS1_S1_Ev17rocblas_diagonal_iiT6_lPT7_lllS6_lllPT8_llli
		.amdhsa_group_segment_fixed_size 16384
		.amdhsa_private_segment_fixed_size 0
		.amdhsa_kernarg_size 392
		.amdhsa_user_sgpr_count 6
		.amdhsa_user_sgpr_private_segment_buffer 1
		.amdhsa_user_sgpr_dispatch_ptr 0
		.amdhsa_user_sgpr_queue_ptr 0
		.amdhsa_user_sgpr_kernarg_segment_ptr 1
		.amdhsa_user_sgpr_dispatch_id 0
		.amdhsa_user_sgpr_flat_scratch_init 0
		.amdhsa_user_sgpr_private_segment_size 0
		.amdhsa_wavefront_size32 1
		.amdhsa_uses_dynamic_stack 0
		.amdhsa_system_sgpr_private_segment_wavefront_offset 0
		.amdhsa_system_sgpr_workgroup_id_x 1
		.amdhsa_system_sgpr_workgroup_id_y 1
		.amdhsa_system_sgpr_workgroup_id_z 1
		.amdhsa_system_sgpr_workgroup_info 0
		.amdhsa_system_vgpr_workitem_id 1
		.amdhsa_next_free_vgpr 86
		.amdhsa_next_free_sgpr 46
		.amdhsa_reserve_vcc 1
		.amdhsa_reserve_flat_scratch 0
		.amdhsa_float_round_mode_32 0
		.amdhsa_float_round_mode_16_64 0
		.amdhsa_float_denorm_mode_32 3
		.amdhsa_float_denorm_mode_16_64 3
		.amdhsa_dx10_clamp 1
		.amdhsa_ieee_mode 1
		.amdhsa_fp16_overflow 0
		.amdhsa_workgroup_processor_mode 1
		.amdhsa_memory_ordered 1
		.amdhsa_forward_progress 1
		.amdhsa_shared_vgpr_count 0
		.amdhsa_exception_fp_ieee_invalid_op 0
		.amdhsa_exception_fp_denorm_src 0
		.amdhsa_exception_fp_ieee_div_zero 0
		.amdhsa_exception_fp_ieee_overflow 0
		.amdhsa_exception_fp_ieee_underflow 0
		.amdhsa_exception_fp_ieee_inexact 0
		.amdhsa_exception_int_div_zero 0
	.end_amdhsa_kernel
	.section	.text._ZL30rocblas_trmm_outofplace_kernelI19rocblas_complex_numIfELi32ELi2ELb1ELb1ELb1ELb0ES1_KS1_S1_Ev17rocblas_diagonal_iiT6_lPT7_lllS6_lllPT8_llli,"axG",@progbits,_ZL30rocblas_trmm_outofplace_kernelI19rocblas_complex_numIfELi32ELi2ELb1ELb1ELb1ELb0ES1_KS1_S1_Ev17rocblas_diagonal_iiT6_lPT7_lllS6_lllPT8_llli,comdat
.Lfunc_end79:
	.size	_ZL30rocblas_trmm_outofplace_kernelI19rocblas_complex_numIfELi32ELi2ELb1ELb1ELb1ELb0ES1_KS1_S1_Ev17rocblas_diagonal_iiT6_lPT7_lllS6_lllPT8_llli, .Lfunc_end79-_ZL30rocblas_trmm_outofplace_kernelI19rocblas_complex_numIfELi32ELi2ELb1ELb1ELb1ELb0ES1_KS1_S1_Ev17rocblas_diagonal_iiT6_lPT7_lllS6_lllPT8_llli
                                        ; -- End function
	.set _ZL30rocblas_trmm_outofplace_kernelI19rocblas_complex_numIfELi32ELi2ELb1ELb1ELb1ELb0ES1_KS1_S1_Ev17rocblas_diagonal_iiT6_lPT7_lllS6_lllPT8_llli.num_vgpr, 86
	.set _ZL30rocblas_trmm_outofplace_kernelI19rocblas_complex_numIfELi32ELi2ELb1ELb1ELb1ELb0ES1_KS1_S1_Ev17rocblas_diagonal_iiT6_lPT7_lllS6_lllPT8_llli.num_agpr, 0
	.set _ZL30rocblas_trmm_outofplace_kernelI19rocblas_complex_numIfELi32ELi2ELb1ELb1ELb1ELb0ES1_KS1_S1_Ev17rocblas_diagonal_iiT6_lPT7_lllS6_lllPT8_llli.numbered_sgpr, 46
	.set _ZL30rocblas_trmm_outofplace_kernelI19rocblas_complex_numIfELi32ELi2ELb1ELb1ELb1ELb0ES1_KS1_S1_Ev17rocblas_diagonal_iiT6_lPT7_lllS6_lllPT8_llli.num_named_barrier, 0
	.set _ZL30rocblas_trmm_outofplace_kernelI19rocblas_complex_numIfELi32ELi2ELb1ELb1ELb1ELb0ES1_KS1_S1_Ev17rocblas_diagonal_iiT6_lPT7_lllS6_lllPT8_llli.private_seg_size, 0
	.set _ZL30rocblas_trmm_outofplace_kernelI19rocblas_complex_numIfELi32ELi2ELb1ELb1ELb1ELb0ES1_KS1_S1_Ev17rocblas_diagonal_iiT6_lPT7_lllS6_lllPT8_llli.uses_vcc, 1
	.set _ZL30rocblas_trmm_outofplace_kernelI19rocblas_complex_numIfELi32ELi2ELb1ELb1ELb1ELb0ES1_KS1_S1_Ev17rocblas_diagonal_iiT6_lPT7_lllS6_lllPT8_llli.uses_flat_scratch, 0
	.set _ZL30rocblas_trmm_outofplace_kernelI19rocblas_complex_numIfELi32ELi2ELb1ELb1ELb1ELb0ES1_KS1_S1_Ev17rocblas_diagonal_iiT6_lPT7_lllS6_lllPT8_llli.has_dyn_sized_stack, 0
	.set _ZL30rocblas_trmm_outofplace_kernelI19rocblas_complex_numIfELi32ELi2ELb1ELb1ELb1ELb0ES1_KS1_S1_Ev17rocblas_diagonal_iiT6_lPT7_lllS6_lllPT8_llli.has_recursion, 0
	.set _ZL30rocblas_trmm_outofplace_kernelI19rocblas_complex_numIfELi32ELi2ELb1ELb1ELb1ELb0ES1_KS1_S1_Ev17rocblas_diagonal_iiT6_lPT7_lllS6_lllPT8_llli.has_indirect_call, 0
	.section	.AMDGPU.csdata,"",@progbits
; Kernel info:
; codeLenInByte = 6584
; TotalNumSgprs: 48
; NumVgprs: 86
; ScratchSize: 0
; MemoryBound: 1
; FloatMode: 240
; IeeeMode: 1
; LDSByteSize: 16384 bytes/workgroup (compile time only)
; SGPRBlocks: 0
; VGPRBlocks: 10
; NumSGPRsForWavesPerEU: 48
; NumVGPRsForWavesPerEU: 86
; Occupancy: 10
; WaveLimiterHint : 0
; COMPUTE_PGM_RSRC2:SCRATCH_EN: 0
; COMPUTE_PGM_RSRC2:USER_SGPR: 6
; COMPUTE_PGM_RSRC2:TRAP_HANDLER: 0
; COMPUTE_PGM_RSRC2:TGID_X_EN: 1
; COMPUTE_PGM_RSRC2:TGID_Y_EN: 1
; COMPUTE_PGM_RSRC2:TGID_Z_EN: 1
; COMPUTE_PGM_RSRC2:TIDIG_COMP_CNT: 1
	.section	.text._ZL30rocblas_trmm_outofplace_kernelI19rocblas_complex_numIfELi32ELi2ELb1ELb0ELb1ELb1EPKS1_S2_S1_Ev17rocblas_diagonal_iiT6_lPT7_lllS7_lllPT8_llli,"axG",@progbits,_ZL30rocblas_trmm_outofplace_kernelI19rocblas_complex_numIfELi32ELi2ELb1ELb0ELb1ELb1EPKS1_S2_S1_Ev17rocblas_diagonal_iiT6_lPT7_lllS7_lllPT8_llli,comdat
	.globl	_ZL30rocblas_trmm_outofplace_kernelI19rocblas_complex_numIfELi32ELi2ELb1ELb0ELb1ELb1EPKS1_S2_S1_Ev17rocblas_diagonal_iiT6_lPT7_lllS7_lllPT8_llli ; -- Begin function _ZL30rocblas_trmm_outofplace_kernelI19rocblas_complex_numIfELi32ELi2ELb1ELb0ELb1ELb1EPKS1_S2_S1_Ev17rocblas_diagonal_iiT6_lPT7_lllS7_lllPT8_llli
	.p2align	8
	.type	_ZL30rocblas_trmm_outofplace_kernelI19rocblas_complex_numIfELi32ELi2ELb1ELb0ELb1ELb1EPKS1_S2_S1_Ev17rocblas_diagonal_iiT6_lPT7_lllS7_lllPT8_llli,@function
_ZL30rocblas_trmm_outofplace_kernelI19rocblas_complex_numIfELi32ELi2ELb1ELb0ELb1ELb1EPKS1_S2_S1_Ev17rocblas_diagonal_iiT6_lPT7_lllS7_lllPT8_llli: ; @_ZL30rocblas_trmm_outofplace_kernelI19rocblas_complex_numIfELi32ELi2ELb1ELb0ELb1ELb1EPKS1_S2_S1_Ev17rocblas_diagonal_iiT6_lPT7_lllS7_lllPT8_llli
; %bb.0:
	s_load_dwordx16 s[12:27], s[4:5], 0x10
	s_waitcnt lgkmcnt(0)
	s_mul_i32 s0, s15, s8
	s_mul_hi_u32 s1, s14, s8
	s_add_i32 s1, s1, s0
	s_mul_i32 s0, s14, s8
	s_lshl_b64 s[0:1], s[0:1], 3
	s_add_u32 s0, s12, s0
	s_addc_u32 s1, s13, s1
	s_load_dwordx2 s[10:11], s[0:1], 0x0
	s_waitcnt lgkmcnt(0)
	s_or_b32 s0, s10, s11
	s_bitset0_b32 s0, 31
	s_cmp_eq_u32 s0, 0
	s_cbranch_scc1 .LBB80_64
; %bb.1:
	s_load_dwordx4 s[12:15], s[4:5], 0x0
	s_waitcnt lgkmcnt(0)
	s_add_i32 s0, s14, -1
	s_ashr_i32 s1, s0, 31
	s_lshr_b32 s1, s1, 27
	s_add_i32 s0, s0, s1
	s_ashr_i32 s15, s0, 5
	s_cmp_gt_i32 s7, s15
	s_cbranch_scc1 .LBB80_64
; %bb.2:
	s_clause 0x1
	s_load_dwordx4 s[28:31], s[4:5], 0x70
	s_load_dwordx8 s[36:43], s[4:5], 0x50
	s_mul_i32 s1, s23, s8
	s_mul_hi_u32 s2, s22, s8
	s_mul_i32 s0, s22, s8
	s_add_i32 s1, s2, s1
	s_load_dword s33, s[4:5], 0x8c
	s_lshl_b64 s[34:35], s[0:1], 3
	v_lshlrev_b32_e32 v2, 8, v1
	s_add_u32 s0, s16, s34
	s_addc_u32 s1, s17, s35
	s_lshl_b64 s[44:45], s[18:19], 3
	v_lshlrev_b32_e32 v42, 3, v0
	s_add_u32 s3, s0, s44
	s_addc_u32 s4, s1, s45
	v_add_nc_u32_e32 v43, 0x2000, v2
	s_mov_b32 s22, s13
	v_add_nc_u32_e32 v44, v42, v2
	v_lshl_add_u32 v34, s7, 5, v1
	v_mov_b32_e32 v37, 0
	s_waitcnt lgkmcnt(0)
	s_mul_i32 s1, s31, s8
	s_mul_hi_u32 s2, s30, s8
	s_mul_i32 s0, s30, s8
	s_add_i32 s1, s2, s1
	v_mov_b32_e32 v36, 1.0
	s_lshl_b64 s[0:1], s[0:1], 3
	v_add_nc_u32_e32 v49, 0x800, v42
	s_add_u32 s2, s40, s0
	s_addc_u32 s5, s41, s1
	s_lshl_b64 s[0:1], s[42:43], 3
	v_add_nc_u32_e32 v50, 0x1000, v42
	s_add_u32 s30, s2, s0
	s_addc_u32 s31, s5, s1
	s_lshl_b32 s0, s6, 5
	v_add_nc_u32_e32 v51, 0x1800, v42
	v_add_nc_u32_e32 v14, s0, v0
	;; [unrolled: 1-line block ×3, first 2 shown]
	s_sub_i32 s40, s13, s0
	v_add_nc_u32_e32 v0, v43, v42
	s_cmp_gt_i32 s40, 0
	v_ashrrev_i32_e32 v15, 31, v14
	v_mul_lo_u32 v4, s21, v14
	v_mad_u64_u32 v[2:3], null, s20, v14, 0
	v_ashrrev_i32_e32 v17, 31, v16
	v_mul_lo_u32 v5, s20, v15
	v_add_co_u32 v20, vcc_lo, v14, 16
	v_add_co_ci_u32_e64 v21, null, 0, v15, vcc_lo
	v_lshlrev_b64 v[24:25], 3, v[14:15]
	s_cselect_b32 s41, -1, 0
	s_cmpk_eq_i32 s12, 0x84
	v_add3_u32 v3, v3, v5, v4
	v_lshlrev_b64 v[4:5], 3, v[16:17]
	s_cselect_b32 s42, -1, 0
	s_ashr_i32 s23, s13, 31
	s_ashr_i32 s43, s14, 31
	v_lshlrev_b64 v[2:3], 3, v[2:3]
	s_add_u32 s18, s13, -16
	s_addc_u32 s19, s23, -1
	v_add_nc_u32_e32 v18, 16, v14
	v_cmp_le_i32_e64 s0, s13, v14
	v_cmp_gt_i32_e64 s1, s13, v14
	v_add_co_u32 v2, vcc_lo, s3, v2
	v_add_co_ci_u32_e64 v3, null, s4, v3, vcc_lo
	s_add_u32 s4, s44, s34
	v_add_co_u32 v45, vcc_lo, v2, v4
	v_add_co_ci_u32_e64 v46, null, v3, v5, vcc_lo
	v_sub_co_u32 v22, vcc_lo, v14, v16
	v_sub_co_ci_u32_e64 v23, null, v15, v17, vcc_lo
	s_addc_u32 s5, s45, s35
	v_add_co_u32 v26, vcc_lo, v22, 16
	v_add_co_ci_u32_e64 v27, null, 0, v23, vcc_lo
	v_add_co_u32 v6, vcc_lo, 0x80, v24
	v_add_co_ci_u32_e64 v7, null, 0, v25, vcc_lo
	v_add_co_u32 v28, vcc_lo, v22, -16
	v_mad_u64_u32 v[2:3], null, s20, v6, s[4:5]
	v_mul_lo_u32 v7, s20, v7
	v_mul_lo_u32 v6, s21, v6
	s_mul_i32 s4, s39, s8
	s_mul_hi_u32 s5, s38, s8
	v_add_co_ci_u32_e64 v29, null, -1, v23, vcc_lo
	s_add_i32 s5, s5, s4
	s_mul_i32 s4, s38, s8
	s_lshl_b64 s[8:9], s[26:27], 3
	s_lshl_b64 s[4:5], s[4:5], 3
	v_add3_u32 v3, v6, v3, v7
	s_add_u32 s4, s4, s8
	s_addc_u32 s5, s5, s9
	v_add_co_u32 v2, vcc_lo, v2, v4
	s_add_u32 s4, s24, s4
	v_add_co_ci_u32_e64 v3, null, v3, v5, vcc_lo
	s_addc_u32 s5, s25, s5
	v_add_co_u32 v30, vcc_lo, s4, v24
	v_add_co_ci_u32_e64 v31, null, s5, v25, vcc_lo
	v_add_co_u32 v47, vcc_lo, s16, v2
	v_add_co_ci_u32_e64 v48, null, s17, v3, vcc_lo
	v_add_co_u32 v32, vcc_lo, 0x80, v30
	v_cmp_le_i64_e64 s3, s[22:23], v[20:21]
	v_cmp_gt_i32_e64 s2, s13, v18
	v_ashrrev_i32_e32 v19, 31, v18
	v_add_co_ci_u32_e64 v33, null, 0, v31, vcc_lo
	s_lshl_b64 s[12:13], s[36:37], 3
	s_lshl_b32 s24, s33, 5
	s_branch .LBB80_4
.LBB80_3:                               ;   in Loop: Header=BB80_4 Depth=1
	s_or_b32 exec_lo, exec_lo, s4
	v_add_nc_u32_e32 v34, s24, v34
	s_add_i32 s7, s33, s7
	s_cmp_le_i32 s7, s15
	s_cbranch_scc0 .LBB80_64
.LBB80_4:                               ; =>This Loop Header: Depth=1
                                        ;     Child Loop BB80_7 Depth 2
	v_lshl_add_u32 v52, s7, 5, v1
	s_andn2_b32 vcc_lo, exec_lo, s41
	v_ashrrev_i32_e32 v53, 31, v52
	s_cbranch_vccnz .LBB80_55
; %bb.5:                                ;   in Loop: Header=BB80_4 Depth=1
	v_ashrrev_i32_e32 v35, 31, v34
	v_mad_u64_u32 v[38:39], null, s12, v34, v[32:33]
	v_mul_lo_u32 v4, s13, v34
	v_mov_b32_e32 v54, 0
	v_lshlrev_b64 v[2:3], 3, v[34:35]
	v_mul_lo_u32 v7, s12, v35
	v_mov_b32_e32 v35, 0
	v_mov_b32_e32 v55, 0
	;; [unrolled: 1-line block ×4, first 2 shown]
	v_add_co_u32 v5, vcc_lo, 0x80, v2
	v_add_co_ci_u32_e64 v6, null, 0, v3, vcc_lo
	v_sub_co_u32 v2, vcc_lo, s14, v52
	v_mul_lo_u32 v8, s37, v5
	v_mul_lo_u32 v6, s36, v6
	v_mad_u64_u32 v[40:41], null, s36, v5, v[30:31]
	v_sub_co_ci_u32_e64 v3, null, s43, v53, vcc_lo
	v_add3_u32 v39, v4, v39, v7
	v_mov_b32_e32 v57, 0
	v_mov_b32_e32 v60, 0
	v_cmp_lt_i64_e64 s4, 16, v[2:3]
	v_add3_u32 v41, v8, v41, v6
	v_mov_b32_e32 v59, 0
	s_mov_b64 s[16:17], 0
	s_mov_b64 s[20:21], 0
	v_cmp_lt_i64_e32 vcc_lo, 0, v[2:3]
	s_branch .LBB80_7
.LBB80_6:                               ;   in Loop: Header=BB80_7 Depth=2
	s_or_b32 exec_lo, exec_lo, s5
	s_waitcnt lgkmcnt(0)
	s_barrier
	buffer_gl0_inv
	ds_read_b128 v[61:64], v43
	ds_read_b128 v[10:13], v43 offset:16
	ds_read_b128 v[6:9], v43 offset:32
	;; [unrolled: 1-line block ×3, first 2 shown]
	ds_read2_b64 v[65:68], v42 offset1:16
	s_add_u32 s20, s20, 32
	s_addc_u32 s21, s21, 0
	s_add_u32 s16, s16, 0x100
	s_addc_u32 s17, s17, 0
	s_cmp_ge_i32 s20, s40
	s_waitcnt lgkmcnt(0)
	v_mul_f32_e32 v69, v62, v66
	v_mul_f32_e32 v70, v61, v66
	v_fma_f32 v69, v61, v65, -v69
	v_fmac_f32_e32 v70, v62, v65
	v_add_f32_e32 v69, v59, v69
	v_add_f32_e32 v70, v60, v70
	v_mul_f32_e32 v59, v62, v68
	v_mul_f32_e32 v60, v61, v68
	v_fma_f32 v59, v61, v67, -v59
	v_fmac_f32_e32 v60, v62, v67
	v_add_f32_e32 v61, v57, v59
	v_add_f32_e32 v62, v58, v60
	ds_read_b128 v[57:60], v43 offset:4096
	s_waitcnt lgkmcnt(0)
	v_mul_f32_e32 v71, v58, v66
	v_mul_f32_e32 v66, v57, v66
	v_fma_f32 v71, v57, v65, -v71
	v_fmac_f32_e32 v66, v58, v65
	v_add_f32_e32 v65, v56, v71
	v_add_f32_e32 v66, v55, v66
	v_mul_f32_e32 v55, v58, v68
	v_mul_f32_e32 v56, v57, v68
	v_fma_f32 v55, v57, v67, -v55
	v_fmac_f32_e32 v56, v58, v67
	v_add_f32_e32 v58, v54, v55
	v_add_f32_e32 v35, v35, v56
	ds_read2_b64 v[54:57], v42 offset0:32 offset1:48
	s_waitcnt lgkmcnt(0)
	v_mul_f32_e32 v67, v64, v55
	v_mul_f32_e32 v68, v63, v55
	v_fma_f32 v67, v63, v54, -v67
	v_fmac_f32_e32 v68, v64, v54
	v_add_f32_e32 v67, v69, v67
	v_mul_f32_e32 v69, v64, v57
	v_add_f32_e32 v68, v70, v68
	v_fma_f32 v69, v63, v56, -v69
	v_mul_f32_e32 v63, v63, v57
	v_add_f32_e32 v61, v61, v69
	v_fmac_f32_e32 v63, v64, v56
	v_add_f32_e32 v62, v62, v63
	v_mul_f32_e32 v63, v60, v55
	v_mul_f32_e32 v55, v59, v55
	v_fma_f32 v63, v59, v54, -v63
	v_fmac_f32_e32 v55, v60, v54
	v_mul_f32_e32 v54, v60, v57
	v_add_f32_e32 v63, v65, v63
	v_add_f32_e32 v64, v66, v55
	v_mul_f32_e32 v55, v59, v57
	v_fma_f32 v54, v59, v56, -v54
	v_fmac_f32_e32 v55, v60, v56
	v_add_f32_e32 v65, v58, v54
	v_add_f32_e32 v35, v35, v55
	ds_read2_b64 v[54:57], v42 offset0:64 offset1:80
	s_waitcnt lgkmcnt(0)
	v_mul_f32_e32 v58, v11, v55
	v_mul_f32_e32 v59, v10, v55
	v_fma_f32 v58, v10, v54, -v58
	v_fmac_f32_e32 v59, v11, v54
	v_add_f32_e32 v66, v67, v58
	v_mul_f32_e32 v58, v11, v57
	v_add_f32_e32 v67, v68, v59
	v_fma_f32 v58, v10, v56, -v58
	v_mul_f32_e32 v10, v10, v57
	v_fmac_f32_e32 v10, v11, v56
	v_add_f32_e32 v11, v61, v58
	ds_read_b128 v[58:61], v43 offset:4112
	v_add_f32_e32 v10, v62, v10
	s_waitcnt lgkmcnt(0)
	v_mul_f32_e32 v62, v59, v55
	v_mul_f32_e32 v55, v58, v55
	v_fma_f32 v62, v58, v54, -v62
	v_fmac_f32_e32 v55, v59, v54
	v_mul_f32_e32 v54, v59, v57
	v_add_f32_e32 v62, v63, v62
	v_add_f32_e32 v63, v64, v55
	v_mul_f32_e32 v55, v58, v57
	v_fma_f32 v54, v58, v56, -v54
	v_fmac_f32_e32 v55, v59, v56
	v_add_f32_e32 v58, v65, v54
	v_add_f32_e32 v35, v35, v55
	ds_read2_b64 v[54:57], v42 offset0:96 offset1:112
	s_waitcnt lgkmcnt(0)
	v_mul_f32_e32 v59, v13, v55
	v_mul_f32_e32 v65, v13, v57
	;; [unrolled: 1-line block ×3, first 2 shown]
	v_fma_f32 v59, v12, v54, -v59
	v_fma_f32 v65, v12, v56, -v65
	v_mul_f32_e32 v12, v12, v57
	v_fmac_f32_e32 v64, v13, v54
	v_add_f32_e32 v59, v66, v59
	v_add_f32_e32 v65, v11, v65
	v_fmac_f32_e32 v12, v13, v56
	v_mul_f32_e32 v11, v60, v55
	v_add_f32_e32 v64, v67, v64
	v_add_f32_e32 v66, v10, v12
	v_mul_f32_e32 v10, v61, v55
	v_fmac_f32_e32 v11, v61, v54
	v_fma_f32 v10, v60, v54, -v10
	v_add_f32_e32 v63, v63, v11
	v_mul_f32_e32 v11, v60, v57
	v_add_f32_e32 v62, v62, v10
	v_mul_f32_e32 v10, v61, v57
	v_fmac_f32_e32 v11, v61, v56
	v_fma_f32 v10, v60, v56, -v10
	v_add_f32_e32 v35, v35, v11
	v_add_f32_e32 v58, v58, v10
	ds_read2_b64 v[10:13], v42 offset0:128 offset1:144
	s_waitcnt lgkmcnt(0)
	v_mul_f32_e32 v54, v7, v11
	v_mul_f32_e32 v55, v6, v11
	v_fma_f32 v54, v6, v10, -v54
	v_fmac_f32_e32 v55, v7, v10
	v_add_f32_e32 v59, v59, v54
	v_mul_f32_e32 v54, v7, v13
	v_add_f32_e32 v60, v64, v55
	v_fma_f32 v54, v6, v12, -v54
	v_mul_f32_e32 v6, v6, v13
	v_fmac_f32_e32 v6, v7, v12
	v_add_f32_e32 v7, v65, v54
	ds_read_b128 v[54:57], v43 offset:4128
	v_add_f32_e32 v6, v66, v6
	s_waitcnt lgkmcnt(0)
	v_mul_f32_e32 v61, v55, v11
	v_mul_f32_e32 v11, v54, v11
	v_fma_f32 v61, v54, v10, -v61
	v_fmac_f32_e32 v11, v55, v10
	v_mul_f32_e32 v10, v55, v13
	v_add_f32_e32 v61, v62, v61
	v_add_f32_e32 v62, v63, v11
	v_mul_f32_e32 v11, v54, v13
	v_fma_f32 v10, v54, v12, -v10
	v_fmac_f32_e32 v11, v55, v12
	v_add_f32_e32 v54, v58, v10
	v_add_f32_e32 v35, v35, v11
	ds_read2_b64 v[10:13], v42 offset0:160 offset1:176
	s_waitcnt lgkmcnt(0)
	v_mul_f32_e32 v55, v9, v11
	v_mul_f32_e32 v58, v8, v11
	v_fma_f32 v55, v8, v10, -v55
	v_fmac_f32_e32 v58, v9, v10
	v_add_f32_e32 v55, v59, v55
	v_mul_f32_e32 v59, v9, v13
	v_add_f32_e32 v58, v60, v58
	v_fma_f32 v59, v8, v12, -v59
	v_mul_f32_e32 v8, v8, v13
	v_add_f32_e32 v59, v7, v59
	v_fmac_f32_e32 v8, v9, v12
	v_mul_f32_e32 v7, v56, v11
	v_add_f32_e32 v60, v6, v8
	v_mul_f32_e32 v6, v57, v11
	v_fmac_f32_e32 v7, v57, v10
	v_fma_f32 v6, v56, v10, -v6
	v_add_f32_e32 v62, v62, v7
	v_mul_f32_e32 v7, v56, v13
	v_add_f32_e32 v61, v61, v6
	v_mul_f32_e32 v6, v57, v13
	v_fmac_f32_e32 v7, v57, v12
	v_fma_f32 v6, v56, v12, -v6
	v_add_f32_e32 v35, v35, v7
	v_add_f32_e32 v54, v54, v6
	ds_read2_b64 v[6:9], v42 offset0:192 offset1:208
	s_waitcnt lgkmcnt(0)
	v_mul_f32_e32 v10, v3, v7
	v_mul_f32_e32 v11, v2, v7
	v_fma_f32 v10, v2, v6, -v10
	v_fmac_f32_e32 v11, v3, v6
	v_add_f32_e32 v55, v55, v10
	v_mul_f32_e32 v10, v3, v9
	v_add_f32_e32 v56, v58, v11
	v_fma_f32 v10, v2, v8, -v10
	v_mul_f32_e32 v2, v2, v9
	v_fmac_f32_e32 v2, v3, v8
	v_add_f32_e32 v3, v59, v10
	ds_read_b128 v[10:13], v43 offset:4144
	v_add_f32_e32 v2, v60, v2
	s_waitcnt lgkmcnt(0)
	v_mul_f32_e32 v57, v11, v7
	v_mul_f32_e32 v7, v10, v7
	v_fma_f32 v57, v10, v6, -v57
	v_fmac_f32_e32 v7, v11, v6
	v_mul_f32_e32 v6, v11, v9
	v_add_f32_e32 v57, v61, v57
	v_add_f32_e32 v58, v62, v7
	v_mul_f32_e32 v7, v10, v9
	v_fma_f32 v6, v10, v8, -v6
	v_fmac_f32_e32 v7, v11, v8
	v_add_f32_e32 v10, v54, v6
	v_add_f32_e32 v11, v35, v7
	ds_read2_b64 v[6:9], v42 offset0:224 offset1:240
	s_waitcnt lgkmcnt(0)
	v_mul_f32_e32 v35, v5, v7
	v_mul_f32_e32 v54, v4, v7
	v_fma_f32 v35, v4, v6, -v35
	v_fmac_f32_e32 v54, v5, v6
	v_add_f32_e32 v35, v55, v35
	v_mul_f32_e32 v55, v5, v9
	v_add_f32_e32 v54, v56, v54
	v_fma_f32 v55, v4, v8, -v55
	v_mul_f32_e32 v4, v4, v9
	v_add_f32_e32 v55, v3, v55
	v_fmac_f32_e32 v4, v5, v8
	v_mul_f32_e32 v3, v12, v7
	v_add_f32_e32 v56, v2, v4
	v_mul_f32_e32 v2, v13, v7
	v_fmac_f32_e32 v3, v13, v6
	v_fma_f32 v2, v12, v6, -v2
	v_add_f32_e32 v58, v58, v3
	v_mul_f32_e32 v3, v12, v9
	v_add_f32_e32 v57, v57, v2
	v_mul_f32_e32 v2, v13, v9
	v_fmac_f32_e32 v3, v13, v8
	v_fma_f32 v2, v12, v8, -v2
	v_add_f32_e32 v60, v11, v3
	v_add_f32_e32 v59, v10, v2
	ds_read_b128 v[2:5], v43 offset:64
	ds_read2_b64 v[6:9], v49 offset1:16
	s_waitcnt lgkmcnt(0)
	v_mul_f32_e32 v10, v3, v7
	v_mul_f32_e32 v11, v2, v7
	v_fma_f32 v10, v2, v6, -v10
	v_fmac_f32_e32 v11, v3, v6
	v_add_f32_e32 v35, v35, v10
	v_mul_f32_e32 v10, v3, v9
	v_add_f32_e32 v54, v54, v11
	v_fma_f32 v10, v2, v8, -v10
	v_mul_f32_e32 v2, v2, v9
	v_fmac_f32_e32 v2, v3, v8
	v_add_f32_e32 v3, v55, v10
	ds_read_b128 v[10:13], v43 offset:4160
	v_add_f32_e32 v2, v56, v2
	s_waitcnt lgkmcnt(0)
	v_mul_f32_e32 v55, v11, v7
	v_mul_f32_e32 v7, v10, v7
	v_fma_f32 v55, v10, v6, -v55
	v_fmac_f32_e32 v7, v11, v6
	v_mul_f32_e32 v6, v11, v9
	v_add_f32_e32 v55, v57, v55
	v_add_f32_e32 v56, v58, v7
	v_mul_f32_e32 v7, v10, v9
	v_fma_f32 v6, v10, v8, -v6
	v_fmac_f32_e32 v7, v11, v8
	v_add_f32_e32 v10, v59, v6
	v_add_f32_e32 v11, v60, v7
	ds_read2_b64 v[6:9], v49 offset0:32 offset1:48
	s_waitcnt lgkmcnt(0)
	v_mul_f32_e32 v57, v5, v7
	v_mul_f32_e32 v58, v4, v7
	v_fma_f32 v57, v4, v6, -v57
	v_fmac_f32_e32 v58, v5, v6
	v_add_f32_e32 v35, v35, v57
	v_mul_f32_e32 v57, v5, v9
	v_add_f32_e32 v54, v54, v58
	v_fma_f32 v57, v4, v8, -v57
	v_mul_f32_e32 v4, v4, v9
	v_add_f32_e32 v57, v3, v57
	v_fmac_f32_e32 v4, v5, v8
	v_mul_f32_e32 v3, v12, v7
	v_add_f32_e32 v58, v2, v4
	v_mul_f32_e32 v2, v13, v7
	v_fmac_f32_e32 v3, v13, v6
	v_fma_f32 v2, v12, v6, -v2
	v_add_f32_e32 v56, v56, v3
	v_mul_f32_e32 v3, v12, v9
	v_add_f32_e32 v55, v55, v2
	v_mul_f32_e32 v2, v13, v9
	v_fmac_f32_e32 v3, v13, v8
	v_fma_f32 v2, v12, v8, -v2
	v_add_f32_e32 v60, v11, v3
	v_add_f32_e32 v59, v10, v2
	ds_read_b128 v[2:5], v43 offset:80
	ds_read2_b64 v[6:9], v49 offset0:64 offset1:80
	s_waitcnt lgkmcnt(0)
	v_mul_f32_e32 v10, v3, v7
	v_mul_f32_e32 v11, v2, v7
	v_fma_f32 v10, v2, v6, -v10
	v_fmac_f32_e32 v11, v3, v6
	v_add_f32_e32 v35, v35, v10
	v_mul_f32_e32 v10, v3, v9
	v_add_f32_e32 v54, v54, v11
	v_fma_f32 v10, v2, v8, -v10
	v_mul_f32_e32 v2, v2, v9
	v_fmac_f32_e32 v2, v3, v8
	v_add_f32_e32 v3, v57, v10
	ds_read_b128 v[10:13], v43 offset:4176
	v_add_f32_e32 v2, v58, v2
	s_waitcnt lgkmcnt(0)
	v_mul_f32_e32 v57, v11, v7
	v_mul_f32_e32 v7, v10, v7
	v_fma_f32 v57, v10, v6, -v57
	v_fmac_f32_e32 v7, v11, v6
	v_mul_f32_e32 v6, v11, v9
	v_add_f32_e32 v55, v55, v57
	v_add_f32_e32 v56, v56, v7
	v_mul_f32_e32 v7, v10, v9
	v_fma_f32 v6, v10, v8, -v6
	v_fmac_f32_e32 v7, v11, v8
	v_add_f32_e32 v10, v59, v6
	v_add_f32_e32 v11, v60, v7
	ds_read2_b64 v[6:9], v49 offset0:96 offset1:112
	s_waitcnt lgkmcnt(0)
	v_mul_f32_e32 v57, v5, v7
	v_mul_f32_e32 v58, v4, v7
	v_fma_f32 v57, v4, v6, -v57
	v_fmac_f32_e32 v58, v5, v6
	v_add_f32_e32 v35, v35, v57
	v_mul_f32_e32 v57, v5, v9
	v_add_f32_e32 v54, v54, v58
	v_fma_f32 v57, v4, v8, -v57
	v_mul_f32_e32 v4, v4, v9
	v_add_f32_e32 v57, v3, v57
	v_fmac_f32_e32 v4, v5, v8
	v_mul_f32_e32 v3, v12, v7
	v_add_f32_e32 v58, v2, v4
	v_mul_f32_e32 v2, v13, v7
	v_fmac_f32_e32 v3, v13, v6
	v_fma_f32 v2, v12, v6, -v2
	v_add_f32_e32 v56, v56, v3
	v_mul_f32_e32 v3, v12, v9
	v_add_f32_e32 v55, v55, v2
	v_mul_f32_e32 v2, v13, v9
	v_fmac_f32_e32 v3, v13, v8
	v_fma_f32 v2, v12, v8, -v2
	v_add_f32_e32 v60, v11, v3
	v_add_f32_e32 v59, v10, v2
	ds_read_b128 v[2:5], v43 offset:96
	ds_read2_b64 v[6:9], v49 offset0:128 offset1:144
	;; [unrolled: 55-line block ×3, first 2 shown]
	s_waitcnt lgkmcnt(0)
	v_mul_f32_e32 v10, v3, v7
	v_mul_f32_e32 v11, v2, v7
	v_fma_f32 v10, v2, v6, -v10
	v_fmac_f32_e32 v11, v3, v6
	v_add_f32_e32 v35, v35, v10
	v_mul_f32_e32 v10, v3, v9
	v_add_f32_e32 v54, v54, v11
	v_fma_f32 v10, v2, v8, -v10
	v_mul_f32_e32 v2, v2, v9
	v_fmac_f32_e32 v2, v3, v8
	v_add_f32_e32 v3, v57, v10
	ds_read_b128 v[10:13], v43 offset:4208
	v_add_f32_e32 v2, v58, v2
	s_waitcnt lgkmcnt(0)
	v_mul_f32_e32 v57, v11, v7
	v_mul_f32_e32 v7, v10, v7
	v_fma_f32 v57, v10, v6, -v57
	v_fmac_f32_e32 v7, v11, v6
	v_mul_f32_e32 v6, v11, v9
	v_add_f32_e32 v55, v55, v57
	v_add_f32_e32 v56, v56, v7
	v_mul_f32_e32 v7, v10, v9
	v_fma_f32 v6, v10, v8, -v6
	v_fmac_f32_e32 v7, v11, v8
	v_add_f32_e32 v10, v59, v6
	v_add_f32_e32 v11, v60, v7
	ds_read2_b64 v[6:9], v49 offset0:224 offset1:240
	s_waitcnt lgkmcnt(0)
	v_mul_f32_e32 v57, v5, v7
	v_mul_f32_e32 v58, v4, v7
	v_fma_f32 v57, v4, v6, -v57
	v_fmac_f32_e32 v58, v5, v6
	v_add_f32_e32 v35, v35, v57
	v_mul_f32_e32 v57, v5, v9
	v_add_f32_e32 v54, v54, v58
	v_fma_f32 v57, v4, v8, -v57
	v_mul_f32_e32 v4, v4, v9
	v_add_f32_e32 v57, v3, v57
	v_fmac_f32_e32 v4, v5, v8
	v_mul_f32_e32 v3, v12, v7
	v_add_f32_e32 v58, v2, v4
	v_mul_f32_e32 v2, v13, v7
	v_fmac_f32_e32 v3, v13, v6
	v_fma_f32 v2, v12, v6, -v2
	v_add_f32_e32 v56, v56, v3
	v_mul_f32_e32 v3, v12, v9
	v_add_f32_e32 v55, v55, v2
	v_mul_f32_e32 v2, v13, v9
	v_fmac_f32_e32 v3, v13, v8
	v_fma_f32 v2, v12, v8, -v2
	v_add_f32_e32 v60, v11, v3
	v_add_f32_e32 v59, v10, v2
	ds_read_b128 v[2:5], v43 offset:128
	ds_read2_b64 v[6:9], v50 offset1:16
	s_waitcnt lgkmcnt(0)
	v_mul_f32_e32 v10, v3, v7
	v_mul_f32_e32 v11, v2, v7
	v_fma_f32 v10, v2, v6, -v10
	v_fmac_f32_e32 v11, v3, v6
	v_add_f32_e32 v35, v35, v10
	v_mul_f32_e32 v10, v3, v9
	v_add_f32_e32 v54, v54, v11
	v_fma_f32 v10, v2, v8, -v10
	v_mul_f32_e32 v2, v2, v9
	v_fmac_f32_e32 v2, v3, v8
	v_add_f32_e32 v3, v57, v10
	ds_read_b128 v[10:13], v43 offset:4224
	v_add_f32_e32 v2, v58, v2
	s_waitcnt lgkmcnt(0)
	v_mul_f32_e32 v57, v11, v7
	v_mul_f32_e32 v7, v10, v7
	v_fma_f32 v57, v10, v6, -v57
	v_fmac_f32_e32 v7, v11, v6
	v_mul_f32_e32 v6, v11, v9
	v_add_f32_e32 v55, v55, v57
	v_add_f32_e32 v56, v56, v7
	v_mul_f32_e32 v7, v10, v9
	v_fma_f32 v6, v10, v8, -v6
	v_fmac_f32_e32 v7, v11, v8
	v_add_f32_e32 v10, v59, v6
	v_add_f32_e32 v11, v60, v7
	ds_read2_b64 v[6:9], v50 offset0:32 offset1:48
	s_waitcnt lgkmcnt(0)
	v_mul_f32_e32 v57, v5, v7
	v_mul_f32_e32 v58, v4, v7
	v_fma_f32 v57, v4, v6, -v57
	v_fmac_f32_e32 v58, v5, v6
	v_add_f32_e32 v35, v35, v57
	v_mul_f32_e32 v57, v5, v9
	v_add_f32_e32 v54, v54, v58
	v_fma_f32 v57, v4, v8, -v57
	v_mul_f32_e32 v4, v4, v9
	v_add_f32_e32 v57, v3, v57
	v_fmac_f32_e32 v4, v5, v8
	v_mul_f32_e32 v3, v12, v7
	v_add_f32_e32 v58, v2, v4
	v_mul_f32_e32 v2, v13, v7
	v_fmac_f32_e32 v3, v13, v6
	v_fma_f32 v2, v12, v6, -v2
	v_add_f32_e32 v56, v56, v3
	v_mul_f32_e32 v3, v12, v9
	v_add_f32_e32 v55, v55, v2
	v_mul_f32_e32 v2, v13, v9
	v_fmac_f32_e32 v3, v13, v8
	v_fma_f32 v2, v12, v8, -v2
	v_add_f32_e32 v60, v11, v3
	v_add_f32_e32 v59, v10, v2
	ds_read_b128 v[2:5], v43 offset:144
	ds_read2_b64 v[6:9], v50 offset0:64 offset1:80
	s_waitcnt lgkmcnt(0)
	v_mul_f32_e32 v10, v3, v7
	v_mul_f32_e32 v11, v2, v7
	v_fma_f32 v10, v2, v6, -v10
	v_fmac_f32_e32 v11, v3, v6
	v_add_f32_e32 v35, v35, v10
	v_mul_f32_e32 v10, v3, v9
	v_add_f32_e32 v54, v54, v11
	v_fma_f32 v10, v2, v8, -v10
	v_mul_f32_e32 v2, v2, v9
	v_fmac_f32_e32 v2, v3, v8
	v_add_f32_e32 v3, v57, v10
	ds_read_b128 v[10:13], v43 offset:4240
	v_add_f32_e32 v2, v58, v2
	s_waitcnt lgkmcnt(0)
	v_mul_f32_e32 v57, v11, v7
	v_mul_f32_e32 v7, v10, v7
	v_fma_f32 v57, v10, v6, -v57
	v_fmac_f32_e32 v7, v11, v6
	v_mul_f32_e32 v6, v11, v9
	v_add_f32_e32 v55, v55, v57
	v_add_f32_e32 v56, v56, v7
	v_mul_f32_e32 v7, v10, v9
	v_fma_f32 v6, v10, v8, -v6
	v_fmac_f32_e32 v7, v11, v8
	v_add_f32_e32 v10, v59, v6
	v_add_f32_e32 v11, v60, v7
	ds_read2_b64 v[6:9], v50 offset0:96 offset1:112
	s_waitcnt lgkmcnt(0)
	v_mul_f32_e32 v57, v5, v7
	v_mul_f32_e32 v58, v4, v7
	v_fma_f32 v57, v4, v6, -v57
	v_fmac_f32_e32 v58, v5, v6
	v_add_f32_e32 v35, v35, v57
	v_mul_f32_e32 v57, v5, v9
	v_add_f32_e32 v54, v54, v58
	v_fma_f32 v57, v4, v8, -v57
	v_mul_f32_e32 v4, v4, v9
	v_add_f32_e32 v57, v3, v57
	v_fmac_f32_e32 v4, v5, v8
	v_mul_f32_e32 v3, v12, v7
	v_add_f32_e32 v58, v2, v4
	v_mul_f32_e32 v2, v13, v7
	v_fmac_f32_e32 v3, v13, v6
	v_fma_f32 v2, v12, v6, -v2
	v_add_f32_e32 v56, v56, v3
	v_mul_f32_e32 v3, v12, v9
	v_add_f32_e32 v55, v55, v2
	v_mul_f32_e32 v2, v13, v9
	v_fmac_f32_e32 v3, v13, v8
	v_fma_f32 v2, v12, v8, -v2
	v_add_f32_e32 v60, v11, v3
	v_add_f32_e32 v59, v10, v2
	ds_read_b128 v[2:5], v43 offset:160
	ds_read2_b64 v[6:9], v50 offset0:128 offset1:144
	;; [unrolled: 55-line block ×3, first 2 shown]
	s_waitcnt lgkmcnt(0)
	v_mul_f32_e32 v10, v3, v7
	v_mul_f32_e32 v11, v2, v7
	v_fma_f32 v10, v2, v6, -v10
	v_fmac_f32_e32 v11, v3, v6
	v_add_f32_e32 v35, v35, v10
	v_mul_f32_e32 v10, v3, v9
	v_add_f32_e32 v54, v54, v11
	v_fma_f32 v10, v2, v8, -v10
	v_mul_f32_e32 v2, v2, v9
	v_fmac_f32_e32 v2, v3, v8
	v_add_f32_e32 v3, v57, v10
	ds_read_b128 v[10:13], v43 offset:4272
	v_add_f32_e32 v2, v58, v2
	s_waitcnt lgkmcnt(0)
	v_mul_f32_e32 v57, v11, v7
	v_mul_f32_e32 v7, v10, v7
	v_fma_f32 v57, v10, v6, -v57
	v_fmac_f32_e32 v7, v11, v6
	v_mul_f32_e32 v6, v11, v9
	v_add_f32_e32 v55, v55, v57
	v_add_f32_e32 v56, v56, v7
	v_mul_f32_e32 v7, v10, v9
	v_fma_f32 v6, v10, v8, -v6
	v_fmac_f32_e32 v7, v11, v8
	v_add_f32_e32 v10, v59, v6
	v_add_f32_e32 v11, v60, v7
	ds_read2_b64 v[6:9], v50 offset0:224 offset1:240
	s_waitcnt lgkmcnt(0)
	v_mul_f32_e32 v57, v5, v7
	v_mul_f32_e32 v58, v4, v7
	v_fma_f32 v57, v4, v6, -v57
	v_fmac_f32_e32 v58, v5, v6
	v_add_f32_e32 v35, v35, v57
	v_mul_f32_e32 v57, v5, v9
	v_add_f32_e32 v54, v54, v58
	v_fma_f32 v57, v4, v8, -v57
	v_mul_f32_e32 v4, v4, v9
	v_add_f32_e32 v57, v3, v57
	v_fmac_f32_e32 v4, v5, v8
	v_mul_f32_e32 v3, v12, v7
	v_add_f32_e32 v58, v2, v4
	v_mul_f32_e32 v2, v13, v7
	v_fmac_f32_e32 v3, v13, v6
	v_fma_f32 v2, v12, v6, -v2
	v_add_f32_e32 v56, v56, v3
	v_mul_f32_e32 v3, v12, v9
	v_add_f32_e32 v55, v55, v2
	v_mul_f32_e32 v2, v13, v9
	v_fmac_f32_e32 v3, v13, v8
	v_fma_f32 v2, v12, v8, -v2
	v_add_f32_e32 v60, v11, v3
	v_add_f32_e32 v59, v10, v2
	ds_read_b128 v[2:5], v43 offset:192
	ds_read2_b64 v[6:9], v51 offset1:16
	s_waitcnt lgkmcnt(0)
	v_mul_f32_e32 v10, v3, v7
	v_mul_f32_e32 v11, v2, v7
	v_fma_f32 v10, v2, v6, -v10
	v_fmac_f32_e32 v11, v3, v6
	v_add_f32_e32 v35, v35, v10
	v_mul_f32_e32 v10, v3, v9
	v_add_f32_e32 v54, v54, v11
	v_fma_f32 v10, v2, v8, -v10
	v_mul_f32_e32 v2, v2, v9
	v_fmac_f32_e32 v2, v3, v8
	v_add_f32_e32 v3, v57, v10
	ds_read_b128 v[10:13], v43 offset:4288
	v_add_f32_e32 v2, v58, v2
	s_waitcnt lgkmcnt(0)
	v_mul_f32_e32 v57, v11, v7
	v_mul_f32_e32 v7, v10, v7
	v_fma_f32 v57, v10, v6, -v57
	v_fmac_f32_e32 v7, v11, v6
	v_mul_f32_e32 v6, v11, v9
	v_add_f32_e32 v55, v55, v57
	v_add_f32_e32 v56, v56, v7
	v_mul_f32_e32 v7, v10, v9
	v_fma_f32 v6, v10, v8, -v6
	v_fmac_f32_e32 v7, v11, v8
	v_add_f32_e32 v10, v59, v6
	v_add_f32_e32 v11, v60, v7
	ds_read2_b64 v[6:9], v51 offset0:32 offset1:48
	s_waitcnt lgkmcnt(0)
	v_mul_f32_e32 v57, v5, v7
	v_mul_f32_e32 v58, v4, v7
	v_fma_f32 v57, v4, v6, -v57
	v_fmac_f32_e32 v58, v5, v6
	v_add_f32_e32 v35, v35, v57
	v_mul_f32_e32 v57, v5, v9
	v_add_f32_e32 v54, v54, v58
	v_fma_f32 v57, v4, v8, -v57
	v_mul_f32_e32 v4, v4, v9
	v_add_f32_e32 v57, v3, v57
	v_fmac_f32_e32 v4, v5, v8
	v_mul_f32_e32 v3, v12, v7
	v_add_f32_e32 v58, v2, v4
	v_mul_f32_e32 v2, v13, v7
	v_fmac_f32_e32 v3, v13, v6
	v_fma_f32 v2, v12, v6, -v2
	v_add_f32_e32 v56, v56, v3
	v_mul_f32_e32 v3, v12, v9
	v_add_f32_e32 v55, v55, v2
	v_mul_f32_e32 v2, v13, v9
	v_fmac_f32_e32 v3, v13, v8
	v_fma_f32 v2, v12, v8, -v2
	v_add_f32_e32 v60, v11, v3
	v_add_f32_e32 v59, v10, v2
	ds_read_b128 v[2:5], v43 offset:208
	ds_read2_b64 v[6:9], v51 offset0:64 offset1:80
	s_waitcnt lgkmcnt(0)
	v_mul_f32_e32 v10, v3, v7
	v_mul_f32_e32 v11, v2, v7
	v_fma_f32 v10, v2, v6, -v10
	v_fmac_f32_e32 v11, v3, v6
	v_add_f32_e32 v35, v35, v10
	v_mul_f32_e32 v10, v3, v9
	v_add_f32_e32 v54, v54, v11
	v_fma_f32 v10, v2, v8, -v10
	v_mul_f32_e32 v2, v2, v9
	v_fmac_f32_e32 v2, v3, v8
	v_add_f32_e32 v3, v57, v10
	ds_read_b128 v[10:13], v43 offset:4304
	v_add_f32_e32 v2, v58, v2
	s_waitcnt lgkmcnt(0)
	v_mul_f32_e32 v57, v11, v7
	v_mul_f32_e32 v7, v10, v7
	v_fma_f32 v57, v10, v6, -v57
	v_fmac_f32_e32 v7, v11, v6
	v_mul_f32_e32 v6, v11, v9
	v_add_f32_e32 v55, v55, v57
	v_add_f32_e32 v56, v56, v7
	v_mul_f32_e32 v7, v10, v9
	v_fma_f32 v6, v10, v8, -v6
	v_fmac_f32_e32 v7, v11, v8
	v_add_f32_e32 v10, v59, v6
	v_add_f32_e32 v11, v60, v7
	ds_read2_b64 v[6:9], v51 offset0:96 offset1:112
	s_waitcnt lgkmcnt(0)
	v_mul_f32_e32 v57, v5, v7
	v_mul_f32_e32 v58, v4, v7
	v_fma_f32 v57, v4, v6, -v57
	v_fmac_f32_e32 v58, v5, v6
	v_add_f32_e32 v35, v35, v57
	v_mul_f32_e32 v57, v5, v9
	v_add_f32_e32 v54, v54, v58
	v_fma_f32 v57, v4, v8, -v57
	v_mul_f32_e32 v4, v4, v9
	v_add_f32_e32 v57, v3, v57
	v_fmac_f32_e32 v4, v5, v8
	v_mul_f32_e32 v3, v12, v7
	v_add_f32_e32 v58, v2, v4
	v_mul_f32_e32 v2, v13, v7
	v_fmac_f32_e32 v3, v13, v6
	v_fma_f32 v2, v12, v6, -v2
	v_add_f32_e32 v56, v56, v3
	v_mul_f32_e32 v3, v12, v9
	v_add_f32_e32 v55, v55, v2
	v_mul_f32_e32 v2, v13, v9
	v_fmac_f32_e32 v3, v13, v8
	v_fma_f32 v2, v12, v8, -v2
	v_add_f32_e32 v60, v11, v3
	v_add_f32_e32 v59, v10, v2
	ds_read_b128 v[2:5], v43 offset:224
	ds_read2_b64 v[6:9], v51 offset0:128 offset1:144
	;; [unrolled: 55-line block ×3, first 2 shown]
	s_waitcnt lgkmcnt(0)
	v_mul_f32_e32 v10, v3, v7
	v_mul_f32_e32 v11, v2, v7
	v_fma_f32 v10, v2, v6, -v10
	v_fmac_f32_e32 v11, v3, v6
	v_add_f32_e32 v35, v35, v10
	v_mul_f32_e32 v10, v3, v9
	v_add_f32_e32 v54, v54, v11
	v_fma_f32 v10, v2, v8, -v10
	v_mul_f32_e32 v2, v2, v9
	v_fmac_f32_e32 v2, v3, v8
	v_add_f32_e32 v3, v57, v10
	ds_read_b128 v[10:13], v43 offset:4336
	v_add_f32_e32 v2, v58, v2
	s_waitcnt lgkmcnt(0)
	v_mul_f32_e32 v57, v11, v7
	v_mul_f32_e32 v7, v10, v7
	v_fma_f32 v57, v10, v6, -v57
	v_fmac_f32_e32 v7, v11, v6
	v_mul_f32_e32 v6, v11, v9
	v_add_f32_e32 v55, v55, v57
	v_add_f32_e32 v61, v56, v7
	v_mul_f32_e32 v7, v10, v9
	v_fma_f32 v6, v10, v8, -v6
	v_fmac_f32_e32 v7, v11, v8
	v_add_f32_e32 v10, v59, v6
	v_add_f32_e32 v11, v60, v7
	ds_read2_b64 v[6:9], v51 offset0:224 offset1:240
	s_waitcnt lgkmcnt(0)
	s_barrier
	buffer_gl0_inv
	v_mul_f32_e32 v56, v5, v7
	v_mul_f32_e32 v57, v4, v7
	v_fma_f32 v56, v4, v6, -v56
	v_fmac_f32_e32 v57, v5, v6
	v_add_f32_e32 v59, v35, v56
	v_mul_f32_e32 v35, v5, v9
	v_add_f32_e32 v60, v54, v57
	v_fma_f32 v35, v4, v8, -v35
	v_mul_f32_e32 v4, v4, v9
	v_add_f32_e32 v57, v3, v35
	v_fmac_f32_e32 v4, v5, v8
	v_mul_f32_e32 v3, v12, v7
	v_add_f32_e32 v58, v2, v4
	v_mul_f32_e32 v2, v13, v7
	v_fmac_f32_e32 v3, v13, v6
	v_fma_f32 v2, v12, v6, -v2
	v_add_f32_e32 v56, v55, v2
	v_add_f32_e32 v55, v61, v3
	v_mul_f32_e32 v2, v13, v9
	v_mul_f32_e32 v3, v12, v9
	v_fma_f32 v2, v12, v8, -v2
	v_fmac_f32_e32 v3, v13, v8
	v_add_f32_e32 v54, v10, v2
	v_add_f32_e32 v35, v11, v3
	s_cbranch_scc1 .LBB80_56
.LBB80_7:                               ;   Parent Loop BB80_4 Depth=1
                                        ; =>  This Inner Loop Header: Depth=2
	v_add_co_u32 v4, s5, v16, s20
	v_add_co_ci_u32_e64 v5, null, s21, v17, s5
	v_cmp_eq_u64_e64 s8, s[20:21], v[22:23]
	v_cmp_le_i64_e64 s6, s[22:23], v[4:5]
	v_cmp_lt_i64_e64 s5, v[4:5], v[14:15]
	s_and_b32 s26, s42, s8
	v_add_co_u32 v2, s8, v45, s16
	v_add_co_ci_u32_e64 v3, null, s17, v46, s8
	s_or_b32 s9, s6, s5
	s_or_b32 s8, s9, s26
	s_nor_b32 s8, s0, s8
	s_and_saveexec_b32 s9, s8
	s_xor_b32 s8, exec_lo, s9
	s_cbranch_execz .LBB80_9
; %bb.8:                                ;   in Loop: Header=BB80_7 Depth=2
	global_load_dwordx2 v[6:7], v[2:3], off
	s_waitcnt vmcnt(0)
	v_xor_b32_e32 v7, 0x80000000, v7
	ds_write_b64 v44, v[6:7]
.LBB80_9:                               ;   in Loop: Header=BB80_7 Depth=2
	s_or_saveexec_b32 s8, s8
	s_xor_b32 s25, s26, -1
	s_xor_b32 exec_lo, exec_lo, s8
	s_cbranch_execz .LBB80_15
; %bb.10:                               ;   in Loop: Header=BB80_7 Depth=2
	s_and_saveexec_b32 s9, s25
	s_xor_b32 s9, exec_lo, s9
; %bb.11:                               ;   in Loop: Header=BB80_7 Depth=2
	v_mov_b32_e32 v6, v37
	v_mov_b32_e32 v7, v37
	ds_write_b64 v44, v[6:7]
; %bb.12:                               ;   in Loop: Header=BB80_7 Depth=2
	s_andn2_saveexec_b32 s9, s9
; %bb.13:                               ;   in Loop: Header=BB80_7 Depth=2
	ds_write_b64 v44, v[36:37]
; %bb.14:                               ;   in Loop: Header=BB80_7 Depth=2
	s_or_b32 exec_lo, exec_lo, s9
.LBB80_15:                              ;   in Loop: Header=BB80_7 Depth=2
	s_or_b32 exec_lo, exec_lo, s8
	v_cmp_eq_u64_e64 s8, s[20:21], v[26:27]
	v_cmp_gt_i64_e64 s9, v[20:21], v[4:5]
	s_and_b32 s8, s42, s8
	s_or_b32 s6, s6, s9
	s_or_b32 s6, s6, s8
	s_nor_b32 s6, s3, s6
	s_and_saveexec_b32 s9, s6
	s_xor_b32 s9, exec_lo, s9
	s_cbranch_execz .LBB80_17
; %bb.16:                               ;   in Loop: Header=BB80_7 Depth=2
	v_add_co_u32 v6, s6, v47, s16
	v_add_co_ci_u32_e64 v7, null, s17, v48, s6
	global_load_dwordx2 v[6:7], v[6:7], off
	s_waitcnt vmcnt(0)
	v_xor_b32_e32 v7, 0x80000000, v7
	ds_write_b64 v44, v[6:7] offset:128
.LBB80_17:                              ;   in Loop: Header=BB80_7 Depth=2
	s_andn2_saveexec_b32 s6, s9
	s_cbranch_execz .LBB80_23
; %bb.18:                               ;   in Loop: Header=BB80_7 Depth=2
	s_xor_b32 s8, s8, -1
	s_and_saveexec_b32 s9, s8
	s_xor_b32 s8, exec_lo, s9
; %bb.19:                               ;   in Loop: Header=BB80_7 Depth=2
	v_mov_b32_e32 v6, v37
	v_mov_b32_e32 v7, v37
	ds_write_b64 v44, v[6:7] offset:128
; %bb.20:                               ;   in Loop: Header=BB80_7 Depth=2
	s_andn2_saveexec_b32 s8, s8
; %bb.21:                               ;   in Loop: Header=BB80_7 Depth=2
	ds_write_b64 v44, v[36:37] offset:128
; %bb.22:                               ;   in Loop: Header=BB80_7 Depth=2
	s_or_b32 exec_lo, exec_lo, s8
.LBB80_23:                              ;   in Loop: Header=BB80_7 Depth=2
	s_or_b32 exec_lo, exec_lo, s6
	v_add_co_u32 v4, s6, v4, 16
	v_add_co_ci_u32_e64 v5, null, 0, v5, s6
	v_cmp_eq_u64_e64 s8, s[20:21], v[28:29]
	v_cmp_le_i64_e64 s6, s[22:23], v[4:5]
	v_cmp_lt_i64_e64 s9, v[4:5], v[14:15]
	s_and_b32 s27, s42, s8
	s_or_b32 s8, s6, s9
	s_or_b32 s8, s8, s27
	s_nor_b32 s8, s0, s8
	s_and_saveexec_b32 s9, s8
	s_xor_b32 s8, exec_lo, s9
	s_cbranch_execz .LBB80_25
; %bb.24:                               ;   in Loop: Header=BB80_7 Depth=2
	global_load_dwordx2 v[2:3], v[2:3], off offset:128
	s_waitcnt vmcnt(0)
	v_xor_b32_e32 v3, 0x80000000, v3
	ds_write_b64 v44, v[2:3] offset:4096
.LBB80_25:                              ;   in Loop: Header=BB80_7 Depth=2
	s_andn2_saveexec_b32 s8, s8
	s_cbranch_execz .LBB80_31
; %bb.26:                               ;   in Loop: Header=BB80_7 Depth=2
	s_xor_b32 s9, s27, -1
	s_and_saveexec_b32 s27, s9
	s_xor_b32 s9, exec_lo, s27
; %bb.27:                               ;   in Loop: Header=BB80_7 Depth=2
	v_mov_b32_e32 v2, v37
	v_mov_b32_e32 v3, v37
	ds_write_b64 v44, v[2:3] offset:4096
; %bb.28:                               ;   in Loop: Header=BB80_7 Depth=2
	s_andn2_saveexec_b32 s9, s9
; %bb.29:                               ;   in Loop: Header=BB80_7 Depth=2
	ds_write_b64 v44, v[36:37] offset:4096
; %bb.30:                               ;   in Loop: Header=BB80_7 Depth=2
	s_or_b32 exec_lo, exec_lo, s9
.LBB80_31:                              ;   in Loop: Header=BB80_7 Depth=2
	s_or_b32 exec_lo, exec_lo, s8
	s_or_b32 s5, s6, s5
	s_or_b32 s5, s5, s26
	s_nor_b32 s5, s3, s5
	s_and_saveexec_b32 s6, s5
	s_xor_b32 s6, exec_lo, s6
	s_cbranch_execz .LBB80_33
; %bb.32:                               ;   in Loop: Header=BB80_7 Depth=2
	v_add_co_u32 v2, s5, v47, s16
	v_add_co_ci_u32_e64 v3, null, s17, v48, s5
	global_load_dwordx2 v[2:3], v[2:3], off offset:128
	s_waitcnt vmcnt(0)
	v_xor_b32_e32 v3, 0x80000000, v3
	ds_write_b64 v44, v[2:3] offset:4224
.LBB80_33:                              ;   in Loop: Header=BB80_7 Depth=2
	s_andn2_saveexec_b32 s5, s6
	s_cbranch_execz .LBB80_39
; %bb.34:                               ;   in Loop: Header=BB80_7 Depth=2
	s_and_saveexec_b32 s6, s25
	s_xor_b32 s6, exec_lo, s6
; %bb.35:                               ;   in Loop: Header=BB80_7 Depth=2
	v_mov_b32_e32 v2, v37
	v_mov_b32_e32 v3, v37
	ds_write_b64 v44, v[2:3] offset:4224
; %bb.36:                               ;   in Loop: Header=BB80_7 Depth=2
	s_andn2_saveexec_b32 s6, s6
; %bb.37:                               ;   in Loop: Header=BB80_7 Depth=2
	ds_write_b64 v44, v[36:37] offset:4224
; %bb.38:                               ;   in Loop: Header=BB80_7 Depth=2
	s_or_b32 exec_lo, exec_lo, s6
.LBB80_39:                              ;   in Loop: Header=BB80_7 Depth=2
	s_or_b32 exec_lo, exec_lo, s5
	v_add_co_u32 v2, s5, v14, s20
	v_add_co_ci_u32_e64 v3, null, s21, v15, s5
	v_cmp_gt_i64_e64 s5, s[22:23], v[2:3]
	s_and_b32 s6, vcc_lo, s5
	s_xor_b32 s6, s6, -1
	s_and_saveexec_b32 s8, s6
	s_xor_b32 s6, exec_lo, s8
; %bb.40:                               ;   in Loop: Header=BB80_7 Depth=2
	v_mov_b32_e32 v4, v37
	v_mov_b32_e32 v5, v37
	ds_write_b64 v0, v[4:5]
; %bb.41:                               ;   in Loop: Header=BB80_7 Depth=2
	s_or_saveexec_b32 s8, s6
	v_add_co_u32 v4, s6, v38, s16
	v_add_co_ci_u32_e64 v5, null, s17, v39, s6
	s_xor_b32 exec_lo, exec_lo, s8
	s_cbranch_execz .LBB80_43
; %bb.42:                               ;   in Loop: Header=BB80_7 Depth=2
	global_load_dwordx2 v[6:7], v[4:5], off offset:-128
	s_waitcnt vmcnt(0)
	ds_write_b64 v0, v[6:7]
.LBB80_43:                              ;   in Loop: Header=BB80_7 Depth=2
	s_or_b32 exec_lo, exec_lo, s8
	v_cmp_gt_i64_e64 s6, s[18:19], v[2:3]
	s_and_b32 s8, vcc_lo, s6
	s_xor_b32 s8, s8, -1
	s_and_saveexec_b32 s9, s8
	s_xor_b32 s8, exec_lo, s9
; %bb.44:                               ;   in Loop: Header=BB80_7 Depth=2
	v_mov_b32_e32 v2, v37
	v_mov_b32_e32 v3, v37
                                        ; implicit-def: $vgpr4_vgpr5
	ds_write_b64 v0, v[2:3] offset:128
; %bb.45:                               ;   in Loop: Header=BB80_7 Depth=2
	s_andn2_saveexec_b32 s8, s8
	s_cbranch_execz .LBB80_47
; %bb.46:                               ;   in Loop: Header=BB80_7 Depth=2
	global_load_dwordx2 v[2:3], v[4:5], off
	s_waitcnt vmcnt(0)
	ds_write_b64 v0, v[2:3] offset:128
.LBB80_47:                              ;   in Loop: Header=BB80_7 Depth=2
	s_or_b32 exec_lo, exec_lo, s8
	s_and_b32 s5, s4, s5
	s_xor_b32 s5, s5, -1
	s_and_saveexec_b32 s8, s5
	s_xor_b32 s5, exec_lo, s8
; %bb.48:                               ;   in Loop: Header=BB80_7 Depth=2
	v_mov_b32_e32 v2, v37
	v_mov_b32_e32 v3, v37
	ds_write_b64 v0, v[2:3] offset:4096
; %bb.49:                               ;   in Loop: Header=BB80_7 Depth=2
	s_or_saveexec_b32 s8, s5
	v_add_co_u32 v2, s5, v40, s16
	v_add_co_ci_u32_e64 v3, null, s17, v41, s5
	s_xor_b32 exec_lo, exec_lo, s8
	s_cbranch_execz .LBB80_51
; %bb.50:                               ;   in Loop: Header=BB80_7 Depth=2
	global_load_dwordx2 v[4:5], v[2:3], off
	s_waitcnt vmcnt(0)
	ds_write_b64 v0, v[4:5] offset:4096
.LBB80_51:                              ;   in Loop: Header=BB80_7 Depth=2
	s_or_b32 exec_lo, exec_lo, s8
	s_and_b32 s5, s4, s6
	s_xor_b32 s5, s5, -1
	s_and_saveexec_b32 s6, s5
	s_xor_b32 s5, exec_lo, s6
; %bb.52:                               ;   in Loop: Header=BB80_7 Depth=2
	v_mov_b32_e32 v2, v37
	v_mov_b32_e32 v3, v37
	ds_write_b64 v0, v[2:3] offset:4224
                                        ; implicit-def: $vgpr2_vgpr3
; %bb.53:                               ;   in Loop: Header=BB80_7 Depth=2
	s_andn2_saveexec_b32 s5, s5
	s_cbranch_execz .LBB80_6
; %bb.54:                               ;   in Loop: Header=BB80_7 Depth=2
	global_load_dwordx2 v[2:3], v[2:3], off offset:128
	s_waitcnt vmcnt(0)
	ds_write_b64 v0, v[2:3] offset:4224
	s_branch .LBB80_6
.LBB80_55:                              ;   in Loop: Header=BB80_4 Depth=1
	v_mov_b32_e32 v59, 0
	v_mov_b32_e32 v60, 0
	;; [unrolled: 1-line block ×8, first 2 shown]
.LBB80_56:                              ;   in Loop: Header=BB80_4 Depth=1
	v_mul_lo_u32 v4, s29, v52
	v_mul_lo_u32 v5, s28, v53
	v_mad_u64_u32 v[2:3], null, s28, v52, 0
	v_cmp_gt_i32_e32 vcc_lo, s14, v52
	v_add3_u32 v3, v3, v5, v4
	v_lshlrev_b64 v[2:3], 3, v[2:3]
	v_add_co_u32 v2, s4, s30, v2
	v_add_co_ci_u32_e64 v3, null, s31, v3, s4
	s_and_b32 s4, s1, vcc_lo
	s_and_saveexec_b32 s5, s4
	s_cbranch_execz .LBB80_58
; %bb.57:                               ;   in Loop: Header=BB80_4 Depth=1
	v_add_co_u32 v4, s4, v2, v24
	v_add_co_ci_u32_e64 v5, null, v3, v25, s4
	v_mul_f32_e32 v8, s11, v60
	v_mul_f32_e32 v9, s10, v60
	global_load_dwordx2 v[6:7], v[4:5], off
	v_fma_f32 v8, v59, s10, -v8
	v_fmac_f32_e32 v9, s11, v59
	s_waitcnt vmcnt(0)
	v_add_f32_e32 v6, v6, v8
	v_add_f32_e32 v7, v9, v7
	global_store_dwordx2 v[4:5], v[6:7], off
.LBB80_58:                              ;   in Loop: Header=BB80_4 Depth=1
	s_or_b32 exec_lo, exec_lo, s5
	s_and_b32 s5, s2, vcc_lo
	s_and_saveexec_b32 s4, s5
	s_cbranch_execz .LBB80_60
; %bb.59:                               ;   in Loop: Header=BB80_4 Depth=1
	v_lshlrev_b64 v[4:5], 3, v[18:19]
	v_mul_f32_e32 v6, s11, v58
	v_mul_f32_e32 v7, s10, v58
	v_fma_f32 v6, v57, s10, -v6
	v_add_co_u32 v2, vcc_lo, v2, v4
	v_add_co_ci_u32_e64 v3, null, v3, v5, vcc_lo
	v_fmac_f32_e32 v7, s11, v57
	global_load_dwordx2 v[4:5], v[2:3], off
	s_waitcnt vmcnt(0)
	v_add_f32_e32 v4, v4, v6
	v_add_f32_e32 v5, v7, v5
	global_store_dwordx2 v[2:3], v[4:5], off
.LBB80_60:                              ;   in Loop: Header=BB80_4 Depth=1
	s_or_b32 exec_lo, exec_lo, s4
	v_add_nc_u32_e32 v4, 16, v52
	v_ashrrev_i32_e32 v5, 31, v4
	v_mul_lo_u32 v6, s29, v4
	v_mad_u64_u32 v[2:3], null, s28, v4, 0
	v_cmp_gt_i32_e32 vcc_lo, s14, v4
	v_mul_lo_u32 v5, s28, v5
	v_add3_u32 v3, v3, v5, v6
	v_lshlrev_b64 v[2:3], 3, v[2:3]
	v_add_co_u32 v2, s4, s30, v2
	v_add_co_ci_u32_e64 v3, null, s31, v3, s4
	s_and_b32 s4, s1, vcc_lo
	s_and_saveexec_b32 s5, s4
	s_cbranch_execz .LBB80_62
; %bb.61:                               ;   in Loop: Header=BB80_4 Depth=1
	v_add_co_u32 v4, s4, v2, v24
	v_add_co_ci_u32_e64 v5, null, v3, v25, s4
	v_mul_f32_e32 v8, s11, v55
	v_mul_f32_e32 v9, s10, v55
	global_load_dwordx2 v[6:7], v[4:5], off
	v_fma_f32 v8, v56, s10, -v8
	v_fmac_f32_e32 v9, s11, v56
	s_waitcnt vmcnt(0)
	v_add_f32_e32 v6, v6, v8
	v_add_f32_e32 v7, v9, v7
	global_store_dwordx2 v[4:5], v[6:7], off
.LBB80_62:                              ;   in Loop: Header=BB80_4 Depth=1
	s_or_b32 exec_lo, exec_lo, s5
	s_and_b32 s5, s2, vcc_lo
	s_and_saveexec_b32 s4, s5
	s_cbranch_execz .LBB80_3
; %bb.63:                               ;   in Loop: Header=BB80_4 Depth=1
	v_lshlrev_b64 v[4:5], 3, v[18:19]
	v_mul_f32_e32 v6, s11, v35
	v_mul_f32_e32 v7, s10, v35
	v_fma_f32 v6, v54, s10, -v6
	v_add_co_u32 v2, vcc_lo, v2, v4
	v_add_co_ci_u32_e64 v3, null, v3, v5, vcc_lo
	v_fmac_f32_e32 v7, s11, v54
	global_load_dwordx2 v[4:5], v[2:3], off
	s_waitcnt vmcnt(0)
	v_add_f32_e32 v4, v4, v6
	v_add_f32_e32 v5, v7, v5
	global_store_dwordx2 v[2:3], v[4:5], off
	s_branch .LBB80_3
.LBB80_64:
	s_endpgm
	.section	.rodata,"a",@progbits
	.p2align	6, 0x0
	.amdhsa_kernel _ZL30rocblas_trmm_outofplace_kernelI19rocblas_complex_numIfELi32ELi2ELb1ELb0ELb1ELb1EPKS1_S2_S1_Ev17rocblas_diagonal_iiT6_lPT7_lllS7_lllPT8_llli
		.amdhsa_group_segment_fixed_size 16384
		.amdhsa_private_segment_fixed_size 0
		.amdhsa_kernarg_size 392
		.amdhsa_user_sgpr_count 6
		.amdhsa_user_sgpr_private_segment_buffer 1
		.amdhsa_user_sgpr_dispatch_ptr 0
		.amdhsa_user_sgpr_queue_ptr 0
		.amdhsa_user_sgpr_kernarg_segment_ptr 1
		.amdhsa_user_sgpr_dispatch_id 0
		.amdhsa_user_sgpr_flat_scratch_init 0
		.amdhsa_user_sgpr_private_segment_size 0
		.amdhsa_wavefront_size32 1
		.amdhsa_uses_dynamic_stack 0
		.amdhsa_system_sgpr_private_segment_wavefront_offset 0
		.amdhsa_system_sgpr_workgroup_id_x 1
		.amdhsa_system_sgpr_workgroup_id_y 1
		.amdhsa_system_sgpr_workgroup_id_z 1
		.amdhsa_system_sgpr_workgroup_info 0
		.amdhsa_system_vgpr_workitem_id 1
		.amdhsa_next_free_vgpr 72
		.amdhsa_next_free_sgpr 46
		.amdhsa_reserve_vcc 1
		.amdhsa_reserve_flat_scratch 0
		.amdhsa_float_round_mode_32 0
		.amdhsa_float_round_mode_16_64 0
		.amdhsa_float_denorm_mode_32 3
		.amdhsa_float_denorm_mode_16_64 3
		.amdhsa_dx10_clamp 1
		.amdhsa_ieee_mode 1
		.amdhsa_fp16_overflow 0
		.amdhsa_workgroup_processor_mode 1
		.amdhsa_memory_ordered 1
		.amdhsa_forward_progress 1
		.amdhsa_shared_vgpr_count 0
		.amdhsa_exception_fp_ieee_invalid_op 0
		.amdhsa_exception_fp_denorm_src 0
		.amdhsa_exception_fp_ieee_div_zero 0
		.amdhsa_exception_fp_ieee_overflow 0
		.amdhsa_exception_fp_ieee_underflow 0
		.amdhsa_exception_fp_ieee_inexact 0
		.amdhsa_exception_int_div_zero 0
	.end_amdhsa_kernel
	.section	.text._ZL30rocblas_trmm_outofplace_kernelI19rocblas_complex_numIfELi32ELi2ELb1ELb0ELb1ELb1EPKS1_S2_S1_Ev17rocblas_diagonal_iiT6_lPT7_lllS7_lllPT8_llli,"axG",@progbits,_ZL30rocblas_trmm_outofplace_kernelI19rocblas_complex_numIfELi32ELi2ELb1ELb0ELb1ELb1EPKS1_S2_S1_Ev17rocblas_diagonal_iiT6_lPT7_lllS7_lllPT8_llli,comdat
.Lfunc_end80:
	.size	_ZL30rocblas_trmm_outofplace_kernelI19rocblas_complex_numIfELi32ELi2ELb1ELb0ELb1ELb1EPKS1_S2_S1_Ev17rocblas_diagonal_iiT6_lPT7_lllS7_lllPT8_llli, .Lfunc_end80-_ZL30rocblas_trmm_outofplace_kernelI19rocblas_complex_numIfELi32ELi2ELb1ELb0ELb1ELb1EPKS1_S2_S1_Ev17rocblas_diagonal_iiT6_lPT7_lllS7_lllPT8_llli
                                        ; -- End function
	.set _ZL30rocblas_trmm_outofplace_kernelI19rocblas_complex_numIfELi32ELi2ELb1ELb0ELb1ELb1EPKS1_S2_S1_Ev17rocblas_diagonal_iiT6_lPT7_lllS7_lllPT8_llli.num_vgpr, 72
	.set _ZL30rocblas_trmm_outofplace_kernelI19rocblas_complex_numIfELi32ELi2ELb1ELb0ELb1ELb1EPKS1_S2_S1_Ev17rocblas_diagonal_iiT6_lPT7_lllS7_lllPT8_llli.num_agpr, 0
	.set _ZL30rocblas_trmm_outofplace_kernelI19rocblas_complex_numIfELi32ELi2ELb1ELb0ELb1ELb1EPKS1_S2_S1_Ev17rocblas_diagonal_iiT6_lPT7_lllS7_lllPT8_llli.numbered_sgpr, 46
	.set _ZL30rocblas_trmm_outofplace_kernelI19rocblas_complex_numIfELi32ELi2ELb1ELb0ELb1ELb1EPKS1_S2_S1_Ev17rocblas_diagonal_iiT6_lPT7_lllS7_lllPT8_llli.num_named_barrier, 0
	.set _ZL30rocblas_trmm_outofplace_kernelI19rocblas_complex_numIfELi32ELi2ELb1ELb0ELb1ELb1EPKS1_S2_S1_Ev17rocblas_diagonal_iiT6_lPT7_lllS7_lllPT8_llli.private_seg_size, 0
	.set _ZL30rocblas_trmm_outofplace_kernelI19rocblas_complex_numIfELi32ELi2ELb1ELb0ELb1ELb1EPKS1_S2_S1_Ev17rocblas_diagonal_iiT6_lPT7_lllS7_lllPT8_llli.uses_vcc, 1
	.set _ZL30rocblas_trmm_outofplace_kernelI19rocblas_complex_numIfELi32ELi2ELb1ELb0ELb1ELb1EPKS1_S2_S1_Ev17rocblas_diagonal_iiT6_lPT7_lllS7_lllPT8_llli.uses_flat_scratch, 0
	.set _ZL30rocblas_trmm_outofplace_kernelI19rocblas_complex_numIfELi32ELi2ELb1ELb0ELb1ELb1EPKS1_S2_S1_Ev17rocblas_diagonal_iiT6_lPT7_lllS7_lllPT8_llli.has_dyn_sized_stack, 0
	.set _ZL30rocblas_trmm_outofplace_kernelI19rocblas_complex_numIfELi32ELi2ELb1ELb0ELb1ELb1EPKS1_S2_S1_Ev17rocblas_diagonal_iiT6_lPT7_lllS7_lllPT8_llli.has_recursion, 0
	.set _ZL30rocblas_trmm_outofplace_kernelI19rocblas_complex_numIfELi32ELi2ELb1ELb0ELb1ELb1EPKS1_S2_S1_Ev17rocblas_diagonal_iiT6_lPT7_lllS7_lllPT8_llli.has_indirect_call, 0
	.section	.AMDGPU.csdata,"",@progbits
; Kernel info:
; codeLenInByte = 6688
; TotalNumSgprs: 48
; NumVgprs: 72
; ScratchSize: 0
; MemoryBound: 0
; FloatMode: 240
; IeeeMode: 1
; LDSByteSize: 16384 bytes/workgroup (compile time only)
; SGPRBlocks: 0
; VGPRBlocks: 8
; NumSGPRsForWavesPerEU: 48
; NumVGPRsForWavesPerEU: 72
; Occupancy: 12
; WaveLimiterHint : 0
; COMPUTE_PGM_RSRC2:SCRATCH_EN: 0
; COMPUTE_PGM_RSRC2:USER_SGPR: 6
; COMPUTE_PGM_RSRC2:TRAP_HANDLER: 0
; COMPUTE_PGM_RSRC2:TGID_X_EN: 1
; COMPUTE_PGM_RSRC2:TGID_Y_EN: 1
; COMPUTE_PGM_RSRC2:TGID_Z_EN: 1
; COMPUTE_PGM_RSRC2:TIDIG_COMP_CNT: 1
	.section	.text._ZL30rocblas_trmm_outofplace_kernelI19rocblas_complex_numIfELi32ELi2ELb1ELb0ELb1ELb1ES1_KS1_S1_Ev17rocblas_diagonal_iiT6_lPT7_lllS6_lllPT8_llli,"axG",@progbits,_ZL30rocblas_trmm_outofplace_kernelI19rocblas_complex_numIfELi32ELi2ELb1ELb0ELb1ELb1ES1_KS1_S1_Ev17rocblas_diagonal_iiT6_lPT7_lllS6_lllPT8_llli,comdat
	.globl	_ZL30rocblas_trmm_outofplace_kernelI19rocblas_complex_numIfELi32ELi2ELb1ELb0ELb1ELb1ES1_KS1_S1_Ev17rocblas_diagonal_iiT6_lPT7_lllS6_lllPT8_llli ; -- Begin function _ZL30rocblas_trmm_outofplace_kernelI19rocblas_complex_numIfELi32ELi2ELb1ELb0ELb1ELb1ES1_KS1_S1_Ev17rocblas_diagonal_iiT6_lPT7_lllS6_lllPT8_llli
	.p2align	8
	.type	_ZL30rocblas_trmm_outofplace_kernelI19rocblas_complex_numIfELi32ELi2ELb1ELb0ELb1ELb1ES1_KS1_S1_Ev17rocblas_diagonal_iiT6_lPT7_lllS6_lllPT8_llli,@function
_ZL30rocblas_trmm_outofplace_kernelI19rocblas_complex_numIfELi32ELi2ELb1ELb0ELb1ELb1ES1_KS1_S1_Ev17rocblas_diagonal_iiT6_lPT7_lllS6_lllPT8_llli: ; @_ZL30rocblas_trmm_outofplace_kernelI19rocblas_complex_numIfELi32ELi2ELb1ELb0ELb1ELb1ES1_KS1_S1_Ev17rocblas_diagonal_iiT6_lPT7_lllS6_lllPT8_llli
; %bb.0:
	s_clause 0x1
	s_load_dwordx4 s[28:31], s[4:5], 0x0
	s_load_dword s33, s[4:5], 0x10
	s_waitcnt lgkmcnt(0)
	s_or_b32 s0, s31, s33
	s_bitset0_b32 s0, 31
	s_cmp_eq_u32 s0, 0
	s_cbranch_scc1 .LBB81_64
; %bb.1:
	s_add_i32 s0, s30, -1
	s_ashr_i32 s1, s0, 31
	s_lshr_b32 s1, s1, 27
	s_add_i32 s0, s0, s1
	s_ashr_i32 s34, s0, 5
	s_cmp_gt_i32 s7, s34
	s_cbranch_scc1 .LBB81_64
; %bb.2:
	s_clause 0x2
	s_load_dwordx16 s[12:27], s[4:5], 0x20
	s_load_dwordx8 s[36:43], s[4:5], 0x60
	s_load_dword s35, s[4:5], 0x8c
	v_lshlrev_b32_e32 v2, 8, v1
	v_lshlrev_b32_e32 v42, 3, v0
	s_mov_b32 s10, s29
	v_lshl_add_u32 v34, s7, 5, v1
	v_mov_b32_e32 v37, 0
	v_add_nc_u32_e32 v44, 0x2000, v2
	v_add_nc_u32_e32 v43, v42, v2
	v_mov_b32_e32 v36, 1.0
	v_add_nc_u32_e32 v49, 0x800, v42
	v_add_nc_u32_e32 v50, 0x1000, v42
	;; [unrolled: 1-line block ×3, first 2 shown]
	s_waitcnt lgkmcnt(0)
	s_mul_i32 s1, s19, s8
	s_mul_hi_u32 s2, s18, s8
	s_mul_i32 s0, s18, s8
	s_add_i32 s1, s2, s1
	s_mul_i32 s2, s43, s8
	s_lshl_b64 s[18:19], s[0:1], 3
	s_mul_hi_u32 s1, s42, s8
	s_add_u32 s3, s12, s18
	s_addc_u32 s9, s13, s19
	s_lshl_b64 s[44:45], s[14:15], 3
	s_mul_i32 s0, s42, s8
	s_add_u32 s3, s3, s44
	s_addc_u32 s9, s9, s45
	s_add_i32 s1, s1, s2
	s_lshl_b64 s[0:1], s[0:1], 3
	s_add_u32 s2, s36, s0
	s_addc_u32 s4, s37, s1
	s_lshl_b64 s[0:1], s[38:39], 3
	s_add_u32 s36, s2, s0
	s_addc_u32 s37, s4, s1
	s_lshl_b32 s0, s6, 5
	v_add_nc_u32_e32 v16, s0, v0
	v_add_nc_u32_e32 v14, s0, v1
	s_sub_i32 s38, s29, s0
	v_add_nc_u32_e32 v0, v44, v42
	s_cmp_gt_i32 s38, 0
	v_ashrrev_i32_e32 v17, 31, v16
	v_mul_lo_u32 v6, s17, v16
	v_mad_u64_u32 v[2:3], null, s16, v16, 0
	v_ashrrev_i32_e32 v15, 31, v14
	v_mul_lo_u32 v7, s16, v17
	v_add_co_u32 v20, vcc_lo, v16, 16
	v_add_co_ci_u32_e64 v21, null, 0, v17, vcc_lo
	v_sub_co_u32 v22, vcc_lo, v16, v14
	v_lshlrev_b64 v[4:5], 3, v[14:15]
	v_add3_u32 v3, v3, v7, v6
	v_sub_co_ci_u32_e64 v23, null, v17, v15, vcc_lo
	v_lshlrev_b64 v[24:25], 3, v[16:17]
	s_cselect_b32 s39, -1, 0
	v_lshlrev_b64 v[2:3], 3, v[2:3]
	s_cmpk_eq_i32 s28, 0x84
	v_add_nc_u32_e32 v18, 16, v16
	s_cselect_b32 s28, -1, 0
	s_ashr_i32 s11, s29, 31
	s_ashr_i32 s42, s30, 31
	v_add_co_u32 v2, vcc_lo, s3, v2
	v_add_co_ci_u32_e64 v3, null, s9, v3, vcc_lo
	s_add_u32 s14, s29, -16
	v_add_co_u32 v45, vcc_lo, v2, v4
	v_add_co_ci_u32_e64 v46, null, v3, v5, vcc_lo
	v_add_co_u32 v26, vcc_lo, v22, 16
	v_add_co_ci_u32_e64 v27, null, 0, v23, vcc_lo
	;; [unrolled: 2-line block ×3, first 2 shown]
	s_addc_u32 s15, s11, -1
	s_add_u32 s4, s44, s18
	s_addc_u32 s5, s45, s19
	v_mul_lo_u32 v7, s16, v7
	v_mad_u64_u32 v[2:3], null, s16, v6, s[4:5]
	v_mul_lo_u32 v6, s17, v6
	s_mul_i32 s4, s27, s8
	s_mul_hi_u32 s5, s26, s8
	v_add_co_u32 v28, vcc_lo, v22, -16
	s_add_i32 s5, s5, s4
	s_mul_i32 s4, s26, s8
	s_lshl_b64 s[8:9], s[22:23], 3
	s_lshl_b64 s[4:5], s[4:5], 3
	v_add3_u32 v3, v6, v3, v7
	s_add_u32 s4, s4, s8
	s_addc_u32 s5, s5, s9
	v_add_co_ci_u32_e64 v29, null, -1, v23, vcc_lo
	v_add_co_u32 v2, vcc_lo, v2, v4
	s_add_u32 s4, s20, s4
	v_add_co_ci_u32_e64 v3, null, v3, v5, vcc_lo
	s_addc_u32 s5, s21, s5
	v_add_co_u32 v30, vcc_lo, s4, v24
	v_add_co_ci_u32_e64 v31, null, s5, v25, vcc_lo
	v_add_co_u32 v47, vcc_lo, s12, v2
	v_add_co_ci_u32_e64 v48, null, s13, v3, vcc_lo
	v_add_co_u32 v32, vcc_lo, 0x80, v30
	v_cmp_le_i64_e64 s3, s[10:11], v[20:21]
	v_cmp_le_i32_e64 s0, s29, v16
	v_cmp_gt_i32_e64 s1, s29, v16
	v_cmp_gt_i32_e64 s2, s29, v18
	v_ashrrev_i32_e32 v19, 31, v18
	v_add_co_ci_u32_e64 v33, null, 0, v31, vcc_lo
	s_mov_b32 s20, s30
	s_lshl_b64 s[12:13], s[24:25], 3
	s_lshl_b32 s21, s35, 5
	s_branch .LBB81_4
.LBB81_3:                               ;   in Loop: Header=BB81_4 Depth=1
	s_or_b32 exec_lo, exec_lo, s4
	v_add_nc_u32_e32 v34, s21, v34
	s_add_i32 s7, s35, s7
	s_cmp_le_i32 s7, s34
	s_cbranch_scc0 .LBB81_64
.LBB81_4:                               ; =>This Loop Header: Depth=1
                                        ;     Child Loop BB81_7 Depth 2
	v_lshl_add_u32 v52, s7, 5, v1
	s_andn2_b32 vcc_lo, exec_lo, s39
	v_ashrrev_i32_e32 v53, 31, v52
	s_cbranch_vccnz .LBB81_55
; %bb.5:                                ;   in Loop: Header=BB81_4 Depth=1
	v_ashrrev_i32_e32 v35, 31, v34
	v_mad_u64_u32 v[38:39], null, s12, v34, v[32:33]
	v_mul_lo_u32 v4, s13, v34
	v_mov_b32_e32 v54, 0
	v_lshlrev_b64 v[2:3], 3, v[34:35]
	v_mul_lo_u32 v7, s12, v35
	v_mov_b32_e32 v35, 0
	v_mov_b32_e32 v55, 0
	;; [unrolled: 1-line block ×4, first 2 shown]
	v_add_co_u32 v5, vcc_lo, 0x80, v2
	v_add_co_ci_u32_e64 v6, null, 0, v3, vcc_lo
	v_sub_co_u32 v2, vcc_lo, s20, v52
	v_mul_lo_u32 v8, s25, v5
	v_mul_lo_u32 v6, s24, v6
	v_mad_u64_u32 v[40:41], null, s24, v5, v[30:31]
	v_sub_co_ci_u32_e64 v3, null, s42, v53, vcc_lo
	v_add3_u32 v39, v4, v39, v7
	v_mov_b32_e32 v57, 0
	v_mov_b32_e32 v60, 0
	v_cmp_lt_i64_e64 s4, 16, v[2:3]
	v_add3_u32 v41, v8, v41, v6
	v_mov_b32_e32 v59, 0
	s_mov_b64 s[16:17], 0
	s_mov_b64 s[18:19], 0
	v_cmp_lt_i64_e32 vcc_lo, 0, v[2:3]
	s_branch .LBB81_7
.LBB81_6:                               ;   in Loop: Header=BB81_7 Depth=2
	s_or_b32 exec_lo, exec_lo, s5
	s_waitcnt lgkmcnt(0)
	s_barrier
	buffer_gl0_inv
	ds_read_b128 v[61:64], v44
	ds_read_b128 v[10:13], v44 offset:16
	ds_read_b128 v[6:9], v44 offset:32
	;; [unrolled: 1-line block ×3, first 2 shown]
	ds_read2_b64 v[65:68], v42 offset1:16
	s_add_u32 s18, s18, 32
	s_addc_u32 s19, s19, 0
	s_add_u32 s16, s16, 0x100
	s_addc_u32 s17, s17, 0
	s_cmp_ge_i32 s18, s38
	s_waitcnt lgkmcnt(0)
	v_mul_f32_e32 v69, v62, v66
	v_mul_f32_e32 v70, v61, v66
	v_fma_f32 v69, v61, v65, -v69
	v_fmac_f32_e32 v70, v62, v65
	v_add_f32_e32 v69, v59, v69
	v_add_f32_e32 v70, v60, v70
	v_mul_f32_e32 v59, v62, v68
	v_mul_f32_e32 v60, v61, v68
	v_fma_f32 v59, v61, v67, -v59
	v_fmac_f32_e32 v60, v62, v67
	v_add_f32_e32 v61, v57, v59
	v_add_f32_e32 v62, v58, v60
	ds_read_b128 v[57:60], v44 offset:4096
	s_waitcnt lgkmcnt(0)
	v_mul_f32_e32 v71, v58, v66
	v_mul_f32_e32 v66, v57, v66
	v_fma_f32 v71, v57, v65, -v71
	v_fmac_f32_e32 v66, v58, v65
	v_add_f32_e32 v65, v56, v71
	v_add_f32_e32 v66, v55, v66
	v_mul_f32_e32 v55, v58, v68
	v_mul_f32_e32 v56, v57, v68
	v_fma_f32 v55, v57, v67, -v55
	v_fmac_f32_e32 v56, v58, v67
	v_add_f32_e32 v58, v54, v55
	v_add_f32_e32 v35, v35, v56
	ds_read2_b64 v[54:57], v42 offset0:32 offset1:48
	s_waitcnt lgkmcnt(0)
	v_mul_f32_e32 v67, v64, v55
	v_mul_f32_e32 v68, v63, v55
	v_fma_f32 v67, v63, v54, -v67
	v_fmac_f32_e32 v68, v64, v54
	v_add_f32_e32 v67, v69, v67
	v_mul_f32_e32 v69, v64, v57
	v_add_f32_e32 v68, v70, v68
	v_fma_f32 v69, v63, v56, -v69
	v_mul_f32_e32 v63, v63, v57
	v_add_f32_e32 v61, v61, v69
	v_fmac_f32_e32 v63, v64, v56
	v_add_f32_e32 v62, v62, v63
	v_mul_f32_e32 v63, v60, v55
	v_mul_f32_e32 v55, v59, v55
	v_fma_f32 v63, v59, v54, -v63
	v_fmac_f32_e32 v55, v60, v54
	v_mul_f32_e32 v54, v60, v57
	v_add_f32_e32 v63, v65, v63
	v_add_f32_e32 v64, v66, v55
	v_mul_f32_e32 v55, v59, v57
	v_fma_f32 v54, v59, v56, -v54
	v_fmac_f32_e32 v55, v60, v56
	v_add_f32_e32 v65, v58, v54
	v_add_f32_e32 v35, v35, v55
	ds_read2_b64 v[54:57], v42 offset0:64 offset1:80
	s_waitcnt lgkmcnt(0)
	v_mul_f32_e32 v58, v11, v55
	v_mul_f32_e32 v59, v10, v55
	v_fma_f32 v58, v10, v54, -v58
	v_fmac_f32_e32 v59, v11, v54
	v_add_f32_e32 v66, v67, v58
	v_mul_f32_e32 v58, v11, v57
	v_add_f32_e32 v67, v68, v59
	v_fma_f32 v58, v10, v56, -v58
	v_mul_f32_e32 v10, v10, v57
	v_fmac_f32_e32 v10, v11, v56
	v_add_f32_e32 v11, v61, v58
	ds_read_b128 v[58:61], v44 offset:4112
	v_add_f32_e32 v10, v62, v10
	s_waitcnt lgkmcnt(0)
	v_mul_f32_e32 v62, v59, v55
	v_mul_f32_e32 v55, v58, v55
	v_fma_f32 v62, v58, v54, -v62
	v_fmac_f32_e32 v55, v59, v54
	v_mul_f32_e32 v54, v59, v57
	v_add_f32_e32 v62, v63, v62
	v_add_f32_e32 v63, v64, v55
	v_mul_f32_e32 v55, v58, v57
	v_fma_f32 v54, v58, v56, -v54
	v_fmac_f32_e32 v55, v59, v56
	v_add_f32_e32 v58, v65, v54
	v_add_f32_e32 v35, v35, v55
	ds_read2_b64 v[54:57], v42 offset0:96 offset1:112
	s_waitcnt lgkmcnt(0)
	v_mul_f32_e32 v59, v13, v55
	v_mul_f32_e32 v65, v13, v57
	;; [unrolled: 1-line block ×3, first 2 shown]
	v_fma_f32 v59, v12, v54, -v59
	v_fma_f32 v65, v12, v56, -v65
	v_mul_f32_e32 v12, v12, v57
	v_fmac_f32_e32 v64, v13, v54
	v_add_f32_e32 v59, v66, v59
	v_add_f32_e32 v65, v11, v65
	v_fmac_f32_e32 v12, v13, v56
	v_mul_f32_e32 v11, v60, v55
	v_add_f32_e32 v64, v67, v64
	v_add_f32_e32 v66, v10, v12
	v_mul_f32_e32 v10, v61, v55
	v_fmac_f32_e32 v11, v61, v54
	v_fma_f32 v10, v60, v54, -v10
	v_add_f32_e32 v63, v63, v11
	v_mul_f32_e32 v11, v60, v57
	v_add_f32_e32 v62, v62, v10
	v_mul_f32_e32 v10, v61, v57
	v_fmac_f32_e32 v11, v61, v56
	v_fma_f32 v10, v60, v56, -v10
	v_add_f32_e32 v35, v35, v11
	v_add_f32_e32 v58, v58, v10
	ds_read2_b64 v[10:13], v42 offset0:128 offset1:144
	s_waitcnt lgkmcnt(0)
	v_mul_f32_e32 v54, v7, v11
	v_mul_f32_e32 v55, v6, v11
	v_fma_f32 v54, v6, v10, -v54
	v_fmac_f32_e32 v55, v7, v10
	v_add_f32_e32 v59, v59, v54
	v_mul_f32_e32 v54, v7, v13
	v_add_f32_e32 v60, v64, v55
	v_fma_f32 v54, v6, v12, -v54
	v_mul_f32_e32 v6, v6, v13
	v_fmac_f32_e32 v6, v7, v12
	v_add_f32_e32 v7, v65, v54
	ds_read_b128 v[54:57], v44 offset:4128
	v_add_f32_e32 v6, v66, v6
	s_waitcnt lgkmcnt(0)
	v_mul_f32_e32 v61, v55, v11
	v_mul_f32_e32 v11, v54, v11
	v_fma_f32 v61, v54, v10, -v61
	v_fmac_f32_e32 v11, v55, v10
	v_mul_f32_e32 v10, v55, v13
	v_add_f32_e32 v61, v62, v61
	v_add_f32_e32 v62, v63, v11
	v_mul_f32_e32 v11, v54, v13
	v_fma_f32 v10, v54, v12, -v10
	v_fmac_f32_e32 v11, v55, v12
	v_add_f32_e32 v54, v58, v10
	v_add_f32_e32 v35, v35, v11
	ds_read2_b64 v[10:13], v42 offset0:160 offset1:176
	s_waitcnt lgkmcnt(0)
	v_mul_f32_e32 v55, v9, v11
	v_mul_f32_e32 v58, v8, v11
	v_fma_f32 v55, v8, v10, -v55
	v_fmac_f32_e32 v58, v9, v10
	v_add_f32_e32 v55, v59, v55
	v_mul_f32_e32 v59, v9, v13
	v_add_f32_e32 v58, v60, v58
	v_fma_f32 v59, v8, v12, -v59
	v_mul_f32_e32 v8, v8, v13
	v_add_f32_e32 v59, v7, v59
	v_fmac_f32_e32 v8, v9, v12
	v_mul_f32_e32 v7, v56, v11
	v_add_f32_e32 v60, v6, v8
	v_mul_f32_e32 v6, v57, v11
	v_fmac_f32_e32 v7, v57, v10
	v_fma_f32 v6, v56, v10, -v6
	v_add_f32_e32 v62, v62, v7
	v_mul_f32_e32 v7, v56, v13
	v_add_f32_e32 v61, v61, v6
	v_mul_f32_e32 v6, v57, v13
	v_fmac_f32_e32 v7, v57, v12
	v_fma_f32 v6, v56, v12, -v6
	v_add_f32_e32 v35, v35, v7
	v_add_f32_e32 v54, v54, v6
	ds_read2_b64 v[6:9], v42 offset0:192 offset1:208
	s_waitcnt lgkmcnt(0)
	v_mul_f32_e32 v10, v3, v7
	v_mul_f32_e32 v11, v2, v7
	v_fma_f32 v10, v2, v6, -v10
	v_fmac_f32_e32 v11, v3, v6
	v_add_f32_e32 v55, v55, v10
	v_mul_f32_e32 v10, v3, v9
	v_add_f32_e32 v56, v58, v11
	v_fma_f32 v10, v2, v8, -v10
	v_mul_f32_e32 v2, v2, v9
	v_fmac_f32_e32 v2, v3, v8
	v_add_f32_e32 v3, v59, v10
	ds_read_b128 v[10:13], v44 offset:4144
	v_add_f32_e32 v2, v60, v2
	s_waitcnt lgkmcnt(0)
	v_mul_f32_e32 v57, v11, v7
	v_mul_f32_e32 v7, v10, v7
	v_fma_f32 v57, v10, v6, -v57
	v_fmac_f32_e32 v7, v11, v6
	v_mul_f32_e32 v6, v11, v9
	v_add_f32_e32 v57, v61, v57
	v_add_f32_e32 v58, v62, v7
	v_mul_f32_e32 v7, v10, v9
	v_fma_f32 v6, v10, v8, -v6
	v_fmac_f32_e32 v7, v11, v8
	v_add_f32_e32 v10, v54, v6
	v_add_f32_e32 v11, v35, v7
	ds_read2_b64 v[6:9], v42 offset0:224 offset1:240
	s_waitcnt lgkmcnt(0)
	v_mul_f32_e32 v35, v5, v7
	v_mul_f32_e32 v54, v4, v7
	v_fma_f32 v35, v4, v6, -v35
	v_fmac_f32_e32 v54, v5, v6
	v_add_f32_e32 v35, v55, v35
	v_mul_f32_e32 v55, v5, v9
	v_add_f32_e32 v54, v56, v54
	v_fma_f32 v55, v4, v8, -v55
	v_mul_f32_e32 v4, v4, v9
	v_add_f32_e32 v55, v3, v55
	v_fmac_f32_e32 v4, v5, v8
	v_mul_f32_e32 v3, v12, v7
	v_add_f32_e32 v56, v2, v4
	v_mul_f32_e32 v2, v13, v7
	v_fmac_f32_e32 v3, v13, v6
	v_fma_f32 v2, v12, v6, -v2
	v_add_f32_e32 v58, v58, v3
	v_mul_f32_e32 v3, v12, v9
	v_add_f32_e32 v57, v57, v2
	v_mul_f32_e32 v2, v13, v9
	v_fmac_f32_e32 v3, v13, v8
	v_fma_f32 v2, v12, v8, -v2
	v_add_f32_e32 v60, v11, v3
	v_add_f32_e32 v59, v10, v2
	ds_read_b128 v[2:5], v44 offset:64
	ds_read2_b64 v[6:9], v49 offset1:16
	s_waitcnt lgkmcnt(0)
	v_mul_f32_e32 v10, v3, v7
	v_mul_f32_e32 v11, v2, v7
	v_fma_f32 v10, v2, v6, -v10
	v_fmac_f32_e32 v11, v3, v6
	v_add_f32_e32 v35, v35, v10
	v_mul_f32_e32 v10, v3, v9
	v_add_f32_e32 v54, v54, v11
	v_fma_f32 v10, v2, v8, -v10
	v_mul_f32_e32 v2, v2, v9
	v_fmac_f32_e32 v2, v3, v8
	v_add_f32_e32 v3, v55, v10
	ds_read_b128 v[10:13], v44 offset:4160
	v_add_f32_e32 v2, v56, v2
	s_waitcnt lgkmcnt(0)
	v_mul_f32_e32 v55, v11, v7
	v_mul_f32_e32 v7, v10, v7
	v_fma_f32 v55, v10, v6, -v55
	v_fmac_f32_e32 v7, v11, v6
	v_mul_f32_e32 v6, v11, v9
	v_add_f32_e32 v55, v57, v55
	v_add_f32_e32 v56, v58, v7
	v_mul_f32_e32 v7, v10, v9
	v_fma_f32 v6, v10, v8, -v6
	v_fmac_f32_e32 v7, v11, v8
	v_add_f32_e32 v10, v59, v6
	v_add_f32_e32 v11, v60, v7
	ds_read2_b64 v[6:9], v49 offset0:32 offset1:48
	s_waitcnt lgkmcnt(0)
	v_mul_f32_e32 v57, v5, v7
	v_mul_f32_e32 v58, v4, v7
	v_fma_f32 v57, v4, v6, -v57
	v_fmac_f32_e32 v58, v5, v6
	v_add_f32_e32 v35, v35, v57
	v_mul_f32_e32 v57, v5, v9
	v_add_f32_e32 v54, v54, v58
	v_fma_f32 v57, v4, v8, -v57
	v_mul_f32_e32 v4, v4, v9
	v_add_f32_e32 v57, v3, v57
	v_fmac_f32_e32 v4, v5, v8
	v_mul_f32_e32 v3, v12, v7
	v_add_f32_e32 v58, v2, v4
	v_mul_f32_e32 v2, v13, v7
	v_fmac_f32_e32 v3, v13, v6
	v_fma_f32 v2, v12, v6, -v2
	v_add_f32_e32 v56, v56, v3
	v_mul_f32_e32 v3, v12, v9
	v_add_f32_e32 v55, v55, v2
	v_mul_f32_e32 v2, v13, v9
	v_fmac_f32_e32 v3, v13, v8
	v_fma_f32 v2, v12, v8, -v2
	v_add_f32_e32 v60, v11, v3
	v_add_f32_e32 v59, v10, v2
	ds_read_b128 v[2:5], v44 offset:80
	ds_read2_b64 v[6:9], v49 offset0:64 offset1:80
	s_waitcnt lgkmcnt(0)
	v_mul_f32_e32 v10, v3, v7
	v_mul_f32_e32 v11, v2, v7
	v_fma_f32 v10, v2, v6, -v10
	v_fmac_f32_e32 v11, v3, v6
	v_add_f32_e32 v35, v35, v10
	v_mul_f32_e32 v10, v3, v9
	v_add_f32_e32 v54, v54, v11
	v_fma_f32 v10, v2, v8, -v10
	v_mul_f32_e32 v2, v2, v9
	v_fmac_f32_e32 v2, v3, v8
	v_add_f32_e32 v3, v57, v10
	ds_read_b128 v[10:13], v44 offset:4176
	v_add_f32_e32 v2, v58, v2
	s_waitcnt lgkmcnt(0)
	v_mul_f32_e32 v57, v11, v7
	v_mul_f32_e32 v7, v10, v7
	v_fma_f32 v57, v10, v6, -v57
	v_fmac_f32_e32 v7, v11, v6
	v_mul_f32_e32 v6, v11, v9
	v_add_f32_e32 v55, v55, v57
	v_add_f32_e32 v56, v56, v7
	v_mul_f32_e32 v7, v10, v9
	v_fma_f32 v6, v10, v8, -v6
	v_fmac_f32_e32 v7, v11, v8
	v_add_f32_e32 v10, v59, v6
	v_add_f32_e32 v11, v60, v7
	ds_read2_b64 v[6:9], v49 offset0:96 offset1:112
	s_waitcnt lgkmcnt(0)
	v_mul_f32_e32 v57, v5, v7
	v_mul_f32_e32 v58, v4, v7
	v_fma_f32 v57, v4, v6, -v57
	v_fmac_f32_e32 v58, v5, v6
	v_add_f32_e32 v35, v35, v57
	v_mul_f32_e32 v57, v5, v9
	v_add_f32_e32 v54, v54, v58
	v_fma_f32 v57, v4, v8, -v57
	v_mul_f32_e32 v4, v4, v9
	v_add_f32_e32 v57, v3, v57
	v_fmac_f32_e32 v4, v5, v8
	v_mul_f32_e32 v3, v12, v7
	v_add_f32_e32 v58, v2, v4
	v_mul_f32_e32 v2, v13, v7
	v_fmac_f32_e32 v3, v13, v6
	v_fma_f32 v2, v12, v6, -v2
	v_add_f32_e32 v56, v56, v3
	v_mul_f32_e32 v3, v12, v9
	v_add_f32_e32 v55, v55, v2
	v_mul_f32_e32 v2, v13, v9
	v_fmac_f32_e32 v3, v13, v8
	v_fma_f32 v2, v12, v8, -v2
	v_add_f32_e32 v60, v11, v3
	v_add_f32_e32 v59, v10, v2
	ds_read_b128 v[2:5], v44 offset:96
	ds_read2_b64 v[6:9], v49 offset0:128 offset1:144
	;; [unrolled: 55-line block ×3, first 2 shown]
	s_waitcnt lgkmcnt(0)
	v_mul_f32_e32 v10, v3, v7
	v_mul_f32_e32 v11, v2, v7
	v_fma_f32 v10, v2, v6, -v10
	v_fmac_f32_e32 v11, v3, v6
	v_add_f32_e32 v35, v35, v10
	v_mul_f32_e32 v10, v3, v9
	v_add_f32_e32 v54, v54, v11
	v_fma_f32 v10, v2, v8, -v10
	v_mul_f32_e32 v2, v2, v9
	v_fmac_f32_e32 v2, v3, v8
	v_add_f32_e32 v3, v57, v10
	ds_read_b128 v[10:13], v44 offset:4208
	v_add_f32_e32 v2, v58, v2
	s_waitcnt lgkmcnt(0)
	v_mul_f32_e32 v57, v11, v7
	v_mul_f32_e32 v7, v10, v7
	v_fma_f32 v57, v10, v6, -v57
	v_fmac_f32_e32 v7, v11, v6
	v_mul_f32_e32 v6, v11, v9
	v_add_f32_e32 v55, v55, v57
	v_add_f32_e32 v56, v56, v7
	v_mul_f32_e32 v7, v10, v9
	v_fma_f32 v6, v10, v8, -v6
	v_fmac_f32_e32 v7, v11, v8
	v_add_f32_e32 v10, v59, v6
	v_add_f32_e32 v11, v60, v7
	ds_read2_b64 v[6:9], v49 offset0:224 offset1:240
	s_waitcnt lgkmcnt(0)
	v_mul_f32_e32 v57, v5, v7
	v_mul_f32_e32 v58, v4, v7
	v_fma_f32 v57, v4, v6, -v57
	v_fmac_f32_e32 v58, v5, v6
	v_add_f32_e32 v35, v35, v57
	v_mul_f32_e32 v57, v5, v9
	v_add_f32_e32 v54, v54, v58
	v_fma_f32 v57, v4, v8, -v57
	v_mul_f32_e32 v4, v4, v9
	v_add_f32_e32 v57, v3, v57
	v_fmac_f32_e32 v4, v5, v8
	v_mul_f32_e32 v3, v12, v7
	v_add_f32_e32 v58, v2, v4
	v_mul_f32_e32 v2, v13, v7
	v_fmac_f32_e32 v3, v13, v6
	v_fma_f32 v2, v12, v6, -v2
	v_add_f32_e32 v56, v56, v3
	v_mul_f32_e32 v3, v12, v9
	v_add_f32_e32 v55, v55, v2
	v_mul_f32_e32 v2, v13, v9
	v_fmac_f32_e32 v3, v13, v8
	v_fma_f32 v2, v12, v8, -v2
	v_add_f32_e32 v60, v11, v3
	v_add_f32_e32 v59, v10, v2
	ds_read_b128 v[2:5], v44 offset:128
	ds_read2_b64 v[6:9], v50 offset1:16
	s_waitcnt lgkmcnt(0)
	v_mul_f32_e32 v10, v3, v7
	v_mul_f32_e32 v11, v2, v7
	v_fma_f32 v10, v2, v6, -v10
	v_fmac_f32_e32 v11, v3, v6
	v_add_f32_e32 v35, v35, v10
	v_mul_f32_e32 v10, v3, v9
	v_add_f32_e32 v54, v54, v11
	v_fma_f32 v10, v2, v8, -v10
	v_mul_f32_e32 v2, v2, v9
	v_fmac_f32_e32 v2, v3, v8
	v_add_f32_e32 v3, v57, v10
	ds_read_b128 v[10:13], v44 offset:4224
	v_add_f32_e32 v2, v58, v2
	s_waitcnt lgkmcnt(0)
	v_mul_f32_e32 v57, v11, v7
	v_mul_f32_e32 v7, v10, v7
	v_fma_f32 v57, v10, v6, -v57
	v_fmac_f32_e32 v7, v11, v6
	v_mul_f32_e32 v6, v11, v9
	v_add_f32_e32 v55, v55, v57
	v_add_f32_e32 v56, v56, v7
	v_mul_f32_e32 v7, v10, v9
	v_fma_f32 v6, v10, v8, -v6
	v_fmac_f32_e32 v7, v11, v8
	v_add_f32_e32 v10, v59, v6
	v_add_f32_e32 v11, v60, v7
	ds_read2_b64 v[6:9], v50 offset0:32 offset1:48
	s_waitcnt lgkmcnt(0)
	v_mul_f32_e32 v57, v5, v7
	v_mul_f32_e32 v58, v4, v7
	v_fma_f32 v57, v4, v6, -v57
	v_fmac_f32_e32 v58, v5, v6
	v_add_f32_e32 v35, v35, v57
	v_mul_f32_e32 v57, v5, v9
	v_add_f32_e32 v54, v54, v58
	v_fma_f32 v57, v4, v8, -v57
	v_mul_f32_e32 v4, v4, v9
	v_add_f32_e32 v57, v3, v57
	v_fmac_f32_e32 v4, v5, v8
	v_mul_f32_e32 v3, v12, v7
	v_add_f32_e32 v58, v2, v4
	v_mul_f32_e32 v2, v13, v7
	v_fmac_f32_e32 v3, v13, v6
	v_fma_f32 v2, v12, v6, -v2
	v_add_f32_e32 v56, v56, v3
	v_mul_f32_e32 v3, v12, v9
	v_add_f32_e32 v55, v55, v2
	v_mul_f32_e32 v2, v13, v9
	v_fmac_f32_e32 v3, v13, v8
	v_fma_f32 v2, v12, v8, -v2
	v_add_f32_e32 v60, v11, v3
	v_add_f32_e32 v59, v10, v2
	ds_read_b128 v[2:5], v44 offset:144
	ds_read2_b64 v[6:9], v50 offset0:64 offset1:80
	s_waitcnt lgkmcnt(0)
	v_mul_f32_e32 v10, v3, v7
	v_mul_f32_e32 v11, v2, v7
	v_fma_f32 v10, v2, v6, -v10
	v_fmac_f32_e32 v11, v3, v6
	v_add_f32_e32 v35, v35, v10
	v_mul_f32_e32 v10, v3, v9
	v_add_f32_e32 v54, v54, v11
	v_fma_f32 v10, v2, v8, -v10
	v_mul_f32_e32 v2, v2, v9
	v_fmac_f32_e32 v2, v3, v8
	v_add_f32_e32 v3, v57, v10
	ds_read_b128 v[10:13], v44 offset:4240
	v_add_f32_e32 v2, v58, v2
	s_waitcnt lgkmcnt(0)
	v_mul_f32_e32 v57, v11, v7
	v_mul_f32_e32 v7, v10, v7
	v_fma_f32 v57, v10, v6, -v57
	v_fmac_f32_e32 v7, v11, v6
	v_mul_f32_e32 v6, v11, v9
	v_add_f32_e32 v55, v55, v57
	v_add_f32_e32 v56, v56, v7
	v_mul_f32_e32 v7, v10, v9
	v_fma_f32 v6, v10, v8, -v6
	v_fmac_f32_e32 v7, v11, v8
	v_add_f32_e32 v10, v59, v6
	v_add_f32_e32 v11, v60, v7
	ds_read2_b64 v[6:9], v50 offset0:96 offset1:112
	s_waitcnt lgkmcnt(0)
	v_mul_f32_e32 v57, v5, v7
	v_mul_f32_e32 v58, v4, v7
	v_fma_f32 v57, v4, v6, -v57
	v_fmac_f32_e32 v58, v5, v6
	v_add_f32_e32 v35, v35, v57
	v_mul_f32_e32 v57, v5, v9
	v_add_f32_e32 v54, v54, v58
	v_fma_f32 v57, v4, v8, -v57
	v_mul_f32_e32 v4, v4, v9
	v_add_f32_e32 v57, v3, v57
	v_fmac_f32_e32 v4, v5, v8
	v_mul_f32_e32 v3, v12, v7
	v_add_f32_e32 v58, v2, v4
	v_mul_f32_e32 v2, v13, v7
	v_fmac_f32_e32 v3, v13, v6
	v_fma_f32 v2, v12, v6, -v2
	v_add_f32_e32 v56, v56, v3
	v_mul_f32_e32 v3, v12, v9
	v_add_f32_e32 v55, v55, v2
	v_mul_f32_e32 v2, v13, v9
	v_fmac_f32_e32 v3, v13, v8
	v_fma_f32 v2, v12, v8, -v2
	v_add_f32_e32 v60, v11, v3
	v_add_f32_e32 v59, v10, v2
	ds_read_b128 v[2:5], v44 offset:160
	ds_read2_b64 v[6:9], v50 offset0:128 offset1:144
	;; [unrolled: 55-line block ×3, first 2 shown]
	s_waitcnt lgkmcnt(0)
	v_mul_f32_e32 v10, v3, v7
	v_mul_f32_e32 v11, v2, v7
	v_fma_f32 v10, v2, v6, -v10
	v_fmac_f32_e32 v11, v3, v6
	v_add_f32_e32 v35, v35, v10
	v_mul_f32_e32 v10, v3, v9
	v_add_f32_e32 v54, v54, v11
	v_fma_f32 v10, v2, v8, -v10
	v_mul_f32_e32 v2, v2, v9
	v_fmac_f32_e32 v2, v3, v8
	v_add_f32_e32 v3, v57, v10
	ds_read_b128 v[10:13], v44 offset:4272
	v_add_f32_e32 v2, v58, v2
	s_waitcnt lgkmcnt(0)
	v_mul_f32_e32 v57, v11, v7
	v_mul_f32_e32 v7, v10, v7
	v_fma_f32 v57, v10, v6, -v57
	v_fmac_f32_e32 v7, v11, v6
	v_mul_f32_e32 v6, v11, v9
	v_add_f32_e32 v55, v55, v57
	v_add_f32_e32 v56, v56, v7
	v_mul_f32_e32 v7, v10, v9
	v_fma_f32 v6, v10, v8, -v6
	v_fmac_f32_e32 v7, v11, v8
	v_add_f32_e32 v10, v59, v6
	v_add_f32_e32 v11, v60, v7
	ds_read2_b64 v[6:9], v50 offset0:224 offset1:240
	s_waitcnt lgkmcnt(0)
	v_mul_f32_e32 v57, v5, v7
	v_mul_f32_e32 v58, v4, v7
	v_fma_f32 v57, v4, v6, -v57
	v_fmac_f32_e32 v58, v5, v6
	v_add_f32_e32 v35, v35, v57
	v_mul_f32_e32 v57, v5, v9
	v_add_f32_e32 v54, v54, v58
	v_fma_f32 v57, v4, v8, -v57
	v_mul_f32_e32 v4, v4, v9
	v_add_f32_e32 v57, v3, v57
	v_fmac_f32_e32 v4, v5, v8
	v_mul_f32_e32 v3, v12, v7
	v_add_f32_e32 v58, v2, v4
	v_mul_f32_e32 v2, v13, v7
	v_fmac_f32_e32 v3, v13, v6
	v_fma_f32 v2, v12, v6, -v2
	v_add_f32_e32 v56, v56, v3
	v_mul_f32_e32 v3, v12, v9
	v_add_f32_e32 v55, v55, v2
	v_mul_f32_e32 v2, v13, v9
	v_fmac_f32_e32 v3, v13, v8
	v_fma_f32 v2, v12, v8, -v2
	v_add_f32_e32 v60, v11, v3
	v_add_f32_e32 v59, v10, v2
	ds_read_b128 v[2:5], v44 offset:192
	ds_read2_b64 v[6:9], v51 offset1:16
	s_waitcnt lgkmcnt(0)
	v_mul_f32_e32 v10, v3, v7
	v_mul_f32_e32 v11, v2, v7
	v_fma_f32 v10, v2, v6, -v10
	v_fmac_f32_e32 v11, v3, v6
	v_add_f32_e32 v35, v35, v10
	v_mul_f32_e32 v10, v3, v9
	v_add_f32_e32 v54, v54, v11
	v_fma_f32 v10, v2, v8, -v10
	v_mul_f32_e32 v2, v2, v9
	v_fmac_f32_e32 v2, v3, v8
	v_add_f32_e32 v3, v57, v10
	ds_read_b128 v[10:13], v44 offset:4288
	v_add_f32_e32 v2, v58, v2
	s_waitcnt lgkmcnt(0)
	v_mul_f32_e32 v57, v11, v7
	v_mul_f32_e32 v7, v10, v7
	v_fma_f32 v57, v10, v6, -v57
	v_fmac_f32_e32 v7, v11, v6
	v_mul_f32_e32 v6, v11, v9
	v_add_f32_e32 v55, v55, v57
	v_add_f32_e32 v56, v56, v7
	v_mul_f32_e32 v7, v10, v9
	v_fma_f32 v6, v10, v8, -v6
	v_fmac_f32_e32 v7, v11, v8
	v_add_f32_e32 v10, v59, v6
	v_add_f32_e32 v11, v60, v7
	ds_read2_b64 v[6:9], v51 offset0:32 offset1:48
	s_waitcnt lgkmcnt(0)
	v_mul_f32_e32 v57, v5, v7
	v_mul_f32_e32 v58, v4, v7
	v_fma_f32 v57, v4, v6, -v57
	v_fmac_f32_e32 v58, v5, v6
	v_add_f32_e32 v35, v35, v57
	v_mul_f32_e32 v57, v5, v9
	v_add_f32_e32 v54, v54, v58
	v_fma_f32 v57, v4, v8, -v57
	v_mul_f32_e32 v4, v4, v9
	v_add_f32_e32 v57, v3, v57
	v_fmac_f32_e32 v4, v5, v8
	v_mul_f32_e32 v3, v12, v7
	v_add_f32_e32 v58, v2, v4
	v_mul_f32_e32 v2, v13, v7
	v_fmac_f32_e32 v3, v13, v6
	v_fma_f32 v2, v12, v6, -v2
	v_add_f32_e32 v56, v56, v3
	v_mul_f32_e32 v3, v12, v9
	v_add_f32_e32 v55, v55, v2
	v_mul_f32_e32 v2, v13, v9
	v_fmac_f32_e32 v3, v13, v8
	v_fma_f32 v2, v12, v8, -v2
	v_add_f32_e32 v60, v11, v3
	v_add_f32_e32 v59, v10, v2
	ds_read_b128 v[2:5], v44 offset:208
	ds_read2_b64 v[6:9], v51 offset0:64 offset1:80
	s_waitcnt lgkmcnt(0)
	v_mul_f32_e32 v10, v3, v7
	v_mul_f32_e32 v11, v2, v7
	v_fma_f32 v10, v2, v6, -v10
	v_fmac_f32_e32 v11, v3, v6
	v_add_f32_e32 v35, v35, v10
	v_mul_f32_e32 v10, v3, v9
	v_add_f32_e32 v54, v54, v11
	v_fma_f32 v10, v2, v8, -v10
	v_mul_f32_e32 v2, v2, v9
	v_fmac_f32_e32 v2, v3, v8
	v_add_f32_e32 v3, v57, v10
	ds_read_b128 v[10:13], v44 offset:4304
	v_add_f32_e32 v2, v58, v2
	s_waitcnt lgkmcnt(0)
	v_mul_f32_e32 v57, v11, v7
	v_mul_f32_e32 v7, v10, v7
	v_fma_f32 v57, v10, v6, -v57
	v_fmac_f32_e32 v7, v11, v6
	v_mul_f32_e32 v6, v11, v9
	v_add_f32_e32 v55, v55, v57
	v_add_f32_e32 v56, v56, v7
	v_mul_f32_e32 v7, v10, v9
	v_fma_f32 v6, v10, v8, -v6
	v_fmac_f32_e32 v7, v11, v8
	v_add_f32_e32 v10, v59, v6
	v_add_f32_e32 v11, v60, v7
	ds_read2_b64 v[6:9], v51 offset0:96 offset1:112
	s_waitcnt lgkmcnt(0)
	v_mul_f32_e32 v57, v5, v7
	v_mul_f32_e32 v58, v4, v7
	v_fma_f32 v57, v4, v6, -v57
	v_fmac_f32_e32 v58, v5, v6
	v_add_f32_e32 v35, v35, v57
	v_mul_f32_e32 v57, v5, v9
	v_add_f32_e32 v54, v54, v58
	v_fma_f32 v57, v4, v8, -v57
	v_mul_f32_e32 v4, v4, v9
	v_add_f32_e32 v57, v3, v57
	v_fmac_f32_e32 v4, v5, v8
	v_mul_f32_e32 v3, v12, v7
	v_add_f32_e32 v58, v2, v4
	v_mul_f32_e32 v2, v13, v7
	v_fmac_f32_e32 v3, v13, v6
	v_fma_f32 v2, v12, v6, -v2
	v_add_f32_e32 v56, v56, v3
	v_mul_f32_e32 v3, v12, v9
	v_add_f32_e32 v55, v55, v2
	v_mul_f32_e32 v2, v13, v9
	v_fmac_f32_e32 v3, v13, v8
	v_fma_f32 v2, v12, v8, -v2
	v_add_f32_e32 v60, v11, v3
	v_add_f32_e32 v59, v10, v2
	ds_read_b128 v[2:5], v44 offset:224
	ds_read2_b64 v[6:9], v51 offset0:128 offset1:144
	;; [unrolled: 55-line block ×3, first 2 shown]
	s_waitcnt lgkmcnt(0)
	v_mul_f32_e32 v10, v3, v7
	v_mul_f32_e32 v11, v2, v7
	v_fma_f32 v10, v2, v6, -v10
	v_fmac_f32_e32 v11, v3, v6
	v_add_f32_e32 v35, v35, v10
	v_mul_f32_e32 v10, v3, v9
	v_add_f32_e32 v54, v54, v11
	v_fma_f32 v10, v2, v8, -v10
	v_mul_f32_e32 v2, v2, v9
	v_fmac_f32_e32 v2, v3, v8
	v_add_f32_e32 v3, v57, v10
	ds_read_b128 v[10:13], v44 offset:4336
	v_add_f32_e32 v2, v58, v2
	s_waitcnt lgkmcnt(0)
	v_mul_f32_e32 v57, v11, v7
	v_mul_f32_e32 v7, v10, v7
	v_fma_f32 v57, v10, v6, -v57
	v_fmac_f32_e32 v7, v11, v6
	v_mul_f32_e32 v6, v11, v9
	v_add_f32_e32 v55, v55, v57
	v_add_f32_e32 v61, v56, v7
	v_mul_f32_e32 v7, v10, v9
	v_fma_f32 v6, v10, v8, -v6
	v_fmac_f32_e32 v7, v11, v8
	v_add_f32_e32 v10, v59, v6
	v_add_f32_e32 v11, v60, v7
	ds_read2_b64 v[6:9], v51 offset0:224 offset1:240
	s_waitcnt lgkmcnt(0)
	s_barrier
	buffer_gl0_inv
	v_mul_f32_e32 v56, v5, v7
	v_mul_f32_e32 v57, v4, v7
	v_fma_f32 v56, v4, v6, -v56
	v_fmac_f32_e32 v57, v5, v6
	v_add_f32_e32 v59, v35, v56
	v_mul_f32_e32 v35, v5, v9
	v_add_f32_e32 v60, v54, v57
	v_fma_f32 v35, v4, v8, -v35
	v_mul_f32_e32 v4, v4, v9
	v_add_f32_e32 v57, v3, v35
	v_fmac_f32_e32 v4, v5, v8
	v_mul_f32_e32 v3, v12, v7
	v_add_f32_e32 v58, v2, v4
	v_mul_f32_e32 v2, v13, v7
	v_fmac_f32_e32 v3, v13, v6
	v_fma_f32 v2, v12, v6, -v2
	v_add_f32_e32 v56, v55, v2
	v_add_f32_e32 v55, v61, v3
	v_mul_f32_e32 v2, v13, v9
	v_mul_f32_e32 v3, v12, v9
	v_fma_f32 v2, v12, v8, -v2
	v_fmac_f32_e32 v3, v13, v8
	v_add_f32_e32 v54, v10, v2
	v_add_f32_e32 v35, v11, v3
	s_cbranch_scc1 .LBB81_56
.LBB81_7:                               ;   Parent Loop BB81_4 Depth=1
                                        ; =>  This Inner Loop Header: Depth=2
	v_add_co_u32 v4, s5, v14, s18
	v_add_co_ci_u32_e64 v5, null, s19, v15, s5
	v_cmp_eq_u64_e64 s8, s[18:19], v[22:23]
	v_cmp_le_i64_e64 s6, s[10:11], v[4:5]
	v_cmp_lt_i64_e64 s5, v[4:5], v[16:17]
	s_and_b32 s23, s28, s8
	v_add_co_u32 v2, s8, v45, s16
	v_add_co_ci_u32_e64 v3, null, s17, v46, s8
	s_or_b32 s9, s6, s5
	s_or_b32 s8, s9, s23
	s_nor_b32 s8, s0, s8
	s_and_saveexec_b32 s9, s8
	s_xor_b32 s8, exec_lo, s9
	s_cbranch_execz .LBB81_9
; %bb.8:                                ;   in Loop: Header=BB81_7 Depth=2
	global_load_dwordx2 v[6:7], v[2:3], off
	s_waitcnt vmcnt(0)
	v_xor_b32_e32 v7, 0x80000000, v7
	ds_write_b64 v43, v[6:7]
.LBB81_9:                               ;   in Loop: Header=BB81_7 Depth=2
	s_or_saveexec_b32 s8, s8
	s_xor_b32 s22, s23, -1
	s_xor_b32 exec_lo, exec_lo, s8
	s_cbranch_execz .LBB81_15
; %bb.10:                               ;   in Loop: Header=BB81_7 Depth=2
	s_and_saveexec_b32 s9, s22
	s_xor_b32 s9, exec_lo, s9
; %bb.11:                               ;   in Loop: Header=BB81_7 Depth=2
	v_mov_b32_e32 v6, v37
	v_mov_b32_e32 v7, v37
	ds_write_b64 v43, v[6:7]
; %bb.12:                               ;   in Loop: Header=BB81_7 Depth=2
	s_andn2_saveexec_b32 s9, s9
; %bb.13:                               ;   in Loop: Header=BB81_7 Depth=2
	ds_write_b64 v43, v[36:37]
; %bb.14:                               ;   in Loop: Header=BB81_7 Depth=2
	s_or_b32 exec_lo, exec_lo, s9
.LBB81_15:                              ;   in Loop: Header=BB81_7 Depth=2
	s_or_b32 exec_lo, exec_lo, s8
	v_cmp_eq_u64_e64 s8, s[18:19], v[26:27]
	v_cmp_gt_i64_e64 s9, v[20:21], v[4:5]
	s_and_b32 s8, s28, s8
	s_or_b32 s6, s6, s9
	s_or_b32 s6, s6, s8
	s_nor_b32 s6, s3, s6
	s_and_saveexec_b32 s9, s6
	s_xor_b32 s9, exec_lo, s9
	s_cbranch_execz .LBB81_17
; %bb.16:                               ;   in Loop: Header=BB81_7 Depth=2
	v_add_co_u32 v6, s6, v47, s16
	v_add_co_ci_u32_e64 v7, null, s17, v48, s6
	global_load_dwordx2 v[6:7], v[6:7], off
	s_waitcnt vmcnt(0)
	v_xor_b32_e32 v7, 0x80000000, v7
	ds_write_b64 v43, v[6:7] offset:128
.LBB81_17:                              ;   in Loop: Header=BB81_7 Depth=2
	s_andn2_saveexec_b32 s6, s9
	s_cbranch_execz .LBB81_23
; %bb.18:                               ;   in Loop: Header=BB81_7 Depth=2
	s_xor_b32 s8, s8, -1
	s_and_saveexec_b32 s9, s8
	s_xor_b32 s8, exec_lo, s9
; %bb.19:                               ;   in Loop: Header=BB81_7 Depth=2
	v_mov_b32_e32 v6, v37
	v_mov_b32_e32 v7, v37
	ds_write_b64 v43, v[6:7] offset:128
; %bb.20:                               ;   in Loop: Header=BB81_7 Depth=2
	s_andn2_saveexec_b32 s8, s8
; %bb.21:                               ;   in Loop: Header=BB81_7 Depth=2
	ds_write_b64 v43, v[36:37] offset:128
; %bb.22:                               ;   in Loop: Header=BB81_7 Depth=2
	s_or_b32 exec_lo, exec_lo, s8
.LBB81_23:                              ;   in Loop: Header=BB81_7 Depth=2
	s_or_b32 exec_lo, exec_lo, s6
	v_add_co_u32 v4, s6, v4, 16
	v_add_co_ci_u32_e64 v5, null, 0, v5, s6
	v_cmp_eq_u64_e64 s8, s[18:19], v[28:29]
	v_cmp_le_i64_e64 s6, s[10:11], v[4:5]
	v_cmp_lt_i64_e64 s9, v[4:5], v[16:17]
	s_and_b32 s26, s28, s8
	s_or_b32 s8, s6, s9
	s_or_b32 s8, s8, s26
	s_nor_b32 s8, s0, s8
	s_and_saveexec_b32 s9, s8
	s_xor_b32 s8, exec_lo, s9
	s_cbranch_execz .LBB81_25
; %bb.24:                               ;   in Loop: Header=BB81_7 Depth=2
	global_load_dwordx2 v[2:3], v[2:3], off offset:128
	s_waitcnt vmcnt(0)
	v_xor_b32_e32 v3, 0x80000000, v3
	ds_write_b64 v43, v[2:3] offset:4096
.LBB81_25:                              ;   in Loop: Header=BB81_7 Depth=2
	s_andn2_saveexec_b32 s8, s8
	s_cbranch_execz .LBB81_31
; %bb.26:                               ;   in Loop: Header=BB81_7 Depth=2
	s_xor_b32 s9, s26, -1
	s_and_saveexec_b32 s26, s9
	s_xor_b32 s9, exec_lo, s26
; %bb.27:                               ;   in Loop: Header=BB81_7 Depth=2
	v_mov_b32_e32 v2, v37
	v_mov_b32_e32 v3, v37
	ds_write_b64 v43, v[2:3] offset:4096
; %bb.28:                               ;   in Loop: Header=BB81_7 Depth=2
	s_andn2_saveexec_b32 s9, s9
; %bb.29:                               ;   in Loop: Header=BB81_7 Depth=2
	ds_write_b64 v43, v[36:37] offset:4096
; %bb.30:                               ;   in Loop: Header=BB81_7 Depth=2
	s_or_b32 exec_lo, exec_lo, s9
.LBB81_31:                              ;   in Loop: Header=BB81_7 Depth=2
	s_or_b32 exec_lo, exec_lo, s8
	s_or_b32 s5, s6, s5
	s_or_b32 s5, s5, s23
	s_nor_b32 s5, s3, s5
	s_and_saveexec_b32 s6, s5
	s_xor_b32 s6, exec_lo, s6
	s_cbranch_execz .LBB81_33
; %bb.32:                               ;   in Loop: Header=BB81_7 Depth=2
	v_add_co_u32 v2, s5, v47, s16
	v_add_co_ci_u32_e64 v3, null, s17, v48, s5
	global_load_dwordx2 v[2:3], v[2:3], off offset:128
	s_waitcnt vmcnt(0)
	v_xor_b32_e32 v3, 0x80000000, v3
	ds_write_b64 v43, v[2:3] offset:4224
.LBB81_33:                              ;   in Loop: Header=BB81_7 Depth=2
	s_andn2_saveexec_b32 s5, s6
	s_cbranch_execz .LBB81_39
; %bb.34:                               ;   in Loop: Header=BB81_7 Depth=2
	s_and_saveexec_b32 s6, s22
	s_xor_b32 s6, exec_lo, s6
; %bb.35:                               ;   in Loop: Header=BB81_7 Depth=2
	v_mov_b32_e32 v2, v37
	v_mov_b32_e32 v3, v37
	ds_write_b64 v43, v[2:3] offset:4224
; %bb.36:                               ;   in Loop: Header=BB81_7 Depth=2
	s_andn2_saveexec_b32 s6, s6
; %bb.37:                               ;   in Loop: Header=BB81_7 Depth=2
	ds_write_b64 v43, v[36:37] offset:4224
; %bb.38:                               ;   in Loop: Header=BB81_7 Depth=2
	s_or_b32 exec_lo, exec_lo, s6
.LBB81_39:                              ;   in Loop: Header=BB81_7 Depth=2
	s_or_b32 exec_lo, exec_lo, s5
	v_add_co_u32 v2, s5, v16, s18
	v_add_co_ci_u32_e64 v3, null, s19, v17, s5
	v_cmp_gt_i64_e64 s5, s[10:11], v[2:3]
	s_and_b32 s6, vcc_lo, s5
	s_xor_b32 s6, s6, -1
	s_and_saveexec_b32 s8, s6
	s_xor_b32 s6, exec_lo, s8
; %bb.40:                               ;   in Loop: Header=BB81_7 Depth=2
	v_mov_b32_e32 v4, v37
	v_mov_b32_e32 v5, v37
	ds_write_b64 v0, v[4:5]
; %bb.41:                               ;   in Loop: Header=BB81_7 Depth=2
	s_or_saveexec_b32 s8, s6
	v_add_co_u32 v4, s6, v38, s16
	v_add_co_ci_u32_e64 v5, null, s17, v39, s6
	s_xor_b32 exec_lo, exec_lo, s8
	s_cbranch_execz .LBB81_43
; %bb.42:                               ;   in Loop: Header=BB81_7 Depth=2
	global_load_dwordx2 v[6:7], v[4:5], off offset:-128
	s_waitcnt vmcnt(0)
	ds_write_b64 v0, v[6:7]
.LBB81_43:                              ;   in Loop: Header=BB81_7 Depth=2
	s_or_b32 exec_lo, exec_lo, s8
	v_cmp_gt_i64_e64 s6, s[14:15], v[2:3]
	s_and_b32 s8, vcc_lo, s6
	s_xor_b32 s8, s8, -1
	s_and_saveexec_b32 s9, s8
	s_xor_b32 s8, exec_lo, s9
; %bb.44:                               ;   in Loop: Header=BB81_7 Depth=2
	v_mov_b32_e32 v2, v37
	v_mov_b32_e32 v3, v37
                                        ; implicit-def: $vgpr4_vgpr5
	ds_write_b64 v0, v[2:3] offset:128
; %bb.45:                               ;   in Loop: Header=BB81_7 Depth=2
	s_andn2_saveexec_b32 s8, s8
	s_cbranch_execz .LBB81_47
; %bb.46:                               ;   in Loop: Header=BB81_7 Depth=2
	global_load_dwordx2 v[2:3], v[4:5], off
	s_waitcnt vmcnt(0)
	ds_write_b64 v0, v[2:3] offset:128
.LBB81_47:                              ;   in Loop: Header=BB81_7 Depth=2
	s_or_b32 exec_lo, exec_lo, s8
	s_and_b32 s5, s4, s5
	s_xor_b32 s5, s5, -1
	s_and_saveexec_b32 s8, s5
	s_xor_b32 s5, exec_lo, s8
; %bb.48:                               ;   in Loop: Header=BB81_7 Depth=2
	v_mov_b32_e32 v2, v37
	v_mov_b32_e32 v3, v37
	ds_write_b64 v0, v[2:3] offset:4096
; %bb.49:                               ;   in Loop: Header=BB81_7 Depth=2
	s_or_saveexec_b32 s8, s5
	v_add_co_u32 v2, s5, v40, s16
	v_add_co_ci_u32_e64 v3, null, s17, v41, s5
	s_xor_b32 exec_lo, exec_lo, s8
	s_cbranch_execz .LBB81_51
; %bb.50:                               ;   in Loop: Header=BB81_7 Depth=2
	global_load_dwordx2 v[4:5], v[2:3], off
	s_waitcnt vmcnt(0)
	ds_write_b64 v0, v[4:5] offset:4096
.LBB81_51:                              ;   in Loop: Header=BB81_7 Depth=2
	s_or_b32 exec_lo, exec_lo, s8
	s_and_b32 s5, s4, s6
	s_xor_b32 s5, s5, -1
	s_and_saveexec_b32 s6, s5
	s_xor_b32 s5, exec_lo, s6
; %bb.52:                               ;   in Loop: Header=BB81_7 Depth=2
	v_mov_b32_e32 v2, v37
	v_mov_b32_e32 v3, v37
	ds_write_b64 v0, v[2:3] offset:4224
                                        ; implicit-def: $vgpr2_vgpr3
; %bb.53:                               ;   in Loop: Header=BB81_7 Depth=2
	s_andn2_saveexec_b32 s5, s5
	s_cbranch_execz .LBB81_6
; %bb.54:                               ;   in Loop: Header=BB81_7 Depth=2
	global_load_dwordx2 v[2:3], v[2:3], off offset:128
	s_waitcnt vmcnt(0)
	ds_write_b64 v0, v[2:3] offset:4224
	s_branch .LBB81_6
.LBB81_55:                              ;   in Loop: Header=BB81_4 Depth=1
	v_mov_b32_e32 v59, 0
	v_mov_b32_e32 v60, 0
	;; [unrolled: 1-line block ×8, first 2 shown]
.LBB81_56:                              ;   in Loop: Header=BB81_4 Depth=1
	v_mul_lo_u32 v4, s41, v52
	v_mul_lo_u32 v5, s40, v53
	v_mad_u64_u32 v[2:3], null, s40, v52, 0
	v_cmp_gt_i32_e32 vcc_lo, s30, v52
	v_add3_u32 v3, v3, v5, v4
	v_lshlrev_b64 v[2:3], 3, v[2:3]
	v_add_co_u32 v2, s4, s36, v2
	v_add_co_ci_u32_e64 v3, null, s37, v3, s4
	s_and_b32 s4, s1, vcc_lo
	s_and_saveexec_b32 s5, s4
	s_cbranch_execz .LBB81_58
; %bb.57:                               ;   in Loop: Header=BB81_4 Depth=1
	v_add_co_u32 v4, s4, v2, v24
	v_add_co_ci_u32_e64 v5, null, v3, v25, s4
	v_mul_f32_e32 v8, s33, v60
	v_mul_f32_e32 v9, s31, v60
	global_load_dwordx2 v[6:7], v[4:5], off
	v_fma_f32 v8, v59, s31, -v8
	v_fmac_f32_e32 v9, s33, v59
	s_waitcnt vmcnt(0)
	v_add_f32_e32 v6, v6, v8
	v_add_f32_e32 v7, v9, v7
	global_store_dwordx2 v[4:5], v[6:7], off
.LBB81_58:                              ;   in Loop: Header=BB81_4 Depth=1
	s_or_b32 exec_lo, exec_lo, s5
	s_and_b32 s5, s2, vcc_lo
	s_and_saveexec_b32 s4, s5
	s_cbranch_execz .LBB81_60
; %bb.59:                               ;   in Loop: Header=BB81_4 Depth=1
	v_lshlrev_b64 v[4:5], 3, v[18:19]
	v_mul_f32_e32 v6, s33, v58
	v_mul_f32_e32 v7, s31, v58
	v_fma_f32 v6, v57, s31, -v6
	v_add_co_u32 v2, vcc_lo, v2, v4
	v_add_co_ci_u32_e64 v3, null, v3, v5, vcc_lo
	v_fmac_f32_e32 v7, s33, v57
	global_load_dwordx2 v[4:5], v[2:3], off
	s_waitcnt vmcnt(0)
	v_add_f32_e32 v4, v4, v6
	v_add_f32_e32 v5, v7, v5
	global_store_dwordx2 v[2:3], v[4:5], off
.LBB81_60:                              ;   in Loop: Header=BB81_4 Depth=1
	s_or_b32 exec_lo, exec_lo, s4
	v_add_nc_u32_e32 v4, 16, v52
	v_ashrrev_i32_e32 v5, 31, v4
	v_mul_lo_u32 v6, s41, v4
	v_mad_u64_u32 v[2:3], null, s40, v4, 0
	v_cmp_gt_i32_e32 vcc_lo, s30, v4
	v_mul_lo_u32 v5, s40, v5
	v_add3_u32 v3, v3, v5, v6
	v_lshlrev_b64 v[2:3], 3, v[2:3]
	v_add_co_u32 v2, s4, s36, v2
	v_add_co_ci_u32_e64 v3, null, s37, v3, s4
	s_and_b32 s4, s1, vcc_lo
	s_and_saveexec_b32 s5, s4
	s_cbranch_execz .LBB81_62
; %bb.61:                               ;   in Loop: Header=BB81_4 Depth=1
	v_add_co_u32 v4, s4, v2, v24
	v_add_co_ci_u32_e64 v5, null, v3, v25, s4
	v_mul_f32_e32 v8, s33, v55
	v_mul_f32_e32 v9, s31, v55
	global_load_dwordx2 v[6:7], v[4:5], off
	v_fma_f32 v8, v56, s31, -v8
	v_fmac_f32_e32 v9, s33, v56
	s_waitcnt vmcnt(0)
	v_add_f32_e32 v6, v6, v8
	v_add_f32_e32 v7, v9, v7
	global_store_dwordx2 v[4:5], v[6:7], off
.LBB81_62:                              ;   in Loop: Header=BB81_4 Depth=1
	s_or_b32 exec_lo, exec_lo, s5
	s_and_b32 s5, s2, vcc_lo
	s_and_saveexec_b32 s4, s5
	s_cbranch_execz .LBB81_3
; %bb.63:                               ;   in Loop: Header=BB81_4 Depth=1
	v_lshlrev_b64 v[4:5], 3, v[18:19]
	v_mul_f32_e32 v6, s33, v35
	v_mul_f32_e32 v7, s31, v35
	v_fma_f32 v6, v54, s31, -v6
	v_add_co_u32 v2, vcc_lo, v2, v4
	v_add_co_ci_u32_e64 v3, null, v3, v5, vcc_lo
	v_fmac_f32_e32 v7, s33, v54
	global_load_dwordx2 v[4:5], v[2:3], off
	s_waitcnt vmcnt(0)
	v_add_f32_e32 v4, v4, v6
	v_add_f32_e32 v5, v7, v5
	global_store_dwordx2 v[2:3], v[4:5], off
	s_branch .LBB81_3
.LBB81_64:
	s_endpgm
	.section	.rodata,"a",@progbits
	.p2align	6, 0x0
	.amdhsa_kernel _ZL30rocblas_trmm_outofplace_kernelI19rocblas_complex_numIfELi32ELi2ELb1ELb0ELb1ELb1ES1_KS1_S1_Ev17rocblas_diagonal_iiT6_lPT7_lllS6_lllPT8_llli
		.amdhsa_group_segment_fixed_size 16384
		.amdhsa_private_segment_fixed_size 0
		.amdhsa_kernarg_size 392
		.amdhsa_user_sgpr_count 6
		.amdhsa_user_sgpr_private_segment_buffer 1
		.amdhsa_user_sgpr_dispatch_ptr 0
		.amdhsa_user_sgpr_queue_ptr 0
		.amdhsa_user_sgpr_kernarg_segment_ptr 1
		.amdhsa_user_sgpr_dispatch_id 0
		.amdhsa_user_sgpr_flat_scratch_init 0
		.amdhsa_user_sgpr_private_segment_size 0
		.amdhsa_wavefront_size32 1
		.amdhsa_uses_dynamic_stack 0
		.amdhsa_system_sgpr_private_segment_wavefront_offset 0
		.amdhsa_system_sgpr_workgroup_id_x 1
		.amdhsa_system_sgpr_workgroup_id_y 1
		.amdhsa_system_sgpr_workgroup_id_z 1
		.amdhsa_system_sgpr_workgroup_info 0
		.amdhsa_system_vgpr_workitem_id 1
		.amdhsa_next_free_vgpr 72
		.amdhsa_next_free_sgpr 46
		.amdhsa_reserve_vcc 1
		.amdhsa_reserve_flat_scratch 0
		.amdhsa_float_round_mode_32 0
		.amdhsa_float_round_mode_16_64 0
		.amdhsa_float_denorm_mode_32 3
		.amdhsa_float_denorm_mode_16_64 3
		.amdhsa_dx10_clamp 1
		.amdhsa_ieee_mode 1
		.amdhsa_fp16_overflow 0
		.amdhsa_workgroup_processor_mode 1
		.amdhsa_memory_ordered 1
		.amdhsa_forward_progress 1
		.amdhsa_shared_vgpr_count 0
		.amdhsa_exception_fp_ieee_invalid_op 0
		.amdhsa_exception_fp_denorm_src 0
		.amdhsa_exception_fp_ieee_div_zero 0
		.amdhsa_exception_fp_ieee_overflow 0
		.amdhsa_exception_fp_ieee_underflow 0
		.amdhsa_exception_fp_ieee_inexact 0
		.amdhsa_exception_int_div_zero 0
	.end_amdhsa_kernel
	.section	.text._ZL30rocblas_trmm_outofplace_kernelI19rocblas_complex_numIfELi32ELi2ELb1ELb0ELb1ELb1ES1_KS1_S1_Ev17rocblas_diagonal_iiT6_lPT7_lllS6_lllPT8_llli,"axG",@progbits,_ZL30rocblas_trmm_outofplace_kernelI19rocblas_complex_numIfELi32ELi2ELb1ELb0ELb1ELb1ES1_KS1_S1_Ev17rocblas_diagonal_iiT6_lPT7_lllS6_lllPT8_llli,comdat
.Lfunc_end81:
	.size	_ZL30rocblas_trmm_outofplace_kernelI19rocblas_complex_numIfELi32ELi2ELb1ELb0ELb1ELb1ES1_KS1_S1_Ev17rocblas_diagonal_iiT6_lPT7_lllS6_lllPT8_llli, .Lfunc_end81-_ZL30rocblas_trmm_outofplace_kernelI19rocblas_complex_numIfELi32ELi2ELb1ELb0ELb1ELb1ES1_KS1_S1_Ev17rocblas_diagonal_iiT6_lPT7_lllS6_lllPT8_llli
                                        ; -- End function
	.set _ZL30rocblas_trmm_outofplace_kernelI19rocblas_complex_numIfELi32ELi2ELb1ELb0ELb1ELb1ES1_KS1_S1_Ev17rocblas_diagonal_iiT6_lPT7_lllS6_lllPT8_llli.num_vgpr, 72
	.set _ZL30rocblas_trmm_outofplace_kernelI19rocblas_complex_numIfELi32ELi2ELb1ELb0ELb1ELb1ES1_KS1_S1_Ev17rocblas_diagonal_iiT6_lPT7_lllS6_lllPT8_llli.num_agpr, 0
	.set _ZL30rocblas_trmm_outofplace_kernelI19rocblas_complex_numIfELi32ELi2ELb1ELb0ELb1ELb1ES1_KS1_S1_Ev17rocblas_diagonal_iiT6_lPT7_lllS6_lllPT8_llli.numbered_sgpr, 46
	.set _ZL30rocblas_trmm_outofplace_kernelI19rocblas_complex_numIfELi32ELi2ELb1ELb0ELb1ELb1ES1_KS1_S1_Ev17rocblas_diagonal_iiT6_lPT7_lllS6_lllPT8_llli.num_named_barrier, 0
	.set _ZL30rocblas_trmm_outofplace_kernelI19rocblas_complex_numIfELi32ELi2ELb1ELb0ELb1ELb1ES1_KS1_S1_Ev17rocblas_diagonal_iiT6_lPT7_lllS6_lllPT8_llli.private_seg_size, 0
	.set _ZL30rocblas_trmm_outofplace_kernelI19rocblas_complex_numIfELi32ELi2ELb1ELb0ELb1ELb1ES1_KS1_S1_Ev17rocblas_diagonal_iiT6_lPT7_lllS6_lllPT8_llli.uses_vcc, 1
	.set _ZL30rocblas_trmm_outofplace_kernelI19rocblas_complex_numIfELi32ELi2ELb1ELb0ELb1ELb1ES1_KS1_S1_Ev17rocblas_diagonal_iiT6_lPT7_lllS6_lllPT8_llli.uses_flat_scratch, 0
	.set _ZL30rocblas_trmm_outofplace_kernelI19rocblas_complex_numIfELi32ELi2ELb1ELb0ELb1ELb1ES1_KS1_S1_Ev17rocblas_diagonal_iiT6_lPT7_lllS6_lllPT8_llli.has_dyn_sized_stack, 0
	.set _ZL30rocblas_trmm_outofplace_kernelI19rocblas_complex_numIfELi32ELi2ELb1ELb0ELb1ELb1ES1_KS1_S1_Ev17rocblas_diagonal_iiT6_lPT7_lllS6_lllPT8_llli.has_recursion, 0
	.set _ZL30rocblas_trmm_outofplace_kernelI19rocblas_complex_numIfELi32ELi2ELb1ELb0ELb1ELb1ES1_KS1_S1_Ev17rocblas_diagonal_iiT6_lPT7_lllS6_lllPT8_llli.has_indirect_call, 0
	.section	.AMDGPU.csdata,"",@progbits
; Kernel info:
; codeLenInByte = 6652
; TotalNumSgprs: 48
; NumVgprs: 72
; ScratchSize: 0
; MemoryBound: 0
; FloatMode: 240
; IeeeMode: 1
; LDSByteSize: 16384 bytes/workgroup (compile time only)
; SGPRBlocks: 0
; VGPRBlocks: 8
; NumSGPRsForWavesPerEU: 48
; NumVGPRsForWavesPerEU: 72
; Occupancy: 12
; WaveLimiterHint : 0
; COMPUTE_PGM_RSRC2:SCRATCH_EN: 0
; COMPUTE_PGM_RSRC2:USER_SGPR: 6
; COMPUTE_PGM_RSRC2:TRAP_HANDLER: 0
; COMPUTE_PGM_RSRC2:TGID_X_EN: 1
; COMPUTE_PGM_RSRC2:TGID_Y_EN: 1
; COMPUTE_PGM_RSRC2:TGID_Z_EN: 1
; COMPUTE_PGM_RSRC2:TIDIG_COMP_CNT: 1
	.section	.text._ZL30rocblas_trmm_outofplace_kernelI19rocblas_complex_numIfELi32ELi2ELb1ELb1ELb1ELb1EPKS1_S2_S1_Ev17rocblas_diagonal_iiT6_lPT7_lllS7_lllPT8_llli,"axG",@progbits,_ZL30rocblas_trmm_outofplace_kernelI19rocblas_complex_numIfELi32ELi2ELb1ELb1ELb1ELb1EPKS1_S2_S1_Ev17rocblas_diagonal_iiT6_lPT7_lllS7_lllPT8_llli,comdat
	.globl	_ZL30rocblas_trmm_outofplace_kernelI19rocblas_complex_numIfELi32ELi2ELb1ELb1ELb1ELb1EPKS1_S2_S1_Ev17rocblas_diagonal_iiT6_lPT7_lllS7_lllPT8_llli ; -- Begin function _ZL30rocblas_trmm_outofplace_kernelI19rocblas_complex_numIfELi32ELi2ELb1ELb1ELb1ELb1EPKS1_S2_S1_Ev17rocblas_diagonal_iiT6_lPT7_lllS7_lllPT8_llli
	.p2align	8
	.type	_ZL30rocblas_trmm_outofplace_kernelI19rocblas_complex_numIfELi32ELi2ELb1ELb1ELb1ELb1EPKS1_S2_S1_Ev17rocblas_diagonal_iiT6_lPT7_lllS7_lllPT8_llli,@function
_ZL30rocblas_trmm_outofplace_kernelI19rocblas_complex_numIfELi32ELi2ELb1ELb1ELb1ELb1EPKS1_S2_S1_Ev17rocblas_diagonal_iiT6_lPT7_lllS7_lllPT8_llli: ; @_ZL30rocblas_trmm_outofplace_kernelI19rocblas_complex_numIfELi32ELi2ELb1ELb1ELb1ELb1EPKS1_S2_S1_Ev17rocblas_diagonal_iiT6_lPT7_lllS7_lllPT8_llli
; %bb.0:
	s_load_dwordx16 s[12:27], s[4:5], 0x10
	s_waitcnt lgkmcnt(0)
	s_mul_i32 s0, s15, s8
	s_mul_hi_u32 s1, s14, s8
	s_add_i32 s1, s1, s0
	s_mul_i32 s0, s14, s8
	s_lshl_b64 s[0:1], s[0:1], 3
	s_add_u32 s0, s12, s0
	s_addc_u32 s1, s13, s1
	s_load_dwordx2 s[10:11], s[0:1], 0x0
	s_waitcnt lgkmcnt(0)
	s_or_b32 s0, s10, s11
	s_bitset0_b32 s0, 31
	s_cmp_eq_u32 s0, 0
	s_cbranch_scc1 .LBB82_63
; %bb.1:
	s_load_dwordx4 s[12:15], s[4:5], 0x0
	s_waitcnt lgkmcnt(0)
	s_add_i32 s0, s14, -1
	s_ashr_i32 s1, s0, 31
	s_lshr_b32 s1, s1, 27
	s_add_i32 s0, s0, s1
	s_ashr_i32 s15, s0, 5
	s_cmp_gt_i32 s7, s15
	s_cbranch_scc1 .LBB82_63
; %bb.2:
	s_clause 0x1
	s_load_dwordx4 s[28:31], s[4:5], 0x70
	s_load_dwordx8 s[36:43], s[4:5], 0x50
	s_mul_i32 s1, s23, s8
	s_mul_hi_u32 s2, s22, s8
	s_mul_i32 s0, s22, s8
	s_add_i32 s1, s2, s1
	s_load_dword s33, s[4:5], 0x8c
	s_lshl_b64 s[34:35], s[0:1], 3
	v_lshlrev_b32_e32 v2, 8, v1
	s_add_u32 s0, s16, s34
	s_addc_u32 s1, s17, s35
	s_lshl_b64 s[44:45], s[18:19], 3
	v_lshlrev_b32_e32 v40, 3, v0
	s_add_u32 s3, s0, s44
	s_addc_u32 s4, s1, s45
	v_add_nc_u32_e32 v42, 0x2000, v2
	v_lshlrev_b32_e32 v6, 3, v1
	v_add_nc_u32_e32 v41, v40, v2
	s_mov_b32 s18, s13
	v_mov_b32_e32 v15, 0
	s_waitcnt lgkmcnt(0)
	s_mul_i32 s1, s31, s8
	s_mul_hi_u32 s2, s30, s8
	s_mul_i32 s0, s30, s8
	s_add_i32 s1, s2, s1
	v_add_nc_u32_e32 v43, v42, v40
	s_lshl_b64 s[0:1], s[0:1], 3
	v_lshl_add_u32 v32, s7, 5, v1
	s_add_u32 s2, s40, s0
	s_addc_u32 s5, s41, s1
	s_lshl_b64 s[0:1], s[42:43], 3
	v_mov_b32_e32 v14, 1.0
	s_add_u32 s30, s2, s0
	s_addc_u32 s31, s5, s1
	s_lshl_b32 s40, s6, 5
	s_cmp_gt_i32 s6, -1
	v_add_nc_u32_e32 v16, s40, v0
	s_cselect_b32 s41, -1, 0
	s_cmpk_eq_i32 s12, 0x84
	v_add_nc_u32_e32 v48, 0x800, v40
	s_cselect_b32 s42, -1, 0
	v_ashrrev_i32_e32 v17, 31, v16
	v_mul_lo_u32 v4, s21, v16
	v_mad_u64_u32 v[2:3], null, s20, v16, 0
	v_add_co_u32 v18, vcc_lo, v16, 16
	v_mul_lo_u32 v5, s20, v17
	v_add_co_ci_u32_e64 v19, null, 0, v17, vcc_lo
	v_lshlrev_b64 v[22:23], 3, v[16:17]
	s_ashr_i32 s19, s13, 31
	s_ashr_i32 s43, s14, 31
	s_add_u32 s22, s13, -16
	s_addc_u32 s23, s19, -1
	v_add3_u32 v3, v3, v5, v4
	v_add_nc_u32_e32 v4, 16, v16
	v_cmp_le_i32_e64 s0, s13, v16
	v_cmp_gt_i32_e64 s1, s13, v16
	v_add_nc_u32_e32 v49, 0x1000, v40
	v_lshlrev_b64 v[2:3], 3, v[2:3]
	v_ashrrev_i32_e32 v5, 31, v4
	v_cmp_gt_i32_e64 s2, s13, v4
	v_add_nc_u32_e32 v50, 0x1800, v40
	v_add_co_u32 v2, vcc_lo, s3, v2
	v_add_co_ci_u32_e64 v3, null, s4, v3, vcc_lo
	s_add_u32 s4, s44, s34
	v_add_co_u32 v44, vcc_lo, v2, v6
	v_add_co_ci_u32_e64 v45, null, 0, v3, vcc_lo
	v_sub_co_u32 v20, vcc_lo, v16, v1
	v_subrev_co_ci_u32_e64 v21, null, 0, v17, vcc_lo
	s_addc_u32 s5, s45, s35
	v_add_co_u32 v24, vcc_lo, v20, 16
	v_add_co_ci_u32_e64 v25, null, 0, v21, vcc_lo
	v_add_co_u32 v7, vcc_lo, 0x80, v22
	v_add_co_ci_u32_e64 v8, null, 0, v23, vcc_lo
	v_add_co_u32 v26, vcc_lo, v20, -16
	v_mad_u64_u32 v[2:3], null, s20, v7, s[4:5]
	v_mul_lo_u32 v8, s20, v8
	v_mul_lo_u32 v7, s21, v7
	s_mul_i32 s4, s39, s8
	s_mul_hi_u32 s5, s38, s8
	v_add_co_ci_u32_e64 v27, null, -1, v21, vcc_lo
	s_add_i32 s5, s5, s4
	s_mul_i32 s4, s38, s8
	s_lshl_b64 s[8:9], s[26:27], 3
	s_lshl_b64 s[4:5], s[4:5], 3
	v_add3_u32 v3, v7, v3, v8
	s_add_u32 s4, s4, s8
	s_addc_u32 s5, s5, s9
	v_add_co_u32 v2, vcc_lo, v2, v6
	s_add_u32 s4, s24, s4
	v_add_co_ci_u32_e64 v3, null, 0, v3, vcc_lo
	s_addc_u32 s5, s25, s5
	v_add_co_u32 v28, s4, s4, v40
	v_add_co_ci_u32_e64 v29, null, s5, 0, s4
	v_add_co_u32 v46, vcc_lo, s16, v2
	v_add_co_ci_u32_e64 v47, null, s17, v3, vcc_lo
	v_add_co_u32 v30, vcc_lo, 0x80, v28
	v_cmp_le_i64_e64 s3, s[18:19], v[18:19]
	v_lshlrev_b64 v[34:35], 3, v[4:5]
	v_add_co_ci_u32_e64 v31, null, 0, v29, vcc_lo
	s_lshl_b64 s[12:13], s[36:37], 3
	s_lshl_b32 s24, s33, 5
	s_branch .LBB82_4
.LBB82_3:                               ;   in Loop: Header=BB82_4 Depth=1
	s_or_b32 exec_lo, exec_lo, s4
	v_add_nc_u32_e32 v32, s24, v32
	s_add_i32 s7, s33, s7
	s_cmp_le_i32 s7, s15
	s_cbranch_scc0 .LBB82_63
.LBB82_4:                               ; =>This Loop Header: Depth=1
                                        ;     Child Loop BB82_7 Depth 2
	v_lshl_add_u32 v51, s7, 5, v1
	v_mov_b32_e32 v58, v15
	v_mov_b32_e32 v59, v15
	;; [unrolled: 1-line block ×4, first 2 shown]
	v_ashrrev_i32_e32 v52, 31, v51
	v_mov_b32_e32 v55, v15
	v_mov_b32_e32 v54, v15
	;; [unrolled: 1-line block ×4, first 2 shown]
	s_andn2_b32 vcc_lo, exec_lo, s41
	s_cbranch_vccnz .LBB82_55
; %bb.5:                                ;   in Loop: Header=BB82_4 Depth=1
	v_ashrrev_i32_e32 v33, 31, v32
	v_mad_u64_u32 v[36:37], null, s12, v32, v[30:31]
	v_mul_lo_u32 v4, s13, v32
	v_mov_b32_e32 v53, 0
	v_lshlrev_b64 v[2:3], 3, v[32:33]
	v_mul_lo_u32 v7, s12, v33
	v_mov_b32_e32 v33, 0
	v_mov_b32_e32 v54, 0
	;; [unrolled: 1-line block ×4, first 2 shown]
	v_add_co_u32 v5, vcc_lo, 0x80, v2
	v_add_co_ci_u32_e64 v6, null, 0, v3, vcc_lo
	v_sub_co_u32 v2, vcc_lo, s14, v51
	v_mul_lo_u32 v8, s37, v5
	v_mul_lo_u32 v6, s36, v6
	v_mad_u64_u32 v[38:39], null, s36, v5, v[28:29]
	v_sub_co_ci_u32_e64 v3, null, s43, v52, vcc_lo
	v_add3_u32 v37, v4, v37, v7
	v_mov_b32_e32 v56, 0
	v_mov_b32_e32 v59, 0
	v_cmp_lt_i64_e64 s4, 16, v[2:3]
	v_add3_u32 v39, v8, v39, v6
	v_mov_b32_e32 v58, 0
	s_mov_b64 s[16:17], 0
	s_mov_b64 s[20:21], 0
	v_cmp_lt_i64_e32 vcc_lo, 0, v[2:3]
	s_branch .LBB82_7
.LBB82_6:                               ;   in Loop: Header=BB82_7 Depth=2
	s_or_b32 exec_lo, exec_lo, s5
	s_waitcnt lgkmcnt(0)
	s_barrier
	buffer_gl0_inv
	ds_read_b128 v[60:63], v42
	ds_read_b128 v[10:13], v42 offset:16
	ds_read_b128 v[6:9], v42 offset:32
	;; [unrolled: 1-line block ×3, first 2 shown]
	ds_read2_b64 v[64:67], v40 offset1:16
	s_add_u32 s20, s20, 32
	s_addc_u32 s21, s21, 0
	s_add_u32 s16, s16, 0x100
	s_addc_u32 s17, s17, 0
	s_sub_i32 s5, s20, 32
	s_cmp_ge_i32 s5, s40
	s_waitcnt lgkmcnt(0)
	v_mul_f32_e32 v68, v61, v65
	v_mul_f32_e32 v69, v60, v65
	v_fma_f32 v68, v60, v64, -v68
	v_fmac_f32_e32 v69, v61, v64
	v_add_f32_e32 v68, v58, v68
	v_add_f32_e32 v69, v59, v69
	v_mul_f32_e32 v58, v61, v67
	v_mul_f32_e32 v59, v60, v67
	v_fma_f32 v58, v60, v66, -v58
	v_fmac_f32_e32 v59, v61, v66
	v_add_f32_e32 v60, v56, v58
	v_add_f32_e32 v61, v57, v59
	ds_read_b128 v[56:59], v42 offset:4096
	s_waitcnt lgkmcnt(0)
	v_mul_f32_e32 v70, v57, v65
	v_mul_f32_e32 v65, v56, v65
	v_fma_f32 v70, v56, v64, -v70
	v_fmac_f32_e32 v65, v57, v64
	v_add_f32_e32 v64, v55, v70
	v_add_f32_e32 v65, v54, v65
	v_mul_f32_e32 v54, v57, v67
	v_mul_f32_e32 v55, v56, v67
	v_fma_f32 v54, v56, v66, -v54
	v_fmac_f32_e32 v55, v57, v66
	v_add_f32_e32 v57, v53, v54
	v_add_f32_e32 v33, v33, v55
	ds_read2_b64 v[53:56], v40 offset0:32 offset1:48
	s_waitcnt lgkmcnt(0)
	v_mul_f32_e32 v66, v63, v54
	v_mul_f32_e32 v67, v62, v54
	v_fma_f32 v66, v62, v53, -v66
	v_fmac_f32_e32 v67, v63, v53
	v_add_f32_e32 v66, v68, v66
	v_mul_f32_e32 v68, v63, v56
	v_add_f32_e32 v67, v69, v67
	v_fma_f32 v68, v62, v55, -v68
	v_mul_f32_e32 v62, v62, v56
	v_add_f32_e32 v60, v60, v68
	v_fmac_f32_e32 v62, v63, v55
	v_add_f32_e32 v61, v61, v62
	v_mul_f32_e32 v62, v59, v54
	v_mul_f32_e32 v54, v58, v54
	v_fma_f32 v62, v58, v53, -v62
	v_fmac_f32_e32 v54, v59, v53
	v_mul_f32_e32 v53, v59, v56
	v_add_f32_e32 v62, v64, v62
	v_add_f32_e32 v63, v65, v54
	v_mul_f32_e32 v54, v58, v56
	v_fma_f32 v53, v58, v55, -v53
	v_fmac_f32_e32 v54, v59, v55
	v_add_f32_e32 v64, v57, v53
	v_add_f32_e32 v33, v33, v54
	ds_read2_b64 v[53:56], v40 offset0:64 offset1:80
	s_waitcnt lgkmcnt(0)
	v_mul_f32_e32 v57, v11, v54
	v_mul_f32_e32 v58, v10, v54
	v_fma_f32 v57, v10, v53, -v57
	v_fmac_f32_e32 v58, v11, v53
	v_add_f32_e32 v65, v66, v57
	v_mul_f32_e32 v57, v11, v56
	v_add_f32_e32 v66, v67, v58
	v_fma_f32 v57, v10, v55, -v57
	v_mul_f32_e32 v10, v10, v56
	v_fmac_f32_e32 v10, v11, v55
	v_add_f32_e32 v11, v60, v57
	ds_read_b128 v[57:60], v42 offset:4112
	v_add_f32_e32 v10, v61, v10
	s_waitcnt lgkmcnt(0)
	v_mul_f32_e32 v61, v58, v54
	v_mul_f32_e32 v54, v57, v54
	v_fma_f32 v61, v57, v53, -v61
	v_fmac_f32_e32 v54, v58, v53
	v_mul_f32_e32 v53, v58, v56
	v_add_f32_e32 v61, v62, v61
	v_add_f32_e32 v62, v63, v54
	v_mul_f32_e32 v54, v57, v56
	v_fma_f32 v53, v57, v55, -v53
	v_fmac_f32_e32 v54, v58, v55
	v_add_f32_e32 v57, v64, v53
	v_add_f32_e32 v33, v33, v54
	ds_read2_b64 v[53:56], v40 offset0:96 offset1:112
	s_waitcnt lgkmcnt(0)
	v_mul_f32_e32 v58, v13, v54
	v_mul_f32_e32 v64, v13, v56
	;; [unrolled: 1-line block ×3, first 2 shown]
	v_fma_f32 v58, v12, v53, -v58
	v_fma_f32 v64, v12, v55, -v64
	v_mul_f32_e32 v12, v12, v56
	v_fmac_f32_e32 v63, v13, v53
	v_add_f32_e32 v58, v65, v58
	v_add_f32_e32 v64, v11, v64
	v_fmac_f32_e32 v12, v13, v55
	v_mul_f32_e32 v11, v59, v54
	v_add_f32_e32 v63, v66, v63
	v_add_f32_e32 v65, v10, v12
	v_mul_f32_e32 v10, v60, v54
	v_fmac_f32_e32 v11, v60, v53
	v_fma_f32 v10, v59, v53, -v10
	v_add_f32_e32 v62, v62, v11
	v_mul_f32_e32 v11, v59, v56
	v_add_f32_e32 v61, v61, v10
	v_mul_f32_e32 v10, v60, v56
	v_fmac_f32_e32 v11, v60, v55
	v_fma_f32 v10, v59, v55, -v10
	v_add_f32_e32 v33, v33, v11
	v_add_f32_e32 v57, v57, v10
	ds_read2_b64 v[10:13], v40 offset0:128 offset1:144
	s_waitcnt lgkmcnt(0)
	v_mul_f32_e32 v53, v7, v11
	v_mul_f32_e32 v54, v6, v11
	v_fma_f32 v53, v6, v10, -v53
	v_fmac_f32_e32 v54, v7, v10
	v_add_f32_e32 v58, v58, v53
	v_mul_f32_e32 v53, v7, v13
	v_add_f32_e32 v59, v63, v54
	v_fma_f32 v53, v6, v12, -v53
	v_mul_f32_e32 v6, v6, v13
	v_fmac_f32_e32 v6, v7, v12
	v_add_f32_e32 v7, v64, v53
	ds_read_b128 v[53:56], v42 offset:4128
	v_add_f32_e32 v6, v65, v6
	s_waitcnt lgkmcnt(0)
	v_mul_f32_e32 v60, v54, v11
	v_mul_f32_e32 v11, v53, v11
	v_fma_f32 v60, v53, v10, -v60
	v_fmac_f32_e32 v11, v54, v10
	v_mul_f32_e32 v10, v54, v13
	v_add_f32_e32 v60, v61, v60
	v_add_f32_e32 v61, v62, v11
	v_mul_f32_e32 v11, v53, v13
	v_fma_f32 v10, v53, v12, -v10
	v_fmac_f32_e32 v11, v54, v12
	v_add_f32_e32 v53, v57, v10
	v_add_f32_e32 v33, v33, v11
	ds_read2_b64 v[10:13], v40 offset0:160 offset1:176
	s_waitcnt lgkmcnt(0)
	v_mul_f32_e32 v54, v9, v11
	v_mul_f32_e32 v57, v8, v11
	v_fma_f32 v54, v8, v10, -v54
	v_fmac_f32_e32 v57, v9, v10
	v_add_f32_e32 v54, v58, v54
	v_mul_f32_e32 v58, v9, v13
	v_add_f32_e32 v57, v59, v57
	v_fma_f32 v58, v8, v12, -v58
	v_mul_f32_e32 v8, v8, v13
	v_add_f32_e32 v58, v7, v58
	v_fmac_f32_e32 v8, v9, v12
	v_mul_f32_e32 v7, v55, v11
	v_add_f32_e32 v59, v6, v8
	v_mul_f32_e32 v6, v56, v11
	v_fmac_f32_e32 v7, v56, v10
	v_fma_f32 v6, v55, v10, -v6
	v_add_f32_e32 v61, v61, v7
	v_mul_f32_e32 v7, v55, v13
	v_add_f32_e32 v60, v60, v6
	v_mul_f32_e32 v6, v56, v13
	v_fmac_f32_e32 v7, v56, v12
	v_fma_f32 v6, v55, v12, -v6
	v_add_f32_e32 v33, v33, v7
	v_add_f32_e32 v53, v53, v6
	ds_read2_b64 v[6:9], v40 offset0:192 offset1:208
	s_waitcnt lgkmcnt(0)
	v_mul_f32_e32 v10, v3, v7
	v_mul_f32_e32 v11, v2, v7
	v_fma_f32 v10, v2, v6, -v10
	v_fmac_f32_e32 v11, v3, v6
	v_add_f32_e32 v54, v54, v10
	v_mul_f32_e32 v10, v3, v9
	v_add_f32_e32 v55, v57, v11
	v_fma_f32 v10, v2, v8, -v10
	v_mul_f32_e32 v2, v2, v9
	v_fmac_f32_e32 v2, v3, v8
	v_add_f32_e32 v3, v58, v10
	ds_read_b128 v[10:13], v42 offset:4144
	v_add_f32_e32 v2, v59, v2
	s_waitcnt lgkmcnt(0)
	v_mul_f32_e32 v56, v11, v7
	v_mul_f32_e32 v7, v10, v7
	v_fma_f32 v56, v10, v6, -v56
	v_fmac_f32_e32 v7, v11, v6
	v_mul_f32_e32 v6, v11, v9
	v_add_f32_e32 v56, v60, v56
	v_add_f32_e32 v57, v61, v7
	v_mul_f32_e32 v7, v10, v9
	v_fma_f32 v6, v10, v8, -v6
	v_fmac_f32_e32 v7, v11, v8
	v_add_f32_e32 v10, v53, v6
	v_add_f32_e32 v11, v33, v7
	ds_read2_b64 v[6:9], v40 offset0:224 offset1:240
	s_waitcnt lgkmcnt(0)
	v_mul_f32_e32 v33, v5, v7
	v_mul_f32_e32 v53, v4, v7
	v_fma_f32 v33, v4, v6, -v33
	v_fmac_f32_e32 v53, v5, v6
	v_add_f32_e32 v33, v54, v33
	v_mul_f32_e32 v54, v5, v9
	v_add_f32_e32 v53, v55, v53
	v_fma_f32 v54, v4, v8, -v54
	v_mul_f32_e32 v4, v4, v9
	v_add_f32_e32 v54, v3, v54
	v_fmac_f32_e32 v4, v5, v8
	v_mul_f32_e32 v3, v12, v7
	v_add_f32_e32 v55, v2, v4
	v_mul_f32_e32 v2, v13, v7
	v_fmac_f32_e32 v3, v13, v6
	v_fma_f32 v2, v12, v6, -v2
	v_add_f32_e32 v57, v57, v3
	v_mul_f32_e32 v3, v12, v9
	v_add_f32_e32 v56, v56, v2
	v_mul_f32_e32 v2, v13, v9
	v_fmac_f32_e32 v3, v13, v8
	v_fma_f32 v2, v12, v8, -v2
	v_add_f32_e32 v59, v11, v3
	v_add_f32_e32 v58, v10, v2
	ds_read_b128 v[2:5], v42 offset:64
	ds_read2_b64 v[6:9], v48 offset1:16
	s_waitcnt lgkmcnt(0)
	v_mul_f32_e32 v10, v3, v7
	v_mul_f32_e32 v11, v2, v7
	v_fma_f32 v10, v2, v6, -v10
	v_fmac_f32_e32 v11, v3, v6
	v_add_f32_e32 v33, v33, v10
	v_mul_f32_e32 v10, v3, v9
	v_add_f32_e32 v53, v53, v11
	v_fma_f32 v10, v2, v8, -v10
	v_mul_f32_e32 v2, v2, v9
	v_fmac_f32_e32 v2, v3, v8
	v_add_f32_e32 v3, v54, v10
	ds_read_b128 v[10:13], v42 offset:4160
	v_add_f32_e32 v2, v55, v2
	s_waitcnt lgkmcnt(0)
	v_mul_f32_e32 v54, v11, v7
	v_mul_f32_e32 v7, v10, v7
	v_fma_f32 v54, v10, v6, -v54
	v_fmac_f32_e32 v7, v11, v6
	v_mul_f32_e32 v6, v11, v9
	v_add_f32_e32 v54, v56, v54
	v_add_f32_e32 v55, v57, v7
	v_mul_f32_e32 v7, v10, v9
	v_fma_f32 v6, v10, v8, -v6
	v_fmac_f32_e32 v7, v11, v8
	v_add_f32_e32 v10, v58, v6
	v_add_f32_e32 v11, v59, v7
	ds_read2_b64 v[6:9], v48 offset0:32 offset1:48
	s_waitcnt lgkmcnt(0)
	v_mul_f32_e32 v56, v5, v7
	v_mul_f32_e32 v57, v4, v7
	v_fma_f32 v56, v4, v6, -v56
	v_fmac_f32_e32 v57, v5, v6
	v_add_f32_e32 v33, v33, v56
	v_mul_f32_e32 v56, v5, v9
	v_add_f32_e32 v53, v53, v57
	v_fma_f32 v56, v4, v8, -v56
	v_mul_f32_e32 v4, v4, v9
	v_add_f32_e32 v56, v3, v56
	v_fmac_f32_e32 v4, v5, v8
	v_mul_f32_e32 v3, v12, v7
	v_add_f32_e32 v57, v2, v4
	v_mul_f32_e32 v2, v13, v7
	v_fmac_f32_e32 v3, v13, v6
	v_fma_f32 v2, v12, v6, -v2
	v_add_f32_e32 v55, v55, v3
	v_mul_f32_e32 v3, v12, v9
	v_add_f32_e32 v54, v54, v2
	v_mul_f32_e32 v2, v13, v9
	v_fmac_f32_e32 v3, v13, v8
	v_fma_f32 v2, v12, v8, -v2
	v_add_f32_e32 v59, v11, v3
	v_add_f32_e32 v58, v10, v2
	ds_read_b128 v[2:5], v42 offset:80
	ds_read2_b64 v[6:9], v48 offset0:64 offset1:80
	s_waitcnt lgkmcnt(0)
	v_mul_f32_e32 v10, v3, v7
	v_mul_f32_e32 v11, v2, v7
	v_fma_f32 v10, v2, v6, -v10
	v_fmac_f32_e32 v11, v3, v6
	v_add_f32_e32 v33, v33, v10
	v_mul_f32_e32 v10, v3, v9
	v_add_f32_e32 v53, v53, v11
	v_fma_f32 v10, v2, v8, -v10
	v_mul_f32_e32 v2, v2, v9
	v_fmac_f32_e32 v2, v3, v8
	v_add_f32_e32 v3, v56, v10
	ds_read_b128 v[10:13], v42 offset:4176
	v_add_f32_e32 v2, v57, v2
	s_waitcnt lgkmcnt(0)
	v_mul_f32_e32 v56, v11, v7
	v_mul_f32_e32 v7, v10, v7
	v_fma_f32 v56, v10, v6, -v56
	v_fmac_f32_e32 v7, v11, v6
	v_mul_f32_e32 v6, v11, v9
	v_add_f32_e32 v54, v54, v56
	v_add_f32_e32 v55, v55, v7
	v_mul_f32_e32 v7, v10, v9
	v_fma_f32 v6, v10, v8, -v6
	v_fmac_f32_e32 v7, v11, v8
	v_add_f32_e32 v10, v58, v6
	v_add_f32_e32 v11, v59, v7
	ds_read2_b64 v[6:9], v48 offset0:96 offset1:112
	s_waitcnt lgkmcnt(0)
	v_mul_f32_e32 v56, v5, v7
	v_mul_f32_e32 v57, v4, v7
	v_fma_f32 v56, v4, v6, -v56
	v_fmac_f32_e32 v57, v5, v6
	v_add_f32_e32 v33, v33, v56
	v_mul_f32_e32 v56, v5, v9
	v_add_f32_e32 v53, v53, v57
	v_fma_f32 v56, v4, v8, -v56
	v_mul_f32_e32 v4, v4, v9
	v_add_f32_e32 v56, v3, v56
	v_fmac_f32_e32 v4, v5, v8
	v_mul_f32_e32 v3, v12, v7
	v_add_f32_e32 v57, v2, v4
	v_mul_f32_e32 v2, v13, v7
	v_fmac_f32_e32 v3, v13, v6
	v_fma_f32 v2, v12, v6, -v2
	v_add_f32_e32 v55, v55, v3
	v_mul_f32_e32 v3, v12, v9
	v_add_f32_e32 v54, v54, v2
	v_mul_f32_e32 v2, v13, v9
	v_fmac_f32_e32 v3, v13, v8
	v_fma_f32 v2, v12, v8, -v2
	v_add_f32_e32 v59, v11, v3
	v_add_f32_e32 v58, v10, v2
	ds_read_b128 v[2:5], v42 offset:96
	ds_read2_b64 v[6:9], v48 offset0:128 offset1:144
	;; [unrolled: 55-line block ×3, first 2 shown]
	s_waitcnt lgkmcnt(0)
	v_mul_f32_e32 v10, v3, v7
	v_mul_f32_e32 v11, v2, v7
	v_fma_f32 v10, v2, v6, -v10
	v_fmac_f32_e32 v11, v3, v6
	v_add_f32_e32 v33, v33, v10
	v_mul_f32_e32 v10, v3, v9
	v_add_f32_e32 v53, v53, v11
	v_fma_f32 v10, v2, v8, -v10
	v_mul_f32_e32 v2, v2, v9
	v_fmac_f32_e32 v2, v3, v8
	v_add_f32_e32 v3, v56, v10
	ds_read_b128 v[10:13], v42 offset:4208
	v_add_f32_e32 v2, v57, v2
	s_waitcnt lgkmcnt(0)
	v_mul_f32_e32 v56, v11, v7
	v_mul_f32_e32 v7, v10, v7
	v_fma_f32 v56, v10, v6, -v56
	v_fmac_f32_e32 v7, v11, v6
	v_mul_f32_e32 v6, v11, v9
	v_add_f32_e32 v54, v54, v56
	v_add_f32_e32 v55, v55, v7
	v_mul_f32_e32 v7, v10, v9
	v_fma_f32 v6, v10, v8, -v6
	v_fmac_f32_e32 v7, v11, v8
	v_add_f32_e32 v10, v58, v6
	v_add_f32_e32 v11, v59, v7
	ds_read2_b64 v[6:9], v48 offset0:224 offset1:240
	s_waitcnt lgkmcnt(0)
	v_mul_f32_e32 v56, v5, v7
	v_mul_f32_e32 v57, v4, v7
	v_fma_f32 v56, v4, v6, -v56
	v_fmac_f32_e32 v57, v5, v6
	v_add_f32_e32 v33, v33, v56
	v_mul_f32_e32 v56, v5, v9
	v_add_f32_e32 v53, v53, v57
	v_fma_f32 v56, v4, v8, -v56
	v_mul_f32_e32 v4, v4, v9
	v_add_f32_e32 v56, v3, v56
	v_fmac_f32_e32 v4, v5, v8
	v_mul_f32_e32 v3, v12, v7
	v_add_f32_e32 v57, v2, v4
	v_mul_f32_e32 v2, v13, v7
	v_fmac_f32_e32 v3, v13, v6
	v_fma_f32 v2, v12, v6, -v2
	v_add_f32_e32 v55, v55, v3
	v_mul_f32_e32 v3, v12, v9
	v_add_f32_e32 v54, v54, v2
	v_mul_f32_e32 v2, v13, v9
	v_fmac_f32_e32 v3, v13, v8
	v_fma_f32 v2, v12, v8, -v2
	v_add_f32_e32 v59, v11, v3
	v_add_f32_e32 v58, v10, v2
	ds_read_b128 v[2:5], v42 offset:128
	ds_read2_b64 v[6:9], v49 offset1:16
	s_waitcnt lgkmcnt(0)
	v_mul_f32_e32 v10, v3, v7
	v_mul_f32_e32 v11, v2, v7
	v_fma_f32 v10, v2, v6, -v10
	v_fmac_f32_e32 v11, v3, v6
	v_add_f32_e32 v33, v33, v10
	v_mul_f32_e32 v10, v3, v9
	v_add_f32_e32 v53, v53, v11
	v_fma_f32 v10, v2, v8, -v10
	v_mul_f32_e32 v2, v2, v9
	v_fmac_f32_e32 v2, v3, v8
	v_add_f32_e32 v3, v56, v10
	ds_read_b128 v[10:13], v42 offset:4224
	v_add_f32_e32 v2, v57, v2
	s_waitcnt lgkmcnt(0)
	v_mul_f32_e32 v56, v11, v7
	v_mul_f32_e32 v7, v10, v7
	v_fma_f32 v56, v10, v6, -v56
	v_fmac_f32_e32 v7, v11, v6
	v_mul_f32_e32 v6, v11, v9
	v_add_f32_e32 v54, v54, v56
	v_add_f32_e32 v55, v55, v7
	v_mul_f32_e32 v7, v10, v9
	v_fma_f32 v6, v10, v8, -v6
	v_fmac_f32_e32 v7, v11, v8
	v_add_f32_e32 v10, v58, v6
	v_add_f32_e32 v11, v59, v7
	ds_read2_b64 v[6:9], v49 offset0:32 offset1:48
	s_waitcnt lgkmcnt(0)
	v_mul_f32_e32 v56, v5, v7
	v_mul_f32_e32 v57, v4, v7
	v_fma_f32 v56, v4, v6, -v56
	v_fmac_f32_e32 v57, v5, v6
	v_add_f32_e32 v33, v33, v56
	v_mul_f32_e32 v56, v5, v9
	v_add_f32_e32 v53, v53, v57
	v_fma_f32 v56, v4, v8, -v56
	v_mul_f32_e32 v4, v4, v9
	v_add_f32_e32 v56, v3, v56
	v_fmac_f32_e32 v4, v5, v8
	v_mul_f32_e32 v3, v12, v7
	v_add_f32_e32 v57, v2, v4
	v_mul_f32_e32 v2, v13, v7
	v_fmac_f32_e32 v3, v13, v6
	v_fma_f32 v2, v12, v6, -v2
	v_add_f32_e32 v55, v55, v3
	v_mul_f32_e32 v3, v12, v9
	v_add_f32_e32 v54, v54, v2
	v_mul_f32_e32 v2, v13, v9
	v_fmac_f32_e32 v3, v13, v8
	v_fma_f32 v2, v12, v8, -v2
	v_add_f32_e32 v59, v11, v3
	v_add_f32_e32 v58, v10, v2
	ds_read_b128 v[2:5], v42 offset:144
	ds_read2_b64 v[6:9], v49 offset0:64 offset1:80
	s_waitcnt lgkmcnt(0)
	v_mul_f32_e32 v10, v3, v7
	v_mul_f32_e32 v11, v2, v7
	v_fma_f32 v10, v2, v6, -v10
	v_fmac_f32_e32 v11, v3, v6
	v_add_f32_e32 v33, v33, v10
	v_mul_f32_e32 v10, v3, v9
	v_add_f32_e32 v53, v53, v11
	v_fma_f32 v10, v2, v8, -v10
	v_mul_f32_e32 v2, v2, v9
	v_fmac_f32_e32 v2, v3, v8
	v_add_f32_e32 v3, v56, v10
	ds_read_b128 v[10:13], v42 offset:4240
	v_add_f32_e32 v2, v57, v2
	s_waitcnt lgkmcnt(0)
	v_mul_f32_e32 v56, v11, v7
	v_mul_f32_e32 v7, v10, v7
	v_fma_f32 v56, v10, v6, -v56
	v_fmac_f32_e32 v7, v11, v6
	v_mul_f32_e32 v6, v11, v9
	v_add_f32_e32 v54, v54, v56
	v_add_f32_e32 v55, v55, v7
	v_mul_f32_e32 v7, v10, v9
	v_fma_f32 v6, v10, v8, -v6
	v_fmac_f32_e32 v7, v11, v8
	v_add_f32_e32 v10, v58, v6
	v_add_f32_e32 v11, v59, v7
	ds_read2_b64 v[6:9], v49 offset0:96 offset1:112
	s_waitcnt lgkmcnt(0)
	v_mul_f32_e32 v56, v5, v7
	v_mul_f32_e32 v57, v4, v7
	v_fma_f32 v56, v4, v6, -v56
	v_fmac_f32_e32 v57, v5, v6
	v_add_f32_e32 v33, v33, v56
	v_mul_f32_e32 v56, v5, v9
	v_add_f32_e32 v53, v53, v57
	v_fma_f32 v56, v4, v8, -v56
	v_mul_f32_e32 v4, v4, v9
	v_add_f32_e32 v56, v3, v56
	v_fmac_f32_e32 v4, v5, v8
	v_mul_f32_e32 v3, v12, v7
	v_add_f32_e32 v57, v2, v4
	v_mul_f32_e32 v2, v13, v7
	v_fmac_f32_e32 v3, v13, v6
	v_fma_f32 v2, v12, v6, -v2
	v_add_f32_e32 v55, v55, v3
	v_mul_f32_e32 v3, v12, v9
	v_add_f32_e32 v54, v54, v2
	v_mul_f32_e32 v2, v13, v9
	v_fmac_f32_e32 v3, v13, v8
	v_fma_f32 v2, v12, v8, -v2
	v_add_f32_e32 v59, v11, v3
	v_add_f32_e32 v58, v10, v2
	ds_read_b128 v[2:5], v42 offset:160
	ds_read2_b64 v[6:9], v49 offset0:128 offset1:144
	;; [unrolled: 55-line block ×3, first 2 shown]
	s_waitcnt lgkmcnt(0)
	v_mul_f32_e32 v10, v3, v7
	v_mul_f32_e32 v11, v2, v7
	v_fma_f32 v10, v2, v6, -v10
	v_fmac_f32_e32 v11, v3, v6
	v_add_f32_e32 v33, v33, v10
	v_mul_f32_e32 v10, v3, v9
	v_add_f32_e32 v53, v53, v11
	v_fma_f32 v10, v2, v8, -v10
	v_mul_f32_e32 v2, v2, v9
	v_fmac_f32_e32 v2, v3, v8
	v_add_f32_e32 v3, v56, v10
	ds_read_b128 v[10:13], v42 offset:4272
	v_add_f32_e32 v2, v57, v2
	s_waitcnt lgkmcnt(0)
	v_mul_f32_e32 v56, v11, v7
	v_mul_f32_e32 v7, v10, v7
	v_fma_f32 v56, v10, v6, -v56
	v_fmac_f32_e32 v7, v11, v6
	v_mul_f32_e32 v6, v11, v9
	v_add_f32_e32 v54, v54, v56
	v_add_f32_e32 v55, v55, v7
	v_mul_f32_e32 v7, v10, v9
	v_fma_f32 v6, v10, v8, -v6
	v_fmac_f32_e32 v7, v11, v8
	v_add_f32_e32 v10, v58, v6
	v_add_f32_e32 v11, v59, v7
	ds_read2_b64 v[6:9], v49 offset0:224 offset1:240
	s_waitcnt lgkmcnt(0)
	v_mul_f32_e32 v56, v5, v7
	v_mul_f32_e32 v57, v4, v7
	v_fma_f32 v56, v4, v6, -v56
	v_fmac_f32_e32 v57, v5, v6
	v_add_f32_e32 v33, v33, v56
	v_mul_f32_e32 v56, v5, v9
	v_add_f32_e32 v53, v53, v57
	v_fma_f32 v56, v4, v8, -v56
	v_mul_f32_e32 v4, v4, v9
	v_add_f32_e32 v56, v3, v56
	v_fmac_f32_e32 v4, v5, v8
	v_mul_f32_e32 v3, v12, v7
	v_add_f32_e32 v57, v2, v4
	v_mul_f32_e32 v2, v13, v7
	v_fmac_f32_e32 v3, v13, v6
	v_fma_f32 v2, v12, v6, -v2
	v_add_f32_e32 v55, v55, v3
	v_mul_f32_e32 v3, v12, v9
	v_add_f32_e32 v54, v54, v2
	v_mul_f32_e32 v2, v13, v9
	v_fmac_f32_e32 v3, v13, v8
	v_fma_f32 v2, v12, v8, -v2
	v_add_f32_e32 v59, v11, v3
	v_add_f32_e32 v58, v10, v2
	ds_read_b128 v[2:5], v42 offset:192
	ds_read2_b64 v[6:9], v50 offset1:16
	s_waitcnt lgkmcnt(0)
	v_mul_f32_e32 v10, v3, v7
	v_mul_f32_e32 v11, v2, v7
	v_fma_f32 v10, v2, v6, -v10
	v_fmac_f32_e32 v11, v3, v6
	v_add_f32_e32 v33, v33, v10
	v_mul_f32_e32 v10, v3, v9
	v_add_f32_e32 v53, v53, v11
	v_fma_f32 v10, v2, v8, -v10
	v_mul_f32_e32 v2, v2, v9
	v_fmac_f32_e32 v2, v3, v8
	v_add_f32_e32 v3, v56, v10
	ds_read_b128 v[10:13], v42 offset:4288
	v_add_f32_e32 v2, v57, v2
	s_waitcnt lgkmcnt(0)
	v_mul_f32_e32 v56, v11, v7
	v_mul_f32_e32 v7, v10, v7
	v_fma_f32 v56, v10, v6, -v56
	v_fmac_f32_e32 v7, v11, v6
	v_mul_f32_e32 v6, v11, v9
	v_add_f32_e32 v54, v54, v56
	v_add_f32_e32 v55, v55, v7
	v_mul_f32_e32 v7, v10, v9
	v_fma_f32 v6, v10, v8, -v6
	v_fmac_f32_e32 v7, v11, v8
	v_add_f32_e32 v10, v58, v6
	v_add_f32_e32 v11, v59, v7
	ds_read2_b64 v[6:9], v50 offset0:32 offset1:48
	s_waitcnt lgkmcnt(0)
	v_mul_f32_e32 v56, v5, v7
	v_mul_f32_e32 v57, v4, v7
	v_fma_f32 v56, v4, v6, -v56
	v_fmac_f32_e32 v57, v5, v6
	v_add_f32_e32 v33, v33, v56
	v_mul_f32_e32 v56, v5, v9
	v_add_f32_e32 v53, v53, v57
	v_fma_f32 v56, v4, v8, -v56
	v_mul_f32_e32 v4, v4, v9
	v_add_f32_e32 v56, v3, v56
	v_fmac_f32_e32 v4, v5, v8
	v_mul_f32_e32 v3, v12, v7
	v_add_f32_e32 v57, v2, v4
	v_mul_f32_e32 v2, v13, v7
	v_fmac_f32_e32 v3, v13, v6
	v_fma_f32 v2, v12, v6, -v2
	v_add_f32_e32 v55, v55, v3
	v_mul_f32_e32 v3, v12, v9
	v_add_f32_e32 v54, v54, v2
	v_mul_f32_e32 v2, v13, v9
	v_fmac_f32_e32 v3, v13, v8
	v_fma_f32 v2, v12, v8, -v2
	v_add_f32_e32 v59, v11, v3
	v_add_f32_e32 v58, v10, v2
	ds_read_b128 v[2:5], v42 offset:208
	ds_read2_b64 v[6:9], v50 offset0:64 offset1:80
	s_waitcnt lgkmcnt(0)
	v_mul_f32_e32 v10, v3, v7
	v_mul_f32_e32 v11, v2, v7
	v_fma_f32 v10, v2, v6, -v10
	v_fmac_f32_e32 v11, v3, v6
	v_add_f32_e32 v33, v33, v10
	v_mul_f32_e32 v10, v3, v9
	v_add_f32_e32 v53, v53, v11
	v_fma_f32 v10, v2, v8, -v10
	v_mul_f32_e32 v2, v2, v9
	v_fmac_f32_e32 v2, v3, v8
	v_add_f32_e32 v3, v56, v10
	ds_read_b128 v[10:13], v42 offset:4304
	v_add_f32_e32 v2, v57, v2
	s_waitcnt lgkmcnt(0)
	v_mul_f32_e32 v56, v11, v7
	v_mul_f32_e32 v7, v10, v7
	v_fma_f32 v56, v10, v6, -v56
	v_fmac_f32_e32 v7, v11, v6
	v_mul_f32_e32 v6, v11, v9
	v_add_f32_e32 v54, v54, v56
	v_add_f32_e32 v55, v55, v7
	v_mul_f32_e32 v7, v10, v9
	v_fma_f32 v6, v10, v8, -v6
	v_fmac_f32_e32 v7, v11, v8
	v_add_f32_e32 v10, v58, v6
	v_add_f32_e32 v11, v59, v7
	ds_read2_b64 v[6:9], v50 offset0:96 offset1:112
	s_waitcnt lgkmcnt(0)
	v_mul_f32_e32 v56, v5, v7
	v_mul_f32_e32 v57, v4, v7
	v_fma_f32 v56, v4, v6, -v56
	v_fmac_f32_e32 v57, v5, v6
	v_add_f32_e32 v33, v33, v56
	v_mul_f32_e32 v56, v5, v9
	v_add_f32_e32 v53, v53, v57
	v_fma_f32 v56, v4, v8, -v56
	v_mul_f32_e32 v4, v4, v9
	v_add_f32_e32 v56, v3, v56
	v_fmac_f32_e32 v4, v5, v8
	v_mul_f32_e32 v3, v12, v7
	v_add_f32_e32 v57, v2, v4
	v_mul_f32_e32 v2, v13, v7
	v_fmac_f32_e32 v3, v13, v6
	v_fma_f32 v2, v12, v6, -v2
	v_add_f32_e32 v55, v55, v3
	v_mul_f32_e32 v3, v12, v9
	v_add_f32_e32 v54, v54, v2
	v_mul_f32_e32 v2, v13, v9
	v_fmac_f32_e32 v3, v13, v8
	v_fma_f32 v2, v12, v8, -v2
	v_add_f32_e32 v59, v11, v3
	v_add_f32_e32 v58, v10, v2
	ds_read_b128 v[2:5], v42 offset:224
	ds_read2_b64 v[6:9], v50 offset0:128 offset1:144
	;; [unrolled: 55-line block ×3, first 2 shown]
	s_waitcnt lgkmcnt(0)
	v_mul_f32_e32 v10, v3, v7
	v_mul_f32_e32 v11, v2, v7
	v_fma_f32 v10, v2, v6, -v10
	v_fmac_f32_e32 v11, v3, v6
	v_add_f32_e32 v33, v33, v10
	v_mul_f32_e32 v10, v3, v9
	v_add_f32_e32 v53, v53, v11
	v_fma_f32 v10, v2, v8, -v10
	v_mul_f32_e32 v2, v2, v9
	v_fmac_f32_e32 v2, v3, v8
	v_add_f32_e32 v3, v56, v10
	ds_read_b128 v[10:13], v42 offset:4336
	v_add_f32_e32 v2, v57, v2
	s_waitcnt lgkmcnt(0)
	v_mul_f32_e32 v56, v11, v7
	v_mul_f32_e32 v7, v10, v7
	v_fma_f32 v56, v10, v6, -v56
	v_fmac_f32_e32 v7, v11, v6
	v_mul_f32_e32 v6, v11, v9
	v_add_f32_e32 v54, v54, v56
	v_add_f32_e32 v60, v55, v7
	v_mul_f32_e32 v7, v10, v9
	v_fma_f32 v6, v10, v8, -v6
	v_fmac_f32_e32 v7, v11, v8
	v_add_f32_e32 v10, v58, v6
	v_add_f32_e32 v11, v59, v7
	ds_read2_b64 v[6:9], v50 offset0:224 offset1:240
	s_waitcnt lgkmcnt(0)
	s_barrier
	buffer_gl0_inv
	v_mul_f32_e32 v55, v5, v7
	v_mul_f32_e32 v56, v4, v7
	v_fma_f32 v55, v4, v6, -v55
	v_fmac_f32_e32 v56, v5, v6
	v_add_f32_e32 v58, v33, v55
	v_mul_f32_e32 v33, v5, v9
	v_add_f32_e32 v59, v53, v56
	v_fma_f32 v33, v4, v8, -v33
	v_mul_f32_e32 v4, v4, v9
	v_add_f32_e32 v56, v3, v33
	v_fmac_f32_e32 v4, v5, v8
	v_mul_f32_e32 v3, v12, v7
	v_add_f32_e32 v57, v2, v4
	v_mul_f32_e32 v2, v13, v7
	v_fmac_f32_e32 v3, v13, v6
	v_fma_f32 v2, v12, v6, -v2
	v_add_f32_e32 v55, v54, v2
	v_add_f32_e32 v54, v60, v3
	v_mul_f32_e32 v2, v13, v9
	v_mul_f32_e32 v3, v12, v9
	v_fma_f32 v2, v12, v8, -v2
	v_fmac_f32_e32 v3, v13, v8
	v_add_f32_e32 v53, v10, v2
	v_add_f32_e32 v33, v11, v3
	s_cbranch_scc1 .LBB82_55
.LBB82_7:                               ;   Parent Loop BB82_4 Depth=1
                                        ; =>  This Inner Loop Header: Depth=2
	v_add_co_u32 v4, s5, v1, s20
	v_add_co_ci_u32_e64 v5, null, 0, s21, s5
	v_cmp_eq_u64_e64 s8, s[20:21], v[20:21]
	v_cmp_le_i64_e64 s6, s[18:19], v[4:5]
	v_cmp_gt_i64_e64 s5, v[4:5], v[16:17]
	s_and_b32 s26, s42, s8
	v_add_co_u32 v2, s8, v44, s16
	v_add_co_ci_u32_e64 v3, null, s17, v45, s8
	s_or_b32 s9, s6, s5
	s_or_b32 s8, s9, s26
	s_nor_b32 s8, s0, s8
	s_and_saveexec_b32 s9, s8
	s_xor_b32 s8, exec_lo, s9
	s_cbranch_execz .LBB82_9
; %bb.8:                                ;   in Loop: Header=BB82_7 Depth=2
	global_load_dwordx2 v[6:7], v[2:3], off
	s_waitcnt vmcnt(0)
	v_xor_b32_e32 v7, 0x80000000, v7
	ds_write_b64 v41, v[6:7]
.LBB82_9:                               ;   in Loop: Header=BB82_7 Depth=2
	s_or_saveexec_b32 s8, s8
	s_xor_b32 s25, s26, -1
	s_xor_b32 exec_lo, exec_lo, s8
	s_cbranch_execz .LBB82_15
; %bb.10:                               ;   in Loop: Header=BB82_7 Depth=2
	s_and_saveexec_b32 s9, s25
	s_xor_b32 s9, exec_lo, s9
; %bb.11:                               ;   in Loop: Header=BB82_7 Depth=2
	v_mov_b32_e32 v6, v15
	v_mov_b32_e32 v7, v15
	ds_write_b64 v41, v[6:7]
; %bb.12:                               ;   in Loop: Header=BB82_7 Depth=2
	s_andn2_saveexec_b32 s9, s9
; %bb.13:                               ;   in Loop: Header=BB82_7 Depth=2
	ds_write_b64 v41, v[14:15]
; %bb.14:                               ;   in Loop: Header=BB82_7 Depth=2
	s_or_b32 exec_lo, exec_lo, s9
.LBB82_15:                              ;   in Loop: Header=BB82_7 Depth=2
	s_or_b32 exec_lo, exec_lo, s8
	v_cmp_eq_u64_e64 s8, s[20:21], v[24:25]
	v_cmp_lt_i64_e64 s9, v[18:19], v[4:5]
	s_and_b32 s8, s42, s8
	s_or_b32 s6, s6, s9
	s_or_b32 s6, s6, s8
	s_nor_b32 s6, s3, s6
	s_and_saveexec_b32 s9, s6
	s_xor_b32 s9, exec_lo, s9
	s_cbranch_execz .LBB82_17
; %bb.16:                               ;   in Loop: Header=BB82_7 Depth=2
	v_add_co_u32 v6, s6, v46, s16
	v_add_co_ci_u32_e64 v7, null, s17, v47, s6
	global_load_dwordx2 v[6:7], v[6:7], off
	s_waitcnt vmcnt(0)
	v_xor_b32_e32 v7, 0x80000000, v7
	ds_write_b64 v41, v[6:7] offset:128
.LBB82_17:                              ;   in Loop: Header=BB82_7 Depth=2
	s_andn2_saveexec_b32 s6, s9
	s_cbranch_execz .LBB82_23
; %bb.18:                               ;   in Loop: Header=BB82_7 Depth=2
	s_xor_b32 s8, s8, -1
	s_and_saveexec_b32 s9, s8
	s_xor_b32 s8, exec_lo, s9
; %bb.19:                               ;   in Loop: Header=BB82_7 Depth=2
	v_mov_b32_e32 v6, v15
	v_mov_b32_e32 v7, v15
	ds_write_b64 v41, v[6:7] offset:128
; %bb.20:                               ;   in Loop: Header=BB82_7 Depth=2
	s_andn2_saveexec_b32 s8, s8
; %bb.21:                               ;   in Loop: Header=BB82_7 Depth=2
	ds_write_b64 v41, v[14:15] offset:128
; %bb.22:                               ;   in Loop: Header=BB82_7 Depth=2
	s_or_b32 exec_lo, exec_lo, s8
.LBB82_23:                              ;   in Loop: Header=BB82_7 Depth=2
	s_or_b32 exec_lo, exec_lo, s6
	v_add_co_u32 v4, s6, v4, 16
	v_add_co_ci_u32_e64 v5, null, 0, v5, s6
	v_cmp_eq_u64_e64 s8, s[20:21], v[26:27]
	v_cmp_le_i64_e64 s6, s[18:19], v[4:5]
	v_cmp_gt_i64_e64 s9, v[4:5], v[16:17]
	s_and_b32 s27, s42, s8
	s_or_b32 s8, s6, s9
	s_or_b32 s8, s8, s27
	s_nor_b32 s8, s0, s8
	s_and_saveexec_b32 s9, s8
	s_xor_b32 s8, exec_lo, s9
	s_cbranch_execz .LBB82_25
; %bb.24:                               ;   in Loop: Header=BB82_7 Depth=2
	global_load_dwordx2 v[2:3], v[2:3], off offset:128
	s_waitcnt vmcnt(0)
	v_xor_b32_e32 v3, 0x80000000, v3
	ds_write_b64 v41, v[2:3] offset:4096
.LBB82_25:                              ;   in Loop: Header=BB82_7 Depth=2
	s_andn2_saveexec_b32 s8, s8
	s_cbranch_execz .LBB82_31
; %bb.26:                               ;   in Loop: Header=BB82_7 Depth=2
	s_xor_b32 s9, s27, -1
	s_and_saveexec_b32 s27, s9
	s_xor_b32 s9, exec_lo, s27
; %bb.27:                               ;   in Loop: Header=BB82_7 Depth=2
	v_mov_b32_e32 v2, v15
	v_mov_b32_e32 v3, v15
	ds_write_b64 v41, v[2:3] offset:4096
; %bb.28:                               ;   in Loop: Header=BB82_7 Depth=2
	s_andn2_saveexec_b32 s9, s9
; %bb.29:                               ;   in Loop: Header=BB82_7 Depth=2
	ds_write_b64 v41, v[14:15] offset:4096
; %bb.30:                               ;   in Loop: Header=BB82_7 Depth=2
	s_or_b32 exec_lo, exec_lo, s9
.LBB82_31:                              ;   in Loop: Header=BB82_7 Depth=2
	s_or_b32 exec_lo, exec_lo, s8
	s_or_b32 s5, s6, s5
	s_or_b32 s5, s5, s26
	s_nor_b32 s5, s3, s5
	s_and_saveexec_b32 s6, s5
	s_xor_b32 s6, exec_lo, s6
	s_cbranch_execz .LBB82_33
; %bb.32:                               ;   in Loop: Header=BB82_7 Depth=2
	v_add_co_u32 v2, s5, v46, s16
	v_add_co_ci_u32_e64 v3, null, s17, v47, s5
	global_load_dwordx2 v[2:3], v[2:3], off offset:128
	s_waitcnt vmcnt(0)
	v_xor_b32_e32 v3, 0x80000000, v3
	ds_write_b64 v41, v[2:3] offset:4224
.LBB82_33:                              ;   in Loop: Header=BB82_7 Depth=2
	s_andn2_saveexec_b32 s5, s6
	s_cbranch_execz .LBB82_39
; %bb.34:                               ;   in Loop: Header=BB82_7 Depth=2
	s_and_saveexec_b32 s6, s25
	s_xor_b32 s6, exec_lo, s6
; %bb.35:                               ;   in Loop: Header=BB82_7 Depth=2
	v_mov_b32_e32 v2, v15
	v_mov_b32_e32 v3, v15
	ds_write_b64 v41, v[2:3] offset:4224
; %bb.36:                               ;   in Loop: Header=BB82_7 Depth=2
	s_andn2_saveexec_b32 s6, s6
; %bb.37:                               ;   in Loop: Header=BB82_7 Depth=2
	ds_write_b64 v41, v[14:15] offset:4224
; %bb.38:                               ;   in Loop: Header=BB82_7 Depth=2
	s_or_b32 exec_lo, exec_lo, s6
.LBB82_39:                              ;   in Loop: Header=BB82_7 Depth=2
	s_or_b32 exec_lo, exec_lo, s5
	v_add_co_u32 v2, s5, v0, s20
	v_add_co_ci_u32_e64 v3, null, 0, s21, s5
	v_cmp_gt_i64_e64 s5, s[18:19], v[2:3]
	s_and_b32 s6, vcc_lo, s5
	s_xor_b32 s6, s6, -1
	s_and_saveexec_b32 s8, s6
	s_xor_b32 s6, exec_lo, s8
; %bb.40:                               ;   in Loop: Header=BB82_7 Depth=2
	v_mov_b32_e32 v4, v15
	v_mov_b32_e32 v5, v15
	ds_write_b64 v43, v[4:5]
; %bb.41:                               ;   in Loop: Header=BB82_7 Depth=2
	s_or_saveexec_b32 s8, s6
	v_add_co_u32 v4, s6, v36, s16
	v_add_co_ci_u32_e64 v5, null, s17, v37, s6
	s_xor_b32 exec_lo, exec_lo, s8
	s_cbranch_execz .LBB82_43
; %bb.42:                               ;   in Loop: Header=BB82_7 Depth=2
	global_load_dwordx2 v[6:7], v[4:5], off offset:-128
	s_waitcnt vmcnt(0)
	ds_write_b64 v43, v[6:7]
.LBB82_43:                              ;   in Loop: Header=BB82_7 Depth=2
	s_or_b32 exec_lo, exec_lo, s8
	v_cmp_gt_i64_e64 s6, s[22:23], v[2:3]
	s_and_b32 s8, vcc_lo, s6
	s_xor_b32 s8, s8, -1
	s_and_saveexec_b32 s9, s8
	s_xor_b32 s8, exec_lo, s9
; %bb.44:                               ;   in Loop: Header=BB82_7 Depth=2
	v_mov_b32_e32 v2, v15
	v_mov_b32_e32 v3, v15
                                        ; implicit-def: $vgpr4_vgpr5
	ds_write_b64 v43, v[2:3] offset:128
; %bb.45:                               ;   in Loop: Header=BB82_7 Depth=2
	s_andn2_saveexec_b32 s8, s8
	s_cbranch_execz .LBB82_47
; %bb.46:                               ;   in Loop: Header=BB82_7 Depth=2
	global_load_dwordx2 v[2:3], v[4:5], off
	s_waitcnt vmcnt(0)
	ds_write_b64 v43, v[2:3] offset:128
.LBB82_47:                              ;   in Loop: Header=BB82_7 Depth=2
	s_or_b32 exec_lo, exec_lo, s8
	s_and_b32 s5, s4, s5
	s_xor_b32 s5, s5, -1
	s_and_saveexec_b32 s8, s5
	s_xor_b32 s5, exec_lo, s8
; %bb.48:                               ;   in Loop: Header=BB82_7 Depth=2
	v_mov_b32_e32 v2, v15
	v_mov_b32_e32 v3, v15
	ds_write_b64 v43, v[2:3] offset:4096
; %bb.49:                               ;   in Loop: Header=BB82_7 Depth=2
	s_or_saveexec_b32 s8, s5
	v_add_co_u32 v2, s5, v38, s16
	v_add_co_ci_u32_e64 v3, null, s17, v39, s5
	s_xor_b32 exec_lo, exec_lo, s8
	s_cbranch_execz .LBB82_51
; %bb.50:                               ;   in Loop: Header=BB82_7 Depth=2
	global_load_dwordx2 v[4:5], v[2:3], off
	s_waitcnt vmcnt(0)
	ds_write_b64 v43, v[4:5] offset:4096
.LBB82_51:                              ;   in Loop: Header=BB82_7 Depth=2
	s_or_b32 exec_lo, exec_lo, s8
	s_and_b32 s5, s4, s6
	s_xor_b32 s5, s5, -1
	s_and_saveexec_b32 s6, s5
	s_xor_b32 s5, exec_lo, s6
; %bb.52:                               ;   in Loop: Header=BB82_7 Depth=2
	v_mov_b32_e32 v2, v15
	v_mov_b32_e32 v3, v15
	ds_write_b64 v43, v[2:3] offset:4224
                                        ; implicit-def: $vgpr2_vgpr3
; %bb.53:                               ;   in Loop: Header=BB82_7 Depth=2
	s_andn2_saveexec_b32 s5, s5
	s_cbranch_execz .LBB82_6
; %bb.54:                               ;   in Loop: Header=BB82_7 Depth=2
	global_load_dwordx2 v[2:3], v[2:3], off offset:128
	s_waitcnt vmcnt(0)
	ds_write_b64 v43, v[2:3] offset:4224
	s_branch .LBB82_6
.LBB82_55:                              ;   in Loop: Header=BB82_4 Depth=1
	v_mul_lo_u32 v4, s29, v51
	v_mul_lo_u32 v5, s28, v52
	v_mad_u64_u32 v[2:3], null, s28, v51, 0
	v_cmp_gt_i32_e32 vcc_lo, s14, v51
	v_add3_u32 v3, v3, v5, v4
	v_lshlrev_b64 v[2:3], 3, v[2:3]
	v_add_co_u32 v2, s4, s30, v2
	v_add_co_ci_u32_e64 v3, null, s31, v3, s4
	s_and_b32 s4, s1, vcc_lo
	s_and_saveexec_b32 s5, s4
	s_cbranch_execz .LBB82_57
; %bb.56:                               ;   in Loop: Header=BB82_4 Depth=1
	v_add_co_u32 v4, s4, v2, v22
	v_add_co_ci_u32_e64 v5, null, v3, v23, s4
	v_mul_f32_e32 v8, s11, v59
	v_mul_f32_e32 v9, s10, v59
	global_load_dwordx2 v[6:7], v[4:5], off
	v_fma_f32 v8, v58, s10, -v8
	v_fmac_f32_e32 v9, s11, v58
	s_waitcnt vmcnt(0)
	v_add_f32_e32 v6, v6, v8
	v_add_f32_e32 v7, v9, v7
	global_store_dwordx2 v[4:5], v[6:7], off
.LBB82_57:                              ;   in Loop: Header=BB82_4 Depth=1
	s_or_b32 exec_lo, exec_lo, s5
	s_and_b32 s5, s2, vcc_lo
	s_and_saveexec_b32 s4, s5
	s_cbranch_execz .LBB82_59
; %bb.58:                               ;   in Loop: Header=BB82_4 Depth=1
	v_add_co_u32 v2, vcc_lo, v2, v34
	v_add_co_ci_u32_e64 v3, null, v3, v35, vcc_lo
	v_mul_f32_e32 v6, s11, v57
	v_mul_f32_e32 v7, s10, v57
	global_load_dwordx2 v[4:5], v[2:3], off
	v_fma_f32 v6, v56, s10, -v6
	v_fmac_f32_e32 v7, s11, v56
	s_waitcnt vmcnt(0)
	v_add_f32_e32 v4, v4, v6
	v_add_f32_e32 v5, v7, v5
	global_store_dwordx2 v[2:3], v[4:5], off
.LBB82_59:                              ;   in Loop: Header=BB82_4 Depth=1
	s_or_b32 exec_lo, exec_lo, s4
	v_add_nc_u32_e32 v4, 16, v51
	v_ashrrev_i32_e32 v5, 31, v4
	v_mul_lo_u32 v6, s29, v4
	v_mad_u64_u32 v[2:3], null, s28, v4, 0
	v_cmp_gt_i32_e32 vcc_lo, s14, v4
	v_mul_lo_u32 v5, s28, v5
	v_add3_u32 v3, v3, v5, v6
	v_lshlrev_b64 v[2:3], 3, v[2:3]
	v_add_co_u32 v2, s4, s30, v2
	v_add_co_ci_u32_e64 v3, null, s31, v3, s4
	s_and_b32 s4, s1, vcc_lo
	s_and_saveexec_b32 s5, s4
	s_cbranch_execz .LBB82_61
; %bb.60:                               ;   in Loop: Header=BB82_4 Depth=1
	v_add_co_u32 v4, s4, v2, v22
	v_add_co_ci_u32_e64 v5, null, v3, v23, s4
	v_mul_f32_e32 v8, s11, v54
	v_mul_f32_e32 v9, s10, v54
	global_load_dwordx2 v[6:7], v[4:5], off
	v_fma_f32 v8, v55, s10, -v8
	v_fmac_f32_e32 v9, s11, v55
	s_waitcnt vmcnt(0)
	v_add_f32_e32 v6, v6, v8
	v_add_f32_e32 v7, v9, v7
	global_store_dwordx2 v[4:5], v[6:7], off
.LBB82_61:                              ;   in Loop: Header=BB82_4 Depth=1
	s_or_b32 exec_lo, exec_lo, s5
	s_and_b32 s5, s2, vcc_lo
	s_and_saveexec_b32 s4, s5
	s_cbranch_execz .LBB82_3
; %bb.62:                               ;   in Loop: Header=BB82_4 Depth=1
	v_add_co_u32 v2, vcc_lo, v2, v34
	v_add_co_ci_u32_e64 v3, null, v3, v35, vcc_lo
	v_mul_f32_e32 v6, s11, v33
	v_mul_f32_e32 v7, s10, v33
	global_load_dwordx2 v[4:5], v[2:3], off
	v_fma_f32 v6, v53, s10, -v6
	v_fmac_f32_e32 v7, s11, v53
	s_waitcnt vmcnt(0)
	v_add_f32_e32 v4, v4, v6
	v_add_f32_e32 v5, v7, v5
	global_store_dwordx2 v[2:3], v[4:5], off
	s_branch .LBB82_3
.LBB82_63:
	s_endpgm
	.section	.rodata,"a",@progbits
	.p2align	6, 0x0
	.amdhsa_kernel _ZL30rocblas_trmm_outofplace_kernelI19rocblas_complex_numIfELi32ELi2ELb1ELb1ELb1ELb1EPKS1_S2_S1_Ev17rocblas_diagonal_iiT6_lPT7_lllS7_lllPT8_llli
		.amdhsa_group_segment_fixed_size 16384
		.amdhsa_private_segment_fixed_size 0
		.amdhsa_kernarg_size 392
		.amdhsa_user_sgpr_count 6
		.amdhsa_user_sgpr_private_segment_buffer 1
		.amdhsa_user_sgpr_dispatch_ptr 0
		.amdhsa_user_sgpr_queue_ptr 0
		.amdhsa_user_sgpr_kernarg_segment_ptr 1
		.amdhsa_user_sgpr_dispatch_id 0
		.amdhsa_user_sgpr_flat_scratch_init 0
		.amdhsa_user_sgpr_private_segment_size 0
		.amdhsa_wavefront_size32 1
		.amdhsa_uses_dynamic_stack 0
		.amdhsa_system_sgpr_private_segment_wavefront_offset 0
		.amdhsa_system_sgpr_workgroup_id_x 1
		.amdhsa_system_sgpr_workgroup_id_y 1
		.amdhsa_system_sgpr_workgroup_id_z 1
		.amdhsa_system_sgpr_workgroup_info 0
		.amdhsa_system_vgpr_workitem_id 1
		.amdhsa_next_free_vgpr 71
		.amdhsa_next_free_sgpr 46
		.amdhsa_reserve_vcc 1
		.amdhsa_reserve_flat_scratch 0
		.amdhsa_float_round_mode_32 0
		.amdhsa_float_round_mode_16_64 0
		.amdhsa_float_denorm_mode_32 3
		.amdhsa_float_denorm_mode_16_64 3
		.amdhsa_dx10_clamp 1
		.amdhsa_ieee_mode 1
		.amdhsa_fp16_overflow 0
		.amdhsa_workgroup_processor_mode 1
		.amdhsa_memory_ordered 1
		.amdhsa_forward_progress 1
		.amdhsa_shared_vgpr_count 0
		.amdhsa_exception_fp_ieee_invalid_op 0
		.amdhsa_exception_fp_denorm_src 0
		.amdhsa_exception_fp_ieee_div_zero 0
		.amdhsa_exception_fp_ieee_overflow 0
		.amdhsa_exception_fp_ieee_underflow 0
		.amdhsa_exception_fp_ieee_inexact 0
		.amdhsa_exception_int_div_zero 0
	.end_amdhsa_kernel
	.section	.text._ZL30rocblas_trmm_outofplace_kernelI19rocblas_complex_numIfELi32ELi2ELb1ELb1ELb1ELb1EPKS1_S2_S1_Ev17rocblas_diagonal_iiT6_lPT7_lllS7_lllPT8_llli,"axG",@progbits,_ZL30rocblas_trmm_outofplace_kernelI19rocblas_complex_numIfELi32ELi2ELb1ELb1ELb1ELb1EPKS1_S2_S1_Ev17rocblas_diagonal_iiT6_lPT7_lllS7_lllPT8_llli,comdat
.Lfunc_end82:
	.size	_ZL30rocblas_trmm_outofplace_kernelI19rocblas_complex_numIfELi32ELi2ELb1ELb1ELb1ELb1EPKS1_S2_S1_Ev17rocblas_diagonal_iiT6_lPT7_lllS7_lllPT8_llli, .Lfunc_end82-_ZL30rocblas_trmm_outofplace_kernelI19rocblas_complex_numIfELi32ELi2ELb1ELb1ELb1ELb1EPKS1_S2_S1_Ev17rocblas_diagonal_iiT6_lPT7_lllS7_lllPT8_llli
                                        ; -- End function
	.set _ZL30rocblas_trmm_outofplace_kernelI19rocblas_complex_numIfELi32ELi2ELb1ELb1ELb1ELb1EPKS1_S2_S1_Ev17rocblas_diagonal_iiT6_lPT7_lllS7_lllPT8_llli.num_vgpr, 71
	.set _ZL30rocblas_trmm_outofplace_kernelI19rocblas_complex_numIfELi32ELi2ELb1ELb1ELb1ELb1EPKS1_S2_S1_Ev17rocblas_diagonal_iiT6_lPT7_lllS7_lllPT8_llli.num_agpr, 0
	.set _ZL30rocblas_trmm_outofplace_kernelI19rocblas_complex_numIfELi32ELi2ELb1ELb1ELb1ELb1EPKS1_S2_S1_Ev17rocblas_diagonal_iiT6_lPT7_lllS7_lllPT8_llli.numbered_sgpr, 46
	.set _ZL30rocblas_trmm_outofplace_kernelI19rocblas_complex_numIfELi32ELi2ELb1ELb1ELb1ELb1EPKS1_S2_S1_Ev17rocblas_diagonal_iiT6_lPT7_lllS7_lllPT8_llli.num_named_barrier, 0
	.set _ZL30rocblas_trmm_outofplace_kernelI19rocblas_complex_numIfELi32ELi2ELb1ELb1ELb1ELb1EPKS1_S2_S1_Ev17rocblas_diagonal_iiT6_lPT7_lllS7_lllPT8_llli.private_seg_size, 0
	.set _ZL30rocblas_trmm_outofplace_kernelI19rocblas_complex_numIfELi32ELi2ELb1ELb1ELb1ELb1EPKS1_S2_S1_Ev17rocblas_diagonal_iiT6_lPT7_lllS7_lllPT8_llli.uses_vcc, 1
	.set _ZL30rocblas_trmm_outofplace_kernelI19rocblas_complex_numIfELi32ELi2ELb1ELb1ELb1ELb1EPKS1_S2_S1_Ev17rocblas_diagonal_iiT6_lPT7_lllS7_lllPT8_llli.uses_flat_scratch, 0
	.set _ZL30rocblas_trmm_outofplace_kernelI19rocblas_complex_numIfELi32ELi2ELb1ELb1ELb1ELb1EPKS1_S2_S1_Ev17rocblas_diagonal_iiT6_lPT7_lllS7_lllPT8_llli.has_dyn_sized_stack, 0
	.set _ZL30rocblas_trmm_outofplace_kernelI19rocblas_complex_numIfELi32ELi2ELb1ELb1ELb1ELb1EPKS1_S2_S1_Ev17rocblas_diagonal_iiT6_lPT7_lllS7_lllPT8_llli.has_recursion, 0
	.set _ZL30rocblas_trmm_outofplace_kernelI19rocblas_complex_numIfELi32ELi2ELb1ELb1ELb1ELb1EPKS1_S2_S1_Ev17rocblas_diagonal_iiT6_lPT7_lllS7_lllPT8_llli.has_indirect_call, 0
	.section	.AMDGPU.csdata,"",@progbits
; Kernel info:
; codeLenInByte = 6668
; TotalNumSgprs: 48
; NumVgprs: 71
; ScratchSize: 0
; MemoryBound: 0
; FloatMode: 240
; IeeeMode: 1
; LDSByteSize: 16384 bytes/workgroup (compile time only)
; SGPRBlocks: 0
; VGPRBlocks: 8
; NumSGPRsForWavesPerEU: 48
; NumVGPRsForWavesPerEU: 71
; Occupancy: 12
; WaveLimiterHint : 0
; COMPUTE_PGM_RSRC2:SCRATCH_EN: 0
; COMPUTE_PGM_RSRC2:USER_SGPR: 6
; COMPUTE_PGM_RSRC2:TRAP_HANDLER: 0
; COMPUTE_PGM_RSRC2:TGID_X_EN: 1
; COMPUTE_PGM_RSRC2:TGID_Y_EN: 1
; COMPUTE_PGM_RSRC2:TGID_Z_EN: 1
; COMPUTE_PGM_RSRC2:TIDIG_COMP_CNT: 1
	.section	.text._ZL30rocblas_trmm_outofplace_kernelI19rocblas_complex_numIfELi32ELi2ELb1ELb1ELb1ELb1ES1_KS1_S1_Ev17rocblas_diagonal_iiT6_lPT7_lllS6_lllPT8_llli,"axG",@progbits,_ZL30rocblas_trmm_outofplace_kernelI19rocblas_complex_numIfELi32ELi2ELb1ELb1ELb1ELb1ES1_KS1_S1_Ev17rocblas_diagonal_iiT6_lPT7_lllS6_lllPT8_llli,comdat
	.globl	_ZL30rocblas_trmm_outofplace_kernelI19rocblas_complex_numIfELi32ELi2ELb1ELb1ELb1ELb1ES1_KS1_S1_Ev17rocblas_diagonal_iiT6_lPT7_lllS6_lllPT8_llli ; -- Begin function _ZL30rocblas_trmm_outofplace_kernelI19rocblas_complex_numIfELi32ELi2ELb1ELb1ELb1ELb1ES1_KS1_S1_Ev17rocblas_diagonal_iiT6_lPT7_lllS6_lllPT8_llli
	.p2align	8
	.type	_ZL30rocblas_trmm_outofplace_kernelI19rocblas_complex_numIfELi32ELi2ELb1ELb1ELb1ELb1ES1_KS1_S1_Ev17rocblas_diagonal_iiT6_lPT7_lllS6_lllPT8_llli,@function
_ZL30rocblas_trmm_outofplace_kernelI19rocblas_complex_numIfELi32ELi2ELb1ELb1ELb1ELb1ES1_KS1_S1_Ev17rocblas_diagonal_iiT6_lPT7_lllS6_lllPT8_llli: ; @_ZL30rocblas_trmm_outofplace_kernelI19rocblas_complex_numIfELi32ELi2ELb1ELb1ELb1ELb1ES1_KS1_S1_Ev17rocblas_diagonal_iiT6_lPT7_lllS6_lllPT8_llli
; %bb.0:
	s_clause 0x1
	s_load_dwordx4 s[28:31], s[4:5], 0x0
	s_load_dword s33, s[4:5], 0x10
	s_waitcnt lgkmcnt(0)
	s_or_b32 s0, s31, s33
	s_bitset0_b32 s0, 31
	s_cmp_eq_u32 s0, 0
	s_cbranch_scc1 .LBB83_63
; %bb.1:
	s_add_i32 s0, s30, -1
	s_ashr_i32 s1, s0, 31
	s_lshr_b32 s1, s1, 27
	s_add_i32 s0, s0, s1
	s_ashr_i32 s34, s0, 5
	s_cmp_gt_i32 s7, s34
	s_cbranch_scc1 .LBB83_63
; %bb.2:
	s_clause 0x1
	s_load_dwordx16 s[12:27], s[4:5], 0x20
	s_load_dwordx8 s[36:43], s[4:5], 0x60
	v_lshlrev_b32_e32 v2, 8, v1
	v_lshlrev_b32_e32 v40, 3, v0
	;; [unrolled: 1-line block ×3, first 2 shown]
	s_load_dword s35, s[4:5], 0x8c
	s_mov_b32 s10, s29
	v_add_nc_u32_e32 v41, 0x2000, v2
	v_add_nc_u32_e32 v42, v40, v2
	v_mov_b32_e32 v15, 0
	v_lshl_add_u32 v32, s7, 5, v1
	v_mov_b32_e32 v14, 1.0
	v_add_nc_u32_e32 v43, v41, v40
	v_add_nc_u32_e32 v48, 0x800, v40
	;; [unrolled: 1-line block ×4, first 2 shown]
	s_waitcnt lgkmcnt(0)
	s_mul_i32 s1, s19, s8
	s_mul_hi_u32 s2, s18, s8
	s_mul_i32 s0, s18, s8
	s_add_i32 s1, s2, s1
	s_mul_i32 s2, s43, s8
	s_lshl_b64 s[18:19], s[0:1], 3
	s_mul_hi_u32 s1, s42, s8
	s_add_u32 s3, s12, s18
	s_addc_u32 s9, s13, s19
	s_lshl_b64 s[44:45], s[14:15], 3
	s_mul_i32 s0, s42, s8
	s_add_u32 s43, s3, s44
	s_addc_u32 s9, s9, s45
	s_add_i32 s1, s1, s2
	s_lshl_b64 s[0:1], s[0:1], 3
	s_add_u32 s2, s36, s0
	s_addc_u32 s3, s37, s1
	s_lshl_b64 s[0:1], s[38:39], 3
	s_add_u32 s36, s2, s0
	s_addc_u32 s37, s3, s1
	s_lshl_b32 s38, s6, 5
	s_cmp_gt_i32 s6, -1
	v_add_nc_u32_e32 v16, s38, v0
	s_cselect_b32 s39, -1, 0
	s_cmpk_eq_i32 s28, 0x84
	s_cselect_b32 s28, -1, 0
	v_ashrrev_i32_e32 v17, 31, v16
	v_mul_lo_u32 v5, s17, v16
	v_mad_u64_u32 v[2:3], null, s16, v16, 0
	v_add_co_u32 v18, vcc_lo, v16, 16
	v_mul_lo_u32 v7, s16, v17
	v_add_co_ci_u32_e64 v19, null, 0, v17, vcc_lo
	v_sub_co_u32 v20, vcc_lo, v16, v1
	v_subrev_co_ci_u32_e64 v21, null, 0, v17, vcc_lo
	v_lshlrev_b64 v[22:23], 3, v[16:17]
	v_add3_u32 v3, v3, v7, v5
	s_ashr_i32 s11, s29, 31
	s_ashr_i32 s42, s30, 31
	s_add_u32 s14, s29, -16
	s_addc_u32 s15, s11, -1
	v_lshlrev_b64 v[2:3], 3, v[2:3]
	s_add_u32 s4, s44, s18
	s_addc_u32 s5, s45, s19
	v_add_nc_u32_e32 v4, 16, v16
	v_cmp_le_i64_e64 s3, s[10:11], v[18:19]
	v_cmp_le_i32_e64 s0, s29, v16
	v_add_co_u32 v2, vcc_lo, s43, v2
	v_add_co_ci_u32_e64 v3, null, s9, v3, vcc_lo
	v_add_co_u32 v24, vcc_lo, v20, 16
	v_add_co_ci_u32_e64 v25, null, 0, v21, vcc_lo
	;; [unrolled: 2-line block ×4, first 2 shown]
	v_add_co_u32 v26, vcc_lo, v20, -16
	v_mad_u64_u32 v[2:3], null, s16, v7, s[4:5]
	v_mul_lo_u32 v8, s16, v8
	v_mul_lo_u32 v7, s17, v7
	s_mul_i32 s4, s27, s8
	s_mul_hi_u32 s5, s26, s8
	v_add_co_ci_u32_e64 v27, null, -1, v21, vcc_lo
	s_add_i32 s5, s5, s4
	s_mul_i32 s4, s26, s8
	s_lshl_b64 s[8:9], s[22:23], 3
	s_lshl_b64 s[4:5], s[4:5], 3
	v_add3_u32 v3, v7, v3, v8
	s_add_u32 s4, s4, s8
	s_addc_u32 s5, s5, s9
	v_add_co_u32 v2, vcc_lo, v2, v6
	s_add_u32 s4, s20, s4
	v_add_co_ci_u32_e64 v3, null, 0, v3, vcc_lo
	s_addc_u32 s5, s21, s5
	v_add_co_u32 v28, s4, s4, v40
	v_ashrrev_i32_e32 v5, 31, v4
	v_add_co_ci_u32_e64 v29, null, s5, 0, s4
	v_add_co_u32 v46, vcc_lo, s12, v2
	v_add_co_ci_u32_e64 v47, null, s13, v3, vcc_lo
	v_add_co_u32 v30, vcc_lo, 0x80, v28
	v_lshlrev_b64 v[34:35], 3, v[4:5]
	v_cmp_gt_i32_e64 s1, s29, v16
	v_cmp_gt_i32_e64 s2, s29, v4
	v_add_co_ci_u32_e64 v31, null, 0, v29, vcc_lo
	s_mov_b32 s20, s30
	s_lshl_b64 s[12:13], s[24:25], 3
	s_lshl_b32 s21, s35, 5
	s_branch .LBB83_4
.LBB83_3:                               ;   in Loop: Header=BB83_4 Depth=1
	s_or_b32 exec_lo, exec_lo, s4
	v_add_nc_u32_e32 v32, s21, v32
	s_add_i32 s7, s35, s7
	s_cmp_le_i32 s7, s34
	s_cbranch_scc0 .LBB83_63
.LBB83_4:                               ; =>This Loop Header: Depth=1
                                        ;     Child Loop BB83_7 Depth 2
	v_lshl_add_u32 v51, s7, 5, v1
	v_mov_b32_e32 v58, v15
	v_mov_b32_e32 v59, v15
	;; [unrolled: 1-line block ×4, first 2 shown]
	v_ashrrev_i32_e32 v52, 31, v51
	v_mov_b32_e32 v55, v15
	v_mov_b32_e32 v54, v15
	v_mov_b32_e32 v53, v15
	v_mov_b32_e32 v33, v15
	s_andn2_b32 vcc_lo, exec_lo, s39
	s_cbranch_vccnz .LBB83_55
; %bb.5:                                ;   in Loop: Header=BB83_4 Depth=1
	v_ashrrev_i32_e32 v33, 31, v32
	v_mad_u64_u32 v[36:37], null, s12, v32, v[30:31]
	v_mul_lo_u32 v4, s13, v32
	v_mov_b32_e32 v53, 0
	v_lshlrev_b64 v[2:3], 3, v[32:33]
	v_mul_lo_u32 v7, s12, v33
	v_mov_b32_e32 v33, 0
	v_mov_b32_e32 v54, 0
	;; [unrolled: 1-line block ×4, first 2 shown]
	v_add_co_u32 v5, vcc_lo, 0x80, v2
	v_add_co_ci_u32_e64 v6, null, 0, v3, vcc_lo
	v_sub_co_u32 v2, vcc_lo, s20, v51
	v_mul_lo_u32 v8, s25, v5
	v_mul_lo_u32 v6, s24, v6
	v_mad_u64_u32 v[38:39], null, s24, v5, v[28:29]
	v_sub_co_ci_u32_e64 v3, null, s42, v52, vcc_lo
	v_add3_u32 v37, v4, v37, v7
	v_mov_b32_e32 v56, 0
	v_mov_b32_e32 v59, 0
	v_cmp_lt_i64_e64 s4, 16, v[2:3]
	v_add3_u32 v39, v8, v39, v6
	v_mov_b32_e32 v58, 0
	s_mov_b64 s[16:17], 0
	s_mov_b64 s[18:19], 0
	v_cmp_lt_i64_e32 vcc_lo, 0, v[2:3]
	s_branch .LBB83_7
.LBB83_6:                               ;   in Loop: Header=BB83_7 Depth=2
	s_or_b32 exec_lo, exec_lo, s5
	s_waitcnt lgkmcnt(0)
	s_barrier
	buffer_gl0_inv
	ds_read_b128 v[60:63], v41
	ds_read_b128 v[10:13], v41 offset:16
	ds_read_b128 v[6:9], v41 offset:32
	;; [unrolled: 1-line block ×3, first 2 shown]
	ds_read2_b64 v[64:67], v40 offset1:16
	s_add_u32 s18, s18, 32
	s_addc_u32 s19, s19, 0
	s_add_u32 s16, s16, 0x100
	s_addc_u32 s17, s17, 0
	s_sub_i32 s5, s18, 32
	s_cmp_ge_i32 s5, s38
	s_waitcnt lgkmcnt(0)
	v_mul_f32_e32 v68, v61, v65
	v_mul_f32_e32 v69, v60, v65
	v_fma_f32 v68, v60, v64, -v68
	v_fmac_f32_e32 v69, v61, v64
	v_add_f32_e32 v68, v58, v68
	v_add_f32_e32 v69, v59, v69
	v_mul_f32_e32 v58, v61, v67
	v_mul_f32_e32 v59, v60, v67
	v_fma_f32 v58, v60, v66, -v58
	v_fmac_f32_e32 v59, v61, v66
	v_add_f32_e32 v60, v56, v58
	v_add_f32_e32 v61, v57, v59
	ds_read_b128 v[56:59], v41 offset:4096
	s_waitcnt lgkmcnt(0)
	v_mul_f32_e32 v70, v57, v65
	v_mul_f32_e32 v65, v56, v65
	v_fma_f32 v70, v56, v64, -v70
	v_fmac_f32_e32 v65, v57, v64
	v_add_f32_e32 v64, v55, v70
	v_add_f32_e32 v65, v54, v65
	v_mul_f32_e32 v54, v57, v67
	v_mul_f32_e32 v55, v56, v67
	v_fma_f32 v54, v56, v66, -v54
	v_fmac_f32_e32 v55, v57, v66
	v_add_f32_e32 v57, v53, v54
	v_add_f32_e32 v33, v33, v55
	ds_read2_b64 v[53:56], v40 offset0:32 offset1:48
	s_waitcnt lgkmcnt(0)
	v_mul_f32_e32 v66, v63, v54
	v_mul_f32_e32 v67, v62, v54
	v_fma_f32 v66, v62, v53, -v66
	v_fmac_f32_e32 v67, v63, v53
	v_add_f32_e32 v66, v68, v66
	v_mul_f32_e32 v68, v63, v56
	v_add_f32_e32 v67, v69, v67
	v_fma_f32 v68, v62, v55, -v68
	v_mul_f32_e32 v62, v62, v56
	v_add_f32_e32 v60, v60, v68
	v_fmac_f32_e32 v62, v63, v55
	v_add_f32_e32 v61, v61, v62
	v_mul_f32_e32 v62, v59, v54
	v_mul_f32_e32 v54, v58, v54
	v_fma_f32 v62, v58, v53, -v62
	v_fmac_f32_e32 v54, v59, v53
	v_mul_f32_e32 v53, v59, v56
	v_add_f32_e32 v62, v64, v62
	v_add_f32_e32 v63, v65, v54
	v_mul_f32_e32 v54, v58, v56
	v_fma_f32 v53, v58, v55, -v53
	v_fmac_f32_e32 v54, v59, v55
	v_add_f32_e32 v64, v57, v53
	v_add_f32_e32 v33, v33, v54
	ds_read2_b64 v[53:56], v40 offset0:64 offset1:80
	s_waitcnt lgkmcnt(0)
	v_mul_f32_e32 v57, v11, v54
	v_mul_f32_e32 v58, v10, v54
	v_fma_f32 v57, v10, v53, -v57
	v_fmac_f32_e32 v58, v11, v53
	v_add_f32_e32 v65, v66, v57
	v_mul_f32_e32 v57, v11, v56
	v_add_f32_e32 v66, v67, v58
	v_fma_f32 v57, v10, v55, -v57
	v_mul_f32_e32 v10, v10, v56
	v_fmac_f32_e32 v10, v11, v55
	v_add_f32_e32 v11, v60, v57
	ds_read_b128 v[57:60], v41 offset:4112
	v_add_f32_e32 v10, v61, v10
	s_waitcnt lgkmcnt(0)
	v_mul_f32_e32 v61, v58, v54
	v_mul_f32_e32 v54, v57, v54
	v_fma_f32 v61, v57, v53, -v61
	v_fmac_f32_e32 v54, v58, v53
	v_mul_f32_e32 v53, v58, v56
	v_add_f32_e32 v61, v62, v61
	v_add_f32_e32 v62, v63, v54
	v_mul_f32_e32 v54, v57, v56
	v_fma_f32 v53, v57, v55, -v53
	v_fmac_f32_e32 v54, v58, v55
	v_add_f32_e32 v57, v64, v53
	v_add_f32_e32 v33, v33, v54
	ds_read2_b64 v[53:56], v40 offset0:96 offset1:112
	s_waitcnt lgkmcnt(0)
	v_mul_f32_e32 v58, v13, v54
	v_mul_f32_e32 v64, v13, v56
	v_mul_f32_e32 v63, v12, v54
	v_fma_f32 v58, v12, v53, -v58
	v_fma_f32 v64, v12, v55, -v64
	v_mul_f32_e32 v12, v12, v56
	v_fmac_f32_e32 v63, v13, v53
	v_add_f32_e32 v58, v65, v58
	v_add_f32_e32 v64, v11, v64
	v_fmac_f32_e32 v12, v13, v55
	v_mul_f32_e32 v11, v59, v54
	v_add_f32_e32 v63, v66, v63
	v_add_f32_e32 v65, v10, v12
	v_mul_f32_e32 v10, v60, v54
	v_fmac_f32_e32 v11, v60, v53
	v_fma_f32 v10, v59, v53, -v10
	v_add_f32_e32 v62, v62, v11
	v_mul_f32_e32 v11, v59, v56
	v_add_f32_e32 v61, v61, v10
	v_mul_f32_e32 v10, v60, v56
	v_fmac_f32_e32 v11, v60, v55
	v_fma_f32 v10, v59, v55, -v10
	v_add_f32_e32 v33, v33, v11
	v_add_f32_e32 v57, v57, v10
	ds_read2_b64 v[10:13], v40 offset0:128 offset1:144
	s_waitcnt lgkmcnt(0)
	v_mul_f32_e32 v53, v7, v11
	v_mul_f32_e32 v54, v6, v11
	v_fma_f32 v53, v6, v10, -v53
	v_fmac_f32_e32 v54, v7, v10
	v_add_f32_e32 v58, v58, v53
	v_mul_f32_e32 v53, v7, v13
	v_add_f32_e32 v59, v63, v54
	v_fma_f32 v53, v6, v12, -v53
	v_mul_f32_e32 v6, v6, v13
	v_fmac_f32_e32 v6, v7, v12
	v_add_f32_e32 v7, v64, v53
	ds_read_b128 v[53:56], v41 offset:4128
	v_add_f32_e32 v6, v65, v6
	s_waitcnt lgkmcnt(0)
	v_mul_f32_e32 v60, v54, v11
	v_mul_f32_e32 v11, v53, v11
	v_fma_f32 v60, v53, v10, -v60
	v_fmac_f32_e32 v11, v54, v10
	v_mul_f32_e32 v10, v54, v13
	v_add_f32_e32 v60, v61, v60
	v_add_f32_e32 v61, v62, v11
	v_mul_f32_e32 v11, v53, v13
	v_fma_f32 v10, v53, v12, -v10
	v_fmac_f32_e32 v11, v54, v12
	v_add_f32_e32 v53, v57, v10
	v_add_f32_e32 v33, v33, v11
	ds_read2_b64 v[10:13], v40 offset0:160 offset1:176
	s_waitcnt lgkmcnt(0)
	v_mul_f32_e32 v54, v9, v11
	v_mul_f32_e32 v57, v8, v11
	v_fma_f32 v54, v8, v10, -v54
	v_fmac_f32_e32 v57, v9, v10
	v_add_f32_e32 v54, v58, v54
	v_mul_f32_e32 v58, v9, v13
	v_add_f32_e32 v57, v59, v57
	v_fma_f32 v58, v8, v12, -v58
	v_mul_f32_e32 v8, v8, v13
	v_add_f32_e32 v58, v7, v58
	v_fmac_f32_e32 v8, v9, v12
	v_mul_f32_e32 v7, v55, v11
	v_add_f32_e32 v59, v6, v8
	v_mul_f32_e32 v6, v56, v11
	v_fmac_f32_e32 v7, v56, v10
	v_fma_f32 v6, v55, v10, -v6
	v_add_f32_e32 v61, v61, v7
	v_mul_f32_e32 v7, v55, v13
	v_add_f32_e32 v60, v60, v6
	v_mul_f32_e32 v6, v56, v13
	v_fmac_f32_e32 v7, v56, v12
	v_fma_f32 v6, v55, v12, -v6
	v_add_f32_e32 v33, v33, v7
	v_add_f32_e32 v53, v53, v6
	ds_read2_b64 v[6:9], v40 offset0:192 offset1:208
	s_waitcnt lgkmcnt(0)
	v_mul_f32_e32 v10, v3, v7
	v_mul_f32_e32 v11, v2, v7
	v_fma_f32 v10, v2, v6, -v10
	v_fmac_f32_e32 v11, v3, v6
	v_add_f32_e32 v54, v54, v10
	v_mul_f32_e32 v10, v3, v9
	v_add_f32_e32 v55, v57, v11
	v_fma_f32 v10, v2, v8, -v10
	v_mul_f32_e32 v2, v2, v9
	v_fmac_f32_e32 v2, v3, v8
	v_add_f32_e32 v3, v58, v10
	ds_read_b128 v[10:13], v41 offset:4144
	v_add_f32_e32 v2, v59, v2
	s_waitcnt lgkmcnt(0)
	v_mul_f32_e32 v56, v11, v7
	v_mul_f32_e32 v7, v10, v7
	v_fma_f32 v56, v10, v6, -v56
	v_fmac_f32_e32 v7, v11, v6
	v_mul_f32_e32 v6, v11, v9
	v_add_f32_e32 v56, v60, v56
	v_add_f32_e32 v57, v61, v7
	v_mul_f32_e32 v7, v10, v9
	v_fma_f32 v6, v10, v8, -v6
	v_fmac_f32_e32 v7, v11, v8
	v_add_f32_e32 v10, v53, v6
	v_add_f32_e32 v11, v33, v7
	ds_read2_b64 v[6:9], v40 offset0:224 offset1:240
	s_waitcnt lgkmcnt(0)
	v_mul_f32_e32 v33, v5, v7
	v_mul_f32_e32 v53, v4, v7
	v_fma_f32 v33, v4, v6, -v33
	v_fmac_f32_e32 v53, v5, v6
	v_add_f32_e32 v33, v54, v33
	v_mul_f32_e32 v54, v5, v9
	v_add_f32_e32 v53, v55, v53
	v_fma_f32 v54, v4, v8, -v54
	v_mul_f32_e32 v4, v4, v9
	v_add_f32_e32 v54, v3, v54
	v_fmac_f32_e32 v4, v5, v8
	v_mul_f32_e32 v3, v12, v7
	v_add_f32_e32 v55, v2, v4
	v_mul_f32_e32 v2, v13, v7
	v_fmac_f32_e32 v3, v13, v6
	v_fma_f32 v2, v12, v6, -v2
	v_add_f32_e32 v57, v57, v3
	v_mul_f32_e32 v3, v12, v9
	v_add_f32_e32 v56, v56, v2
	v_mul_f32_e32 v2, v13, v9
	v_fmac_f32_e32 v3, v13, v8
	v_fma_f32 v2, v12, v8, -v2
	v_add_f32_e32 v59, v11, v3
	v_add_f32_e32 v58, v10, v2
	ds_read_b128 v[2:5], v41 offset:64
	ds_read2_b64 v[6:9], v48 offset1:16
	s_waitcnt lgkmcnt(0)
	v_mul_f32_e32 v10, v3, v7
	v_mul_f32_e32 v11, v2, v7
	v_fma_f32 v10, v2, v6, -v10
	v_fmac_f32_e32 v11, v3, v6
	v_add_f32_e32 v33, v33, v10
	v_mul_f32_e32 v10, v3, v9
	v_add_f32_e32 v53, v53, v11
	v_fma_f32 v10, v2, v8, -v10
	v_mul_f32_e32 v2, v2, v9
	v_fmac_f32_e32 v2, v3, v8
	v_add_f32_e32 v3, v54, v10
	ds_read_b128 v[10:13], v41 offset:4160
	v_add_f32_e32 v2, v55, v2
	s_waitcnt lgkmcnt(0)
	v_mul_f32_e32 v54, v11, v7
	v_mul_f32_e32 v7, v10, v7
	v_fma_f32 v54, v10, v6, -v54
	v_fmac_f32_e32 v7, v11, v6
	v_mul_f32_e32 v6, v11, v9
	v_add_f32_e32 v54, v56, v54
	v_add_f32_e32 v55, v57, v7
	v_mul_f32_e32 v7, v10, v9
	v_fma_f32 v6, v10, v8, -v6
	v_fmac_f32_e32 v7, v11, v8
	v_add_f32_e32 v10, v58, v6
	v_add_f32_e32 v11, v59, v7
	ds_read2_b64 v[6:9], v48 offset0:32 offset1:48
	s_waitcnt lgkmcnt(0)
	v_mul_f32_e32 v56, v5, v7
	v_mul_f32_e32 v57, v4, v7
	v_fma_f32 v56, v4, v6, -v56
	v_fmac_f32_e32 v57, v5, v6
	v_add_f32_e32 v33, v33, v56
	v_mul_f32_e32 v56, v5, v9
	v_add_f32_e32 v53, v53, v57
	v_fma_f32 v56, v4, v8, -v56
	v_mul_f32_e32 v4, v4, v9
	v_add_f32_e32 v56, v3, v56
	v_fmac_f32_e32 v4, v5, v8
	v_mul_f32_e32 v3, v12, v7
	v_add_f32_e32 v57, v2, v4
	v_mul_f32_e32 v2, v13, v7
	v_fmac_f32_e32 v3, v13, v6
	v_fma_f32 v2, v12, v6, -v2
	v_add_f32_e32 v55, v55, v3
	v_mul_f32_e32 v3, v12, v9
	v_add_f32_e32 v54, v54, v2
	v_mul_f32_e32 v2, v13, v9
	v_fmac_f32_e32 v3, v13, v8
	v_fma_f32 v2, v12, v8, -v2
	v_add_f32_e32 v59, v11, v3
	v_add_f32_e32 v58, v10, v2
	ds_read_b128 v[2:5], v41 offset:80
	ds_read2_b64 v[6:9], v48 offset0:64 offset1:80
	s_waitcnt lgkmcnt(0)
	v_mul_f32_e32 v10, v3, v7
	v_mul_f32_e32 v11, v2, v7
	v_fma_f32 v10, v2, v6, -v10
	v_fmac_f32_e32 v11, v3, v6
	v_add_f32_e32 v33, v33, v10
	v_mul_f32_e32 v10, v3, v9
	v_add_f32_e32 v53, v53, v11
	v_fma_f32 v10, v2, v8, -v10
	v_mul_f32_e32 v2, v2, v9
	v_fmac_f32_e32 v2, v3, v8
	v_add_f32_e32 v3, v56, v10
	ds_read_b128 v[10:13], v41 offset:4176
	v_add_f32_e32 v2, v57, v2
	s_waitcnt lgkmcnt(0)
	v_mul_f32_e32 v56, v11, v7
	v_mul_f32_e32 v7, v10, v7
	v_fma_f32 v56, v10, v6, -v56
	v_fmac_f32_e32 v7, v11, v6
	v_mul_f32_e32 v6, v11, v9
	v_add_f32_e32 v54, v54, v56
	v_add_f32_e32 v55, v55, v7
	v_mul_f32_e32 v7, v10, v9
	v_fma_f32 v6, v10, v8, -v6
	v_fmac_f32_e32 v7, v11, v8
	v_add_f32_e32 v10, v58, v6
	v_add_f32_e32 v11, v59, v7
	ds_read2_b64 v[6:9], v48 offset0:96 offset1:112
	s_waitcnt lgkmcnt(0)
	v_mul_f32_e32 v56, v5, v7
	v_mul_f32_e32 v57, v4, v7
	v_fma_f32 v56, v4, v6, -v56
	v_fmac_f32_e32 v57, v5, v6
	v_add_f32_e32 v33, v33, v56
	v_mul_f32_e32 v56, v5, v9
	v_add_f32_e32 v53, v53, v57
	v_fma_f32 v56, v4, v8, -v56
	v_mul_f32_e32 v4, v4, v9
	v_add_f32_e32 v56, v3, v56
	v_fmac_f32_e32 v4, v5, v8
	v_mul_f32_e32 v3, v12, v7
	v_add_f32_e32 v57, v2, v4
	v_mul_f32_e32 v2, v13, v7
	v_fmac_f32_e32 v3, v13, v6
	v_fma_f32 v2, v12, v6, -v2
	v_add_f32_e32 v55, v55, v3
	v_mul_f32_e32 v3, v12, v9
	v_add_f32_e32 v54, v54, v2
	v_mul_f32_e32 v2, v13, v9
	v_fmac_f32_e32 v3, v13, v8
	v_fma_f32 v2, v12, v8, -v2
	v_add_f32_e32 v59, v11, v3
	v_add_f32_e32 v58, v10, v2
	ds_read_b128 v[2:5], v41 offset:96
	ds_read2_b64 v[6:9], v48 offset0:128 offset1:144
	;; [unrolled: 55-line block ×3, first 2 shown]
	s_waitcnt lgkmcnt(0)
	v_mul_f32_e32 v10, v3, v7
	v_mul_f32_e32 v11, v2, v7
	v_fma_f32 v10, v2, v6, -v10
	v_fmac_f32_e32 v11, v3, v6
	v_add_f32_e32 v33, v33, v10
	v_mul_f32_e32 v10, v3, v9
	v_add_f32_e32 v53, v53, v11
	v_fma_f32 v10, v2, v8, -v10
	v_mul_f32_e32 v2, v2, v9
	v_fmac_f32_e32 v2, v3, v8
	v_add_f32_e32 v3, v56, v10
	ds_read_b128 v[10:13], v41 offset:4208
	v_add_f32_e32 v2, v57, v2
	s_waitcnt lgkmcnt(0)
	v_mul_f32_e32 v56, v11, v7
	v_mul_f32_e32 v7, v10, v7
	v_fma_f32 v56, v10, v6, -v56
	v_fmac_f32_e32 v7, v11, v6
	v_mul_f32_e32 v6, v11, v9
	v_add_f32_e32 v54, v54, v56
	v_add_f32_e32 v55, v55, v7
	v_mul_f32_e32 v7, v10, v9
	v_fma_f32 v6, v10, v8, -v6
	v_fmac_f32_e32 v7, v11, v8
	v_add_f32_e32 v10, v58, v6
	v_add_f32_e32 v11, v59, v7
	ds_read2_b64 v[6:9], v48 offset0:224 offset1:240
	s_waitcnt lgkmcnt(0)
	v_mul_f32_e32 v56, v5, v7
	v_mul_f32_e32 v57, v4, v7
	v_fma_f32 v56, v4, v6, -v56
	v_fmac_f32_e32 v57, v5, v6
	v_add_f32_e32 v33, v33, v56
	v_mul_f32_e32 v56, v5, v9
	v_add_f32_e32 v53, v53, v57
	v_fma_f32 v56, v4, v8, -v56
	v_mul_f32_e32 v4, v4, v9
	v_add_f32_e32 v56, v3, v56
	v_fmac_f32_e32 v4, v5, v8
	v_mul_f32_e32 v3, v12, v7
	v_add_f32_e32 v57, v2, v4
	v_mul_f32_e32 v2, v13, v7
	v_fmac_f32_e32 v3, v13, v6
	v_fma_f32 v2, v12, v6, -v2
	v_add_f32_e32 v55, v55, v3
	v_mul_f32_e32 v3, v12, v9
	v_add_f32_e32 v54, v54, v2
	v_mul_f32_e32 v2, v13, v9
	v_fmac_f32_e32 v3, v13, v8
	v_fma_f32 v2, v12, v8, -v2
	v_add_f32_e32 v59, v11, v3
	v_add_f32_e32 v58, v10, v2
	ds_read_b128 v[2:5], v41 offset:128
	ds_read2_b64 v[6:9], v49 offset1:16
	s_waitcnt lgkmcnt(0)
	v_mul_f32_e32 v10, v3, v7
	v_mul_f32_e32 v11, v2, v7
	v_fma_f32 v10, v2, v6, -v10
	v_fmac_f32_e32 v11, v3, v6
	v_add_f32_e32 v33, v33, v10
	v_mul_f32_e32 v10, v3, v9
	v_add_f32_e32 v53, v53, v11
	v_fma_f32 v10, v2, v8, -v10
	v_mul_f32_e32 v2, v2, v9
	v_fmac_f32_e32 v2, v3, v8
	v_add_f32_e32 v3, v56, v10
	ds_read_b128 v[10:13], v41 offset:4224
	v_add_f32_e32 v2, v57, v2
	s_waitcnt lgkmcnt(0)
	v_mul_f32_e32 v56, v11, v7
	v_mul_f32_e32 v7, v10, v7
	v_fma_f32 v56, v10, v6, -v56
	v_fmac_f32_e32 v7, v11, v6
	v_mul_f32_e32 v6, v11, v9
	v_add_f32_e32 v54, v54, v56
	v_add_f32_e32 v55, v55, v7
	v_mul_f32_e32 v7, v10, v9
	v_fma_f32 v6, v10, v8, -v6
	v_fmac_f32_e32 v7, v11, v8
	v_add_f32_e32 v10, v58, v6
	v_add_f32_e32 v11, v59, v7
	ds_read2_b64 v[6:9], v49 offset0:32 offset1:48
	s_waitcnt lgkmcnt(0)
	v_mul_f32_e32 v56, v5, v7
	v_mul_f32_e32 v57, v4, v7
	v_fma_f32 v56, v4, v6, -v56
	v_fmac_f32_e32 v57, v5, v6
	v_add_f32_e32 v33, v33, v56
	v_mul_f32_e32 v56, v5, v9
	v_add_f32_e32 v53, v53, v57
	v_fma_f32 v56, v4, v8, -v56
	v_mul_f32_e32 v4, v4, v9
	v_add_f32_e32 v56, v3, v56
	v_fmac_f32_e32 v4, v5, v8
	v_mul_f32_e32 v3, v12, v7
	v_add_f32_e32 v57, v2, v4
	v_mul_f32_e32 v2, v13, v7
	v_fmac_f32_e32 v3, v13, v6
	v_fma_f32 v2, v12, v6, -v2
	v_add_f32_e32 v55, v55, v3
	v_mul_f32_e32 v3, v12, v9
	v_add_f32_e32 v54, v54, v2
	v_mul_f32_e32 v2, v13, v9
	v_fmac_f32_e32 v3, v13, v8
	v_fma_f32 v2, v12, v8, -v2
	v_add_f32_e32 v59, v11, v3
	v_add_f32_e32 v58, v10, v2
	ds_read_b128 v[2:5], v41 offset:144
	ds_read2_b64 v[6:9], v49 offset0:64 offset1:80
	s_waitcnt lgkmcnt(0)
	v_mul_f32_e32 v10, v3, v7
	v_mul_f32_e32 v11, v2, v7
	v_fma_f32 v10, v2, v6, -v10
	v_fmac_f32_e32 v11, v3, v6
	v_add_f32_e32 v33, v33, v10
	v_mul_f32_e32 v10, v3, v9
	v_add_f32_e32 v53, v53, v11
	v_fma_f32 v10, v2, v8, -v10
	v_mul_f32_e32 v2, v2, v9
	v_fmac_f32_e32 v2, v3, v8
	v_add_f32_e32 v3, v56, v10
	ds_read_b128 v[10:13], v41 offset:4240
	v_add_f32_e32 v2, v57, v2
	s_waitcnt lgkmcnt(0)
	v_mul_f32_e32 v56, v11, v7
	v_mul_f32_e32 v7, v10, v7
	v_fma_f32 v56, v10, v6, -v56
	v_fmac_f32_e32 v7, v11, v6
	v_mul_f32_e32 v6, v11, v9
	v_add_f32_e32 v54, v54, v56
	v_add_f32_e32 v55, v55, v7
	v_mul_f32_e32 v7, v10, v9
	v_fma_f32 v6, v10, v8, -v6
	v_fmac_f32_e32 v7, v11, v8
	v_add_f32_e32 v10, v58, v6
	v_add_f32_e32 v11, v59, v7
	ds_read2_b64 v[6:9], v49 offset0:96 offset1:112
	s_waitcnt lgkmcnt(0)
	v_mul_f32_e32 v56, v5, v7
	v_mul_f32_e32 v57, v4, v7
	v_fma_f32 v56, v4, v6, -v56
	v_fmac_f32_e32 v57, v5, v6
	v_add_f32_e32 v33, v33, v56
	v_mul_f32_e32 v56, v5, v9
	v_add_f32_e32 v53, v53, v57
	v_fma_f32 v56, v4, v8, -v56
	v_mul_f32_e32 v4, v4, v9
	v_add_f32_e32 v56, v3, v56
	v_fmac_f32_e32 v4, v5, v8
	v_mul_f32_e32 v3, v12, v7
	v_add_f32_e32 v57, v2, v4
	v_mul_f32_e32 v2, v13, v7
	v_fmac_f32_e32 v3, v13, v6
	v_fma_f32 v2, v12, v6, -v2
	v_add_f32_e32 v55, v55, v3
	v_mul_f32_e32 v3, v12, v9
	v_add_f32_e32 v54, v54, v2
	v_mul_f32_e32 v2, v13, v9
	v_fmac_f32_e32 v3, v13, v8
	v_fma_f32 v2, v12, v8, -v2
	v_add_f32_e32 v59, v11, v3
	v_add_f32_e32 v58, v10, v2
	ds_read_b128 v[2:5], v41 offset:160
	ds_read2_b64 v[6:9], v49 offset0:128 offset1:144
	;; [unrolled: 55-line block ×3, first 2 shown]
	s_waitcnt lgkmcnt(0)
	v_mul_f32_e32 v10, v3, v7
	v_mul_f32_e32 v11, v2, v7
	v_fma_f32 v10, v2, v6, -v10
	v_fmac_f32_e32 v11, v3, v6
	v_add_f32_e32 v33, v33, v10
	v_mul_f32_e32 v10, v3, v9
	v_add_f32_e32 v53, v53, v11
	v_fma_f32 v10, v2, v8, -v10
	v_mul_f32_e32 v2, v2, v9
	v_fmac_f32_e32 v2, v3, v8
	v_add_f32_e32 v3, v56, v10
	ds_read_b128 v[10:13], v41 offset:4272
	v_add_f32_e32 v2, v57, v2
	s_waitcnt lgkmcnt(0)
	v_mul_f32_e32 v56, v11, v7
	v_mul_f32_e32 v7, v10, v7
	v_fma_f32 v56, v10, v6, -v56
	v_fmac_f32_e32 v7, v11, v6
	v_mul_f32_e32 v6, v11, v9
	v_add_f32_e32 v54, v54, v56
	v_add_f32_e32 v55, v55, v7
	v_mul_f32_e32 v7, v10, v9
	v_fma_f32 v6, v10, v8, -v6
	v_fmac_f32_e32 v7, v11, v8
	v_add_f32_e32 v10, v58, v6
	v_add_f32_e32 v11, v59, v7
	ds_read2_b64 v[6:9], v49 offset0:224 offset1:240
	s_waitcnt lgkmcnt(0)
	v_mul_f32_e32 v56, v5, v7
	v_mul_f32_e32 v57, v4, v7
	v_fma_f32 v56, v4, v6, -v56
	v_fmac_f32_e32 v57, v5, v6
	v_add_f32_e32 v33, v33, v56
	v_mul_f32_e32 v56, v5, v9
	v_add_f32_e32 v53, v53, v57
	v_fma_f32 v56, v4, v8, -v56
	v_mul_f32_e32 v4, v4, v9
	v_add_f32_e32 v56, v3, v56
	v_fmac_f32_e32 v4, v5, v8
	v_mul_f32_e32 v3, v12, v7
	v_add_f32_e32 v57, v2, v4
	v_mul_f32_e32 v2, v13, v7
	v_fmac_f32_e32 v3, v13, v6
	v_fma_f32 v2, v12, v6, -v2
	v_add_f32_e32 v55, v55, v3
	v_mul_f32_e32 v3, v12, v9
	v_add_f32_e32 v54, v54, v2
	v_mul_f32_e32 v2, v13, v9
	v_fmac_f32_e32 v3, v13, v8
	v_fma_f32 v2, v12, v8, -v2
	v_add_f32_e32 v59, v11, v3
	v_add_f32_e32 v58, v10, v2
	ds_read_b128 v[2:5], v41 offset:192
	ds_read2_b64 v[6:9], v50 offset1:16
	s_waitcnt lgkmcnt(0)
	v_mul_f32_e32 v10, v3, v7
	v_mul_f32_e32 v11, v2, v7
	v_fma_f32 v10, v2, v6, -v10
	v_fmac_f32_e32 v11, v3, v6
	v_add_f32_e32 v33, v33, v10
	v_mul_f32_e32 v10, v3, v9
	v_add_f32_e32 v53, v53, v11
	v_fma_f32 v10, v2, v8, -v10
	v_mul_f32_e32 v2, v2, v9
	v_fmac_f32_e32 v2, v3, v8
	v_add_f32_e32 v3, v56, v10
	ds_read_b128 v[10:13], v41 offset:4288
	v_add_f32_e32 v2, v57, v2
	s_waitcnt lgkmcnt(0)
	v_mul_f32_e32 v56, v11, v7
	v_mul_f32_e32 v7, v10, v7
	v_fma_f32 v56, v10, v6, -v56
	v_fmac_f32_e32 v7, v11, v6
	v_mul_f32_e32 v6, v11, v9
	v_add_f32_e32 v54, v54, v56
	v_add_f32_e32 v55, v55, v7
	v_mul_f32_e32 v7, v10, v9
	v_fma_f32 v6, v10, v8, -v6
	v_fmac_f32_e32 v7, v11, v8
	v_add_f32_e32 v10, v58, v6
	v_add_f32_e32 v11, v59, v7
	ds_read2_b64 v[6:9], v50 offset0:32 offset1:48
	s_waitcnt lgkmcnt(0)
	v_mul_f32_e32 v56, v5, v7
	v_mul_f32_e32 v57, v4, v7
	v_fma_f32 v56, v4, v6, -v56
	v_fmac_f32_e32 v57, v5, v6
	v_add_f32_e32 v33, v33, v56
	v_mul_f32_e32 v56, v5, v9
	v_add_f32_e32 v53, v53, v57
	v_fma_f32 v56, v4, v8, -v56
	v_mul_f32_e32 v4, v4, v9
	v_add_f32_e32 v56, v3, v56
	v_fmac_f32_e32 v4, v5, v8
	v_mul_f32_e32 v3, v12, v7
	v_add_f32_e32 v57, v2, v4
	v_mul_f32_e32 v2, v13, v7
	v_fmac_f32_e32 v3, v13, v6
	v_fma_f32 v2, v12, v6, -v2
	v_add_f32_e32 v55, v55, v3
	v_mul_f32_e32 v3, v12, v9
	v_add_f32_e32 v54, v54, v2
	v_mul_f32_e32 v2, v13, v9
	v_fmac_f32_e32 v3, v13, v8
	v_fma_f32 v2, v12, v8, -v2
	v_add_f32_e32 v59, v11, v3
	v_add_f32_e32 v58, v10, v2
	ds_read_b128 v[2:5], v41 offset:208
	ds_read2_b64 v[6:9], v50 offset0:64 offset1:80
	s_waitcnt lgkmcnt(0)
	v_mul_f32_e32 v10, v3, v7
	v_mul_f32_e32 v11, v2, v7
	v_fma_f32 v10, v2, v6, -v10
	v_fmac_f32_e32 v11, v3, v6
	v_add_f32_e32 v33, v33, v10
	v_mul_f32_e32 v10, v3, v9
	v_add_f32_e32 v53, v53, v11
	v_fma_f32 v10, v2, v8, -v10
	v_mul_f32_e32 v2, v2, v9
	v_fmac_f32_e32 v2, v3, v8
	v_add_f32_e32 v3, v56, v10
	ds_read_b128 v[10:13], v41 offset:4304
	v_add_f32_e32 v2, v57, v2
	s_waitcnt lgkmcnt(0)
	v_mul_f32_e32 v56, v11, v7
	v_mul_f32_e32 v7, v10, v7
	v_fma_f32 v56, v10, v6, -v56
	v_fmac_f32_e32 v7, v11, v6
	v_mul_f32_e32 v6, v11, v9
	v_add_f32_e32 v54, v54, v56
	v_add_f32_e32 v55, v55, v7
	v_mul_f32_e32 v7, v10, v9
	v_fma_f32 v6, v10, v8, -v6
	v_fmac_f32_e32 v7, v11, v8
	v_add_f32_e32 v10, v58, v6
	v_add_f32_e32 v11, v59, v7
	ds_read2_b64 v[6:9], v50 offset0:96 offset1:112
	s_waitcnt lgkmcnt(0)
	v_mul_f32_e32 v56, v5, v7
	v_mul_f32_e32 v57, v4, v7
	v_fma_f32 v56, v4, v6, -v56
	v_fmac_f32_e32 v57, v5, v6
	v_add_f32_e32 v33, v33, v56
	v_mul_f32_e32 v56, v5, v9
	v_add_f32_e32 v53, v53, v57
	v_fma_f32 v56, v4, v8, -v56
	v_mul_f32_e32 v4, v4, v9
	v_add_f32_e32 v56, v3, v56
	v_fmac_f32_e32 v4, v5, v8
	v_mul_f32_e32 v3, v12, v7
	v_add_f32_e32 v57, v2, v4
	v_mul_f32_e32 v2, v13, v7
	v_fmac_f32_e32 v3, v13, v6
	v_fma_f32 v2, v12, v6, -v2
	v_add_f32_e32 v55, v55, v3
	v_mul_f32_e32 v3, v12, v9
	v_add_f32_e32 v54, v54, v2
	v_mul_f32_e32 v2, v13, v9
	v_fmac_f32_e32 v3, v13, v8
	v_fma_f32 v2, v12, v8, -v2
	v_add_f32_e32 v59, v11, v3
	v_add_f32_e32 v58, v10, v2
	ds_read_b128 v[2:5], v41 offset:224
	ds_read2_b64 v[6:9], v50 offset0:128 offset1:144
	;; [unrolled: 55-line block ×3, first 2 shown]
	s_waitcnt lgkmcnt(0)
	v_mul_f32_e32 v10, v3, v7
	v_mul_f32_e32 v11, v2, v7
	v_fma_f32 v10, v2, v6, -v10
	v_fmac_f32_e32 v11, v3, v6
	v_add_f32_e32 v33, v33, v10
	v_mul_f32_e32 v10, v3, v9
	v_add_f32_e32 v53, v53, v11
	v_fma_f32 v10, v2, v8, -v10
	v_mul_f32_e32 v2, v2, v9
	v_fmac_f32_e32 v2, v3, v8
	v_add_f32_e32 v3, v56, v10
	ds_read_b128 v[10:13], v41 offset:4336
	v_add_f32_e32 v2, v57, v2
	s_waitcnt lgkmcnt(0)
	v_mul_f32_e32 v56, v11, v7
	v_mul_f32_e32 v7, v10, v7
	v_fma_f32 v56, v10, v6, -v56
	v_fmac_f32_e32 v7, v11, v6
	v_mul_f32_e32 v6, v11, v9
	v_add_f32_e32 v54, v54, v56
	v_add_f32_e32 v60, v55, v7
	v_mul_f32_e32 v7, v10, v9
	v_fma_f32 v6, v10, v8, -v6
	v_fmac_f32_e32 v7, v11, v8
	v_add_f32_e32 v10, v58, v6
	v_add_f32_e32 v11, v59, v7
	ds_read2_b64 v[6:9], v50 offset0:224 offset1:240
	s_waitcnt lgkmcnt(0)
	s_barrier
	buffer_gl0_inv
	v_mul_f32_e32 v55, v5, v7
	v_mul_f32_e32 v56, v4, v7
	v_fma_f32 v55, v4, v6, -v55
	v_fmac_f32_e32 v56, v5, v6
	v_add_f32_e32 v58, v33, v55
	v_mul_f32_e32 v33, v5, v9
	v_add_f32_e32 v59, v53, v56
	v_fma_f32 v33, v4, v8, -v33
	v_mul_f32_e32 v4, v4, v9
	v_add_f32_e32 v56, v3, v33
	v_fmac_f32_e32 v4, v5, v8
	v_mul_f32_e32 v3, v12, v7
	v_add_f32_e32 v57, v2, v4
	v_mul_f32_e32 v2, v13, v7
	v_fmac_f32_e32 v3, v13, v6
	v_fma_f32 v2, v12, v6, -v2
	v_add_f32_e32 v55, v54, v2
	v_add_f32_e32 v54, v60, v3
	v_mul_f32_e32 v2, v13, v9
	v_mul_f32_e32 v3, v12, v9
	v_fma_f32 v2, v12, v8, -v2
	v_fmac_f32_e32 v3, v13, v8
	v_add_f32_e32 v53, v10, v2
	v_add_f32_e32 v33, v11, v3
	s_cbranch_scc1 .LBB83_55
.LBB83_7:                               ;   Parent Loop BB83_4 Depth=1
                                        ; =>  This Inner Loop Header: Depth=2
	v_add_co_u32 v4, s5, v1, s18
	v_add_co_ci_u32_e64 v5, null, 0, s19, s5
	v_cmp_eq_u64_e64 s8, s[18:19], v[20:21]
	v_cmp_le_i64_e64 s6, s[10:11], v[4:5]
	v_cmp_gt_i64_e64 s5, v[4:5], v[16:17]
	s_and_b32 s23, s28, s8
	v_add_co_u32 v2, s8, v44, s16
	v_add_co_ci_u32_e64 v3, null, s17, v45, s8
	s_or_b32 s9, s6, s5
	s_or_b32 s8, s9, s23
	s_nor_b32 s8, s0, s8
	s_and_saveexec_b32 s9, s8
	s_xor_b32 s8, exec_lo, s9
	s_cbranch_execz .LBB83_9
; %bb.8:                                ;   in Loop: Header=BB83_7 Depth=2
	global_load_dwordx2 v[6:7], v[2:3], off
	s_waitcnt vmcnt(0)
	v_xor_b32_e32 v7, 0x80000000, v7
	ds_write_b64 v42, v[6:7]
.LBB83_9:                               ;   in Loop: Header=BB83_7 Depth=2
	s_or_saveexec_b32 s8, s8
	s_xor_b32 s22, s23, -1
	s_xor_b32 exec_lo, exec_lo, s8
	s_cbranch_execz .LBB83_15
; %bb.10:                               ;   in Loop: Header=BB83_7 Depth=2
	s_and_saveexec_b32 s9, s22
	s_xor_b32 s9, exec_lo, s9
; %bb.11:                               ;   in Loop: Header=BB83_7 Depth=2
	v_mov_b32_e32 v6, v15
	v_mov_b32_e32 v7, v15
	ds_write_b64 v42, v[6:7]
; %bb.12:                               ;   in Loop: Header=BB83_7 Depth=2
	s_andn2_saveexec_b32 s9, s9
; %bb.13:                               ;   in Loop: Header=BB83_7 Depth=2
	ds_write_b64 v42, v[14:15]
; %bb.14:                               ;   in Loop: Header=BB83_7 Depth=2
	s_or_b32 exec_lo, exec_lo, s9
.LBB83_15:                              ;   in Loop: Header=BB83_7 Depth=2
	s_or_b32 exec_lo, exec_lo, s8
	v_cmp_eq_u64_e64 s8, s[18:19], v[24:25]
	v_cmp_lt_i64_e64 s9, v[18:19], v[4:5]
	s_and_b32 s8, s28, s8
	s_or_b32 s6, s6, s9
	s_or_b32 s6, s6, s8
	s_nor_b32 s6, s3, s6
	s_and_saveexec_b32 s9, s6
	s_xor_b32 s9, exec_lo, s9
	s_cbranch_execz .LBB83_17
; %bb.16:                               ;   in Loop: Header=BB83_7 Depth=2
	v_add_co_u32 v6, s6, v46, s16
	v_add_co_ci_u32_e64 v7, null, s17, v47, s6
	global_load_dwordx2 v[6:7], v[6:7], off
	s_waitcnt vmcnt(0)
	v_xor_b32_e32 v7, 0x80000000, v7
	ds_write_b64 v42, v[6:7] offset:128
.LBB83_17:                              ;   in Loop: Header=BB83_7 Depth=2
	s_andn2_saveexec_b32 s6, s9
	s_cbranch_execz .LBB83_23
; %bb.18:                               ;   in Loop: Header=BB83_7 Depth=2
	s_xor_b32 s8, s8, -1
	s_and_saveexec_b32 s9, s8
	s_xor_b32 s8, exec_lo, s9
; %bb.19:                               ;   in Loop: Header=BB83_7 Depth=2
	v_mov_b32_e32 v6, v15
	v_mov_b32_e32 v7, v15
	ds_write_b64 v42, v[6:7] offset:128
; %bb.20:                               ;   in Loop: Header=BB83_7 Depth=2
	s_andn2_saveexec_b32 s8, s8
; %bb.21:                               ;   in Loop: Header=BB83_7 Depth=2
	ds_write_b64 v42, v[14:15] offset:128
; %bb.22:                               ;   in Loop: Header=BB83_7 Depth=2
	s_or_b32 exec_lo, exec_lo, s8
.LBB83_23:                              ;   in Loop: Header=BB83_7 Depth=2
	s_or_b32 exec_lo, exec_lo, s6
	v_add_co_u32 v4, s6, v4, 16
	v_add_co_ci_u32_e64 v5, null, 0, v5, s6
	v_cmp_eq_u64_e64 s8, s[18:19], v[26:27]
	v_cmp_le_i64_e64 s6, s[10:11], v[4:5]
	v_cmp_gt_i64_e64 s9, v[4:5], v[16:17]
	s_and_b32 s26, s28, s8
	s_or_b32 s8, s6, s9
	s_or_b32 s8, s8, s26
	s_nor_b32 s8, s0, s8
	s_and_saveexec_b32 s9, s8
	s_xor_b32 s8, exec_lo, s9
	s_cbranch_execz .LBB83_25
; %bb.24:                               ;   in Loop: Header=BB83_7 Depth=2
	global_load_dwordx2 v[2:3], v[2:3], off offset:128
	s_waitcnt vmcnt(0)
	v_xor_b32_e32 v3, 0x80000000, v3
	ds_write_b64 v42, v[2:3] offset:4096
.LBB83_25:                              ;   in Loop: Header=BB83_7 Depth=2
	s_andn2_saveexec_b32 s8, s8
	s_cbranch_execz .LBB83_31
; %bb.26:                               ;   in Loop: Header=BB83_7 Depth=2
	s_xor_b32 s9, s26, -1
	s_and_saveexec_b32 s26, s9
	s_xor_b32 s9, exec_lo, s26
; %bb.27:                               ;   in Loop: Header=BB83_7 Depth=2
	v_mov_b32_e32 v2, v15
	v_mov_b32_e32 v3, v15
	ds_write_b64 v42, v[2:3] offset:4096
; %bb.28:                               ;   in Loop: Header=BB83_7 Depth=2
	s_andn2_saveexec_b32 s9, s9
; %bb.29:                               ;   in Loop: Header=BB83_7 Depth=2
	ds_write_b64 v42, v[14:15] offset:4096
; %bb.30:                               ;   in Loop: Header=BB83_7 Depth=2
	s_or_b32 exec_lo, exec_lo, s9
.LBB83_31:                              ;   in Loop: Header=BB83_7 Depth=2
	s_or_b32 exec_lo, exec_lo, s8
	s_or_b32 s5, s6, s5
	s_or_b32 s5, s5, s23
	s_nor_b32 s5, s3, s5
	s_and_saveexec_b32 s6, s5
	s_xor_b32 s6, exec_lo, s6
	s_cbranch_execz .LBB83_33
; %bb.32:                               ;   in Loop: Header=BB83_7 Depth=2
	v_add_co_u32 v2, s5, v46, s16
	v_add_co_ci_u32_e64 v3, null, s17, v47, s5
	global_load_dwordx2 v[2:3], v[2:3], off offset:128
	s_waitcnt vmcnt(0)
	v_xor_b32_e32 v3, 0x80000000, v3
	ds_write_b64 v42, v[2:3] offset:4224
.LBB83_33:                              ;   in Loop: Header=BB83_7 Depth=2
	s_andn2_saveexec_b32 s5, s6
	s_cbranch_execz .LBB83_39
; %bb.34:                               ;   in Loop: Header=BB83_7 Depth=2
	s_and_saveexec_b32 s6, s22
	s_xor_b32 s6, exec_lo, s6
; %bb.35:                               ;   in Loop: Header=BB83_7 Depth=2
	v_mov_b32_e32 v2, v15
	v_mov_b32_e32 v3, v15
	ds_write_b64 v42, v[2:3] offset:4224
; %bb.36:                               ;   in Loop: Header=BB83_7 Depth=2
	s_andn2_saveexec_b32 s6, s6
; %bb.37:                               ;   in Loop: Header=BB83_7 Depth=2
	ds_write_b64 v42, v[14:15] offset:4224
; %bb.38:                               ;   in Loop: Header=BB83_7 Depth=2
	s_or_b32 exec_lo, exec_lo, s6
.LBB83_39:                              ;   in Loop: Header=BB83_7 Depth=2
	s_or_b32 exec_lo, exec_lo, s5
	v_add_co_u32 v2, s5, v0, s18
	v_add_co_ci_u32_e64 v3, null, 0, s19, s5
	v_cmp_gt_i64_e64 s5, s[10:11], v[2:3]
	s_and_b32 s6, vcc_lo, s5
	s_xor_b32 s6, s6, -1
	s_and_saveexec_b32 s8, s6
	s_xor_b32 s6, exec_lo, s8
; %bb.40:                               ;   in Loop: Header=BB83_7 Depth=2
	v_mov_b32_e32 v4, v15
	v_mov_b32_e32 v5, v15
	ds_write_b64 v43, v[4:5]
; %bb.41:                               ;   in Loop: Header=BB83_7 Depth=2
	s_or_saveexec_b32 s8, s6
	v_add_co_u32 v4, s6, v36, s16
	v_add_co_ci_u32_e64 v5, null, s17, v37, s6
	s_xor_b32 exec_lo, exec_lo, s8
	s_cbranch_execz .LBB83_43
; %bb.42:                               ;   in Loop: Header=BB83_7 Depth=2
	global_load_dwordx2 v[6:7], v[4:5], off offset:-128
	s_waitcnt vmcnt(0)
	ds_write_b64 v43, v[6:7]
.LBB83_43:                              ;   in Loop: Header=BB83_7 Depth=2
	s_or_b32 exec_lo, exec_lo, s8
	v_cmp_gt_i64_e64 s6, s[14:15], v[2:3]
	s_and_b32 s8, vcc_lo, s6
	s_xor_b32 s8, s8, -1
	s_and_saveexec_b32 s9, s8
	s_xor_b32 s8, exec_lo, s9
; %bb.44:                               ;   in Loop: Header=BB83_7 Depth=2
	v_mov_b32_e32 v2, v15
	v_mov_b32_e32 v3, v15
                                        ; implicit-def: $vgpr4_vgpr5
	ds_write_b64 v43, v[2:3] offset:128
; %bb.45:                               ;   in Loop: Header=BB83_7 Depth=2
	s_andn2_saveexec_b32 s8, s8
	s_cbranch_execz .LBB83_47
; %bb.46:                               ;   in Loop: Header=BB83_7 Depth=2
	global_load_dwordx2 v[2:3], v[4:5], off
	s_waitcnt vmcnt(0)
	ds_write_b64 v43, v[2:3] offset:128
.LBB83_47:                              ;   in Loop: Header=BB83_7 Depth=2
	s_or_b32 exec_lo, exec_lo, s8
	s_and_b32 s5, s4, s5
	s_xor_b32 s5, s5, -1
	s_and_saveexec_b32 s8, s5
	s_xor_b32 s5, exec_lo, s8
; %bb.48:                               ;   in Loop: Header=BB83_7 Depth=2
	v_mov_b32_e32 v2, v15
	v_mov_b32_e32 v3, v15
	ds_write_b64 v43, v[2:3] offset:4096
; %bb.49:                               ;   in Loop: Header=BB83_7 Depth=2
	s_or_saveexec_b32 s8, s5
	v_add_co_u32 v2, s5, v38, s16
	v_add_co_ci_u32_e64 v3, null, s17, v39, s5
	s_xor_b32 exec_lo, exec_lo, s8
	s_cbranch_execz .LBB83_51
; %bb.50:                               ;   in Loop: Header=BB83_7 Depth=2
	global_load_dwordx2 v[4:5], v[2:3], off
	s_waitcnt vmcnt(0)
	ds_write_b64 v43, v[4:5] offset:4096
.LBB83_51:                              ;   in Loop: Header=BB83_7 Depth=2
	s_or_b32 exec_lo, exec_lo, s8
	s_and_b32 s5, s4, s6
	s_xor_b32 s5, s5, -1
	s_and_saveexec_b32 s6, s5
	s_xor_b32 s5, exec_lo, s6
; %bb.52:                               ;   in Loop: Header=BB83_7 Depth=2
	v_mov_b32_e32 v2, v15
	v_mov_b32_e32 v3, v15
	ds_write_b64 v43, v[2:3] offset:4224
                                        ; implicit-def: $vgpr2_vgpr3
; %bb.53:                               ;   in Loop: Header=BB83_7 Depth=2
	s_andn2_saveexec_b32 s5, s5
	s_cbranch_execz .LBB83_6
; %bb.54:                               ;   in Loop: Header=BB83_7 Depth=2
	global_load_dwordx2 v[2:3], v[2:3], off offset:128
	s_waitcnt vmcnt(0)
	ds_write_b64 v43, v[2:3] offset:4224
	s_branch .LBB83_6
.LBB83_55:                              ;   in Loop: Header=BB83_4 Depth=1
	v_mul_lo_u32 v4, s41, v51
	v_mul_lo_u32 v5, s40, v52
	v_mad_u64_u32 v[2:3], null, s40, v51, 0
	v_cmp_gt_i32_e32 vcc_lo, s30, v51
	v_add3_u32 v3, v3, v5, v4
	v_lshlrev_b64 v[2:3], 3, v[2:3]
	v_add_co_u32 v2, s4, s36, v2
	v_add_co_ci_u32_e64 v3, null, s37, v3, s4
	s_and_b32 s4, s1, vcc_lo
	s_and_saveexec_b32 s5, s4
	s_cbranch_execz .LBB83_57
; %bb.56:                               ;   in Loop: Header=BB83_4 Depth=1
	v_add_co_u32 v4, s4, v2, v22
	v_add_co_ci_u32_e64 v5, null, v3, v23, s4
	v_mul_f32_e32 v8, s33, v59
	v_mul_f32_e32 v9, s31, v59
	global_load_dwordx2 v[6:7], v[4:5], off
	v_fma_f32 v8, v58, s31, -v8
	v_fmac_f32_e32 v9, s33, v58
	s_waitcnt vmcnt(0)
	v_add_f32_e32 v6, v6, v8
	v_add_f32_e32 v7, v9, v7
	global_store_dwordx2 v[4:5], v[6:7], off
.LBB83_57:                              ;   in Loop: Header=BB83_4 Depth=1
	s_or_b32 exec_lo, exec_lo, s5
	s_and_b32 s5, s2, vcc_lo
	s_and_saveexec_b32 s4, s5
	s_cbranch_execz .LBB83_59
; %bb.58:                               ;   in Loop: Header=BB83_4 Depth=1
	v_add_co_u32 v2, vcc_lo, v2, v34
	v_add_co_ci_u32_e64 v3, null, v3, v35, vcc_lo
	v_mul_f32_e32 v6, s33, v57
	v_mul_f32_e32 v7, s31, v57
	global_load_dwordx2 v[4:5], v[2:3], off
	v_fma_f32 v6, v56, s31, -v6
	v_fmac_f32_e32 v7, s33, v56
	s_waitcnt vmcnt(0)
	v_add_f32_e32 v4, v4, v6
	v_add_f32_e32 v5, v7, v5
	global_store_dwordx2 v[2:3], v[4:5], off
.LBB83_59:                              ;   in Loop: Header=BB83_4 Depth=1
	s_or_b32 exec_lo, exec_lo, s4
	v_add_nc_u32_e32 v4, 16, v51
	v_ashrrev_i32_e32 v5, 31, v4
	v_mul_lo_u32 v6, s41, v4
	v_mad_u64_u32 v[2:3], null, s40, v4, 0
	v_cmp_gt_i32_e32 vcc_lo, s30, v4
	v_mul_lo_u32 v5, s40, v5
	v_add3_u32 v3, v3, v5, v6
	v_lshlrev_b64 v[2:3], 3, v[2:3]
	v_add_co_u32 v2, s4, s36, v2
	v_add_co_ci_u32_e64 v3, null, s37, v3, s4
	s_and_b32 s4, s1, vcc_lo
	s_and_saveexec_b32 s5, s4
	s_cbranch_execz .LBB83_61
; %bb.60:                               ;   in Loop: Header=BB83_4 Depth=1
	v_add_co_u32 v4, s4, v2, v22
	v_add_co_ci_u32_e64 v5, null, v3, v23, s4
	v_mul_f32_e32 v8, s33, v54
	v_mul_f32_e32 v9, s31, v54
	global_load_dwordx2 v[6:7], v[4:5], off
	v_fma_f32 v8, v55, s31, -v8
	v_fmac_f32_e32 v9, s33, v55
	s_waitcnt vmcnt(0)
	v_add_f32_e32 v6, v6, v8
	v_add_f32_e32 v7, v9, v7
	global_store_dwordx2 v[4:5], v[6:7], off
.LBB83_61:                              ;   in Loop: Header=BB83_4 Depth=1
	s_or_b32 exec_lo, exec_lo, s5
	s_and_b32 s5, s2, vcc_lo
	s_and_saveexec_b32 s4, s5
	s_cbranch_execz .LBB83_3
; %bb.62:                               ;   in Loop: Header=BB83_4 Depth=1
	v_add_co_u32 v2, vcc_lo, v2, v34
	v_add_co_ci_u32_e64 v3, null, v3, v35, vcc_lo
	v_mul_f32_e32 v6, s33, v33
	v_mul_f32_e32 v7, s31, v33
	global_load_dwordx2 v[4:5], v[2:3], off
	v_fma_f32 v6, v53, s31, -v6
	v_fmac_f32_e32 v7, s33, v53
	s_waitcnt vmcnt(0)
	v_add_f32_e32 v4, v4, v6
	v_add_f32_e32 v5, v7, v5
	global_store_dwordx2 v[2:3], v[4:5], off
	s_branch .LBB83_3
.LBB83_63:
	s_endpgm
	.section	.rodata,"a",@progbits
	.p2align	6, 0x0
	.amdhsa_kernel _ZL30rocblas_trmm_outofplace_kernelI19rocblas_complex_numIfELi32ELi2ELb1ELb1ELb1ELb1ES1_KS1_S1_Ev17rocblas_diagonal_iiT6_lPT7_lllS6_lllPT8_llli
		.amdhsa_group_segment_fixed_size 16384
		.amdhsa_private_segment_fixed_size 0
		.amdhsa_kernarg_size 392
		.amdhsa_user_sgpr_count 6
		.amdhsa_user_sgpr_private_segment_buffer 1
		.amdhsa_user_sgpr_dispatch_ptr 0
		.amdhsa_user_sgpr_queue_ptr 0
		.amdhsa_user_sgpr_kernarg_segment_ptr 1
		.amdhsa_user_sgpr_dispatch_id 0
		.amdhsa_user_sgpr_flat_scratch_init 0
		.amdhsa_user_sgpr_private_segment_size 0
		.amdhsa_wavefront_size32 1
		.amdhsa_uses_dynamic_stack 0
		.amdhsa_system_sgpr_private_segment_wavefront_offset 0
		.amdhsa_system_sgpr_workgroup_id_x 1
		.amdhsa_system_sgpr_workgroup_id_y 1
		.amdhsa_system_sgpr_workgroup_id_z 1
		.amdhsa_system_sgpr_workgroup_info 0
		.amdhsa_system_vgpr_workitem_id 1
		.amdhsa_next_free_vgpr 71
		.amdhsa_next_free_sgpr 46
		.amdhsa_reserve_vcc 1
		.amdhsa_reserve_flat_scratch 0
		.amdhsa_float_round_mode_32 0
		.amdhsa_float_round_mode_16_64 0
		.amdhsa_float_denorm_mode_32 3
		.amdhsa_float_denorm_mode_16_64 3
		.amdhsa_dx10_clamp 1
		.amdhsa_ieee_mode 1
		.amdhsa_fp16_overflow 0
		.amdhsa_workgroup_processor_mode 1
		.amdhsa_memory_ordered 1
		.amdhsa_forward_progress 1
		.amdhsa_shared_vgpr_count 0
		.amdhsa_exception_fp_ieee_invalid_op 0
		.amdhsa_exception_fp_denorm_src 0
		.amdhsa_exception_fp_ieee_div_zero 0
		.amdhsa_exception_fp_ieee_overflow 0
		.amdhsa_exception_fp_ieee_underflow 0
		.amdhsa_exception_fp_ieee_inexact 0
		.amdhsa_exception_int_div_zero 0
	.end_amdhsa_kernel
	.section	.text._ZL30rocblas_trmm_outofplace_kernelI19rocblas_complex_numIfELi32ELi2ELb1ELb1ELb1ELb1ES1_KS1_S1_Ev17rocblas_diagonal_iiT6_lPT7_lllS6_lllPT8_llli,"axG",@progbits,_ZL30rocblas_trmm_outofplace_kernelI19rocblas_complex_numIfELi32ELi2ELb1ELb1ELb1ELb1ES1_KS1_S1_Ev17rocblas_diagonal_iiT6_lPT7_lllS6_lllPT8_llli,comdat
.Lfunc_end83:
	.size	_ZL30rocblas_trmm_outofplace_kernelI19rocblas_complex_numIfELi32ELi2ELb1ELb1ELb1ELb1ES1_KS1_S1_Ev17rocblas_diagonal_iiT6_lPT7_lllS6_lllPT8_llli, .Lfunc_end83-_ZL30rocblas_trmm_outofplace_kernelI19rocblas_complex_numIfELi32ELi2ELb1ELb1ELb1ELb1ES1_KS1_S1_Ev17rocblas_diagonal_iiT6_lPT7_lllS6_lllPT8_llli
                                        ; -- End function
	.set _ZL30rocblas_trmm_outofplace_kernelI19rocblas_complex_numIfELi32ELi2ELb1ELb1ELb1ELb1ES1_KS1_S1_Ev17rocblas_diagonal_iiT6_lPT7_lllS6_lllPT8_llli.num_vgpr, 71
	.set _ZL30rocblas_trmm_outofplace_kernelI19rocblas_complex_numIfELi32ELi2ELb1ELb1ELb1ELb1ES1_KS1_S1_Ev17rocblas_diagonal_iiT6_lPT7_lllS6_lllPT8_llli.num_agpr, 0
	.set _ZL30rocblas_trmm_outofplace_kernelI19rocblas_complex_numIfELi32ELi2ELb1ELb1ELb1ELb1ES1_KS1_S1_Ev17rocblas_diagonal_iiT6_lPT7_lllS6_lllPT8_llli.numbered_sgpr, 46
	.set _ZL30rocblas_trmm_outofplace_kernelI19rocblas_complex_numIfELi32ELi2ELb1ELb1ELb1ELb1ES1_KS1_S1_Ev17rocblas_diagonal_iiT6_lPT7_lllS6_lllPT8_llli.num_named_barrier, 0
	.set _ZL30rocblas_trmm_outofplace_kernelI19rocblas_complex_numIfELi32ELi2ELb1ELb1ELb1ELb1ES1_KS1_S1_Ev17rocblas_diagonal_iiT6_lPT7_lllS6_lllPT8_llli.private_seg_size, 0
	.set _ZL30rocblas_trmm_outofplace_kernelI19rocblas_complex_numIfELi32ELi2ELb1ELb1ELb1ELb1ES1_KS1_S1_Ev17rocblas_diagonal_iiT6_lPT7_lllS6_lllPT8_llli.uses_vcc, 1
	.set _ZL30rocblas_trmm_outofplace_kernelI19rocblas_complex_numIfELi32ELi2ELb1ELb1ELb1ELb1ES1_KS1_S1_Ev17rocblas_diagonal_iiT6_lPT7_lllS6_lllPT8_llli.uses_flat_scratch, 0
	.set _ZL30rocblas_trmm_outofplace_kernelI19rocblas_complex_numIfELi32ELi2ELb1ELb1ELb1ELb1ES1_KS1_S1_Ev17rocblas_diagonal_iiT6_lPT7_lllS6_lllPT8_llli.has_dyn_sized_stack, 0
	.set _ZL30rocblas_trmm_outofplace_kernelI19rocblas_complex_numIfELi32ELi2ELb1ELb1ELb1ELb1ES1_KS1_S1_Ev17rocblas_diagonal_iiT6_lPT7_lllS6_lllPT8_llli.has_recursion, 0
	.set _ZL30rocblas_trmm_outofplace_kernelI19rocblas_complex_numIfELi32ELi2ELb1ELb1ELb1ELb1ES1_KS1_S1_Ev17rocblas_diagonal_iiT6_lPT7_lllS6_lllPT8_llli.has_indirect_call, 0
	.section	.AMDGPU.csdata,"",@progbits
; Kernel info:
; codeLenInByte = 6632
; TotalNumSgprs: 48
; NumVgprs: 71
; ScratchSize: 0
; MemoryBound: 0
; FloatMode: 240
; IeeeMode: 1
; LDSByteSize: 16384 bytes/workgroup (compile time only)
; SGPRBlocks: 0
; VGPRBlocks: 8
; NumSGPRsForWavesPerEU: 48
; NumVGPRsForWavesPerEU: 71
; Occupancy: 12
; WaveLimiterHint : 0
; COMPUTE_PGM_RSRC2:SCRATCH_EN: 0
; COMPUTE_PGM_RSRC2:USER_SGPR: 6
; COMPUTE_PGM_RSRC2:TRAP_HANDLER: 0
; COMPUTE_PGM_RSRC2:TGID_X_EN: 1
; COMPUTE_PGM_RSRC2:TGID_Y_EN: 1
; COMPUTE_PGM_RSRC2:TGID_Z_EN: 1
; COMPUTE_PGM_RSRC2:TIDIG_COMP_CNT: 1
	.section	.text._ZL30rocblas_trmm_outofplace_kernelI19rocblas_complex_numIfELi32ELi2ELb0ELb0ELb0ELb0EPKS1_S2_S1_Ev17rocblas_diagonal_iiT6_lPT7_lllS7_lllPT8_llli,"axG",@progbits,_ZL30rocblas_trmm_outofplace_kernelI19rocblas_complex_numIfELi32ELi2ELb0ELb0ELb0ELb0EPKS1_S2_S1_Ev17rocblas_diagonal_iiT6_lPT7_lllS7_lllPT8_llli,comdat
	.globl	_ZL30rocblas_trmm_outofplace_kernelI19rocblas_complex_numIfELi32ELi2ELb0ELb0ELb0ELb0EPKS1_S2_S1_Ev17rocblas_diagonal_iiT6_lPT7_lllS7_lllPT8_llli ; -- Begin function _ZL30rocblas_trmm_outofplace_kernelI19rocblas_complex_numIfELi32ELi2ELb0ELb0ELb0ELb0EPKS1_S2_S1_Ev17rocblas_diagonal_iiT6_lPT7_lllS7_lllPT8_llli
	.p2align	8
	.type	_ZL30rocblas_trmm_outofplace_kernelI19rocblas_complex_numIfELi32ELi2ELb0ELb0ELb0ELb0EPKS1_S2_S1_Ev17rocblas_diagonal_iiT6_lPT7_lllS7_lllPT8_llli,@function
_ZL30rocblas_trmm_outofplace_kernelI19rocblas_complex_numIfELi32ELi2ELb0ELb0ELb0ELb0EPKS1_S2_S1_Ev17rocblas_diagonal_iiT6_lPT7_lllS7_lllPT8_llli: ; @_ZL30rocblas_trmm_outofplace_kernelI19rocblas_complex_numIfELi32ELi2ELb0ELb0ELb0ELb0EPKS1_S2_S1_Ev17rocblas_diagonal_iiT6_lPT7_lllS7_lllPT8_llli
; %bb.0:
	s_load_dwordx16 s[12:27], s[4:5], 0x10
	s_waitcnt lgkmcnt(0)
	s_mul_i32 s0, s15, s8
	s_mul_hi_u32 s1, s14, s8
	s_add_i32 s1, s1, s0
	s_mul_i32 s0, s14, s8
	s_lshl_b64 s[0:1], s[0:1], 3
	s_add_u32 s0, s12, s0
	s_addc_u32 s1, s13, s1
	s_load_dwordx2 s[34:35], s[0:1], 0x0
	s_waitcnt lgkmcnt(0)
	s_or_b32 s0, s34, s35
	s_bitset0_b32 s0, 31
	s_cmp_eq_u32 s0, 0
	s_cbranch_scc1 .LBB84_64
; %bb.1:
	s_load_dwordx4 s[12:15], s[4:5], 0x0
	s_waitcnt lgkmcnt(0)
	s_add_i32 s0, s14, -1
	s_ashr_i32 s1, s0, 31
	s_lshr_b32 s1, s1, 27
	s_add_i32 s0, s0, s1
	s_ashr_i32 s11, s0, 5
	s_cmp_gt_i32 s7, s11
	s_cbranch_scc1 .LBB84_64
; %bb.2:
	s_clause 0x2
	s_load_dwordx4 s[28:31], s[4:5], 0x70
	s_load_dwordx8 s[36:43], s[4:5], 0x50
	s_load_dword s33, s[4:5], 0x8c
	v_lshl_add_u32 v2, s6, 5, v0
	v_lshlrev_b32_e32 v44, 8, v1
	v_lshlrev_b32_e32 v4, 3, v0
	s_mul_i32 s4, s23, s8
	s_mul_hi_u32 s5, s22, s8
	v_add_nc_u32_e32 v10, 16, v2
	v_cmp_gt_i32_e32 vcc_lo, s13, v2
	v_add_nc_u32_e32 v45, v44, v4
	v_or_b32_e32 v46, 0x2000, v4
	v_ashrrev_i32_e32 v3, 31, v2
	v_ashrrev_i32_e32 v11, 31, v10
	v_mov_b32_e32 v21, 0
	v_mov_b32_e32 v20, 1.0
	v_add_nc_u32_e32 v47, v46, v44
	v_lshlrev_b64 v[16:17], 3, v[2:3]
	v_add_nc_u32_e32 v48, 0x1000, v46
	v_add_nc_u32_e32 v49, 0x1800, v46
	s_waitcnt lgkmcnt(0)
	s_mul_i32 s1, s31, s8
	s_mul_hi_u32 s2, s30, s8
	s_mul_i32 s0, s30, s8
	s_add_i32 s1, s2, s1
	s_lshl_b64 s[0:1], s[0:1], 3
	s_add_u32 s6, s40, s0
	s_addc_u32 s1, s41, s1
	s_lshl_b64 s[2:3], s[42:43], 3
	v_cmp_gt_i32_e64 s0, s13, v10
	s_add_u32 s40, s6, s2
	s_addc_u32 s41, s1, s3
	s_cmpk_eq_i32 s12, 0x84
	v_sub_co_u32 v4, s1, s13, v2
	s_cselect_b32 s42, -1, 0
	s_ashr_i32 s15, s14, 31
	s_ashr_i32 s2, s13, 31
	s_lshl_b64 s[30:31], s[36:37], 8
	s_add_u32 s12, s14, -16
	s_addc_u32 s13, s15, -1
	s_add_i32 s5, s5, s4
	s_mul_i32 s4, s22, s8
	s_lshl_b64 s[18:19], s[18:19], 3
	s_lshl_b64 s[4:5], s[4:5], 3
	s_lshl_b32 s3, s7, 5
	s_lshl_b32 s43, s33, 5
	s_add_u32 s4, s4, s18
	s_addc_u32 s5, s5, s19
	s_add_u32 s16, s16, s4
	s_addc_u32 s17, s17, s5
	s_mul_i32 s4, s39, s8
	s_mul_hi_u32 s5, s38, s8
	s_add_u32 s18, s24, 0x80
	s_addc_u32 s19, s25, 0
	s_add_i32 s5, s5, s4
	s_mul_i32 s4, s38, s8
	v_sub_co_ci_u32_e64 v5, null, s2, v3, s1
	s_lshl_b64 s[4:5], s[4:5], 3
	s_lshl_b64 s[8:9], s[26:27], 3
	;; [unrolled: 1-line block ×3, first 2 shown]
	v_add_nc_u32_e32 v12, s3, v0
	v_add_nc_u32_e32 v14, s3, v1
	s_add_u32 s3, s4, s8
	s_addc_u32 s4, s5, s9
	v_add_co_u32 v18, s3, s3, v16
	v_cmp_gt_i64_e64 s1, 1, v[4:5]
	v_cmp_gt_i64_e64 s2, 17, v[4:5]
	v_add_co_ci_u32_e64 v19, null, s4, v17, s3
	v_add_nc_u32_e32 v0, 0x800, v46
	s_lshl_b64 s[26:27], s[20:21], 3
	s_branch .LBB84_4
.LBB84_3:                               ;   in Loop: Header=BB84_4 Depth=1
	s_or_b32 exec_lo, exec_lo, s4
	v_add_nc_u32_e32 v12, s43, v12
	v_add_nc_u32_e32 v14, s43, v14
	s_add_i32 s7, s33, s7
	s_cmp_le_i32 s7, s11
	s_cbranch_scc0 .LBB84_64
.LBB84_4:                               ; =>This Loop Header: Depth=1
                                        ;     Child Loop BB84_7 Depth 2
	s_lshl_b32 s3, s7, 5
	v_ashrrev_i32_e32 v13, 31, v12
	v_add_nc_u32_e32 v22, s3, v1
	v_ashrrev_i32_e32 v15, 31, v14
	s_sub_i32 s44, s14, s3
	s_cmp_lt_i32 s44, 1
	v_ashrrev_i32_e32 v23, 31, v22
	s_cbranch_scc1 .LBB84_55
; %bb.5:                                ;   in Loop: Header=BB84_4 Depth=1
	v_lshlrev_b64 v[2:3], 3, v[14:15]
	v_mad_u64_u32 v[30:31], null, s22, v14, s[18:19]
	v_mul_lo_u32 v6, s22, v15
	v_mul_lo_u32 v7, s23, v14
	v_mad_u64_u32 v[32:33], null, s26, v14, s[16:17]
	v_add_co_u32 v2, s3, 0x80, v2
	v_add_co_ci_u32_e64 v3, null, 0, v3, s3
	v_sub_co_u32 v24, s3, v14, v12
	v_mul_lo_u32 v38, s37, v2
	v_mul_lo_u32 v4, s20, v3
	;; [unrolled: 1-line block ×3, first 2 shown]
	v_mad_u64_u32 v[34:35], null, s36, v2, s[24:25]
	v_sub_co_ci_u32_e64 v25, null, v15, v13, s3
	v_mul_lo_u32 v5, s21, v2
	v_mad_u64_u32 v[28:29], null, s20, v2, s[16:17]
	v_mul_lo_u32 v8, s26, v15
	v_mul_lo_u32 v9, s27, v14
	v_add_co_u32 v36, s3, v22, 16
	v_add_co_ci_u32_e64 v37, null, 0, v23, s3
	v_add3_u32 v35, v38, v35, v3
	v_add_co_u32 v38, s5, v24, 16
	v_add_co_ci_u32_e64 v39, null, 0, v25, s5
	v_add_co_u32 v40, s5, v24, -16
	v_lshlrev_b64 v[26:27], 3, v[12:13]
	v_cmp_le_i64_e64 s4, s[14:15], v[36:37]
	v_mov_b32_e32 v43, v19
	v_add3_u32 v29, v5, v29, v4
	v_add3_u32 v31, v7, v31, v6
	;; [unrolled: 1-line block ×3, first 2 shown]
	v_cmp_le_i32_e64 s3, s14, v22
	v_add_co_ci_u32_e64 v41, null, -1, v25, s5
	v_mov_b32_e32 v50, 0
	v_mov_b32_e32 v42, v18
	v_mov_b32_e32 v51, 0
	v_mov_b32_e32 v53, 0
	v_mov_b32_e32 v52, 0
	v_mov_b32_e32 v55, 0
	v_mov_b32_e32 v54, 0
	v_mov_b32_e32 v57, 0
	v_mov_b32_e32 v56, 0
	s_mov_b64 s[38:39], 0
	s_branch .LBB84_7
.LBB84_6:                               ;   in Loop: Header=BB84_7 Depth=2
	s_or_b32 exec_lo, exec_lo, s5
	s_waitcnt lgkmcnt(0)
	s_barrier
	buffer_gl0_inv
	ds_read_b128 v[58:61], v44
	ds_read2_b64 v[62:65], v46 offset1:16
	ds_read_b128 v[66:69], v44 offset:4096
	ds_read_b128 v[70:73], v44 offset:16
	;; [unrolled: 1-line block ×4, first 2 shown]
	ds_read2_b64 v[74:77], v46 offset0:32 offset1:48
	ds_read_b128 v[78:81], v44 offset:4112
	v_add_co_u32 v28, s5, 0x100, v28
	v_add_co_ci_u32_e64 v29, null, 0, v29, s5
	v_add_co_u32 v42, s5, v42, s30
	v_add_co_ci_u32_e64 v43, null, s31, v43, s5
	;; [unrolled: 2-line block ×3, first 2 shown]
	s_add_u32 s38, s38, 32
	s_waitcnt lgkmcnt(6)
	v_mul_f32_e32 v82, v59, v63
	v_mul_f32_e32 v83, v58, v63
	;; [unrolled: 1-line block ×4, first 2 shown]
	s_waitcnt lgkmcnt(5)
	v_mul_f32_e32 v86, v67, v63
	v_mul_f32_e32 v63, v66, v63
	;; [unrolled: 1-line block ×3, first 2 shown]
	v_fma_f32 v82, v58, v62, -v82
	v_fmac_f32_e32 v83, v59, v62
	v_fma_f32 v58, v58, v64, -v84
	v_fmac_f32_e32 v85, v59, v64
	v_fma_f32 v59, v66, v62, -v86
	v_fmac_f32_e32 v63, v67, v62
	v_fma_f32 v62, v66, v64, -v87
	v_mul_f32_e32 v65, v66, v65
	v_add_f32_e32 v58, v54, v58
	v_add_f32_e32 v59, v52, v59
	;; [unrolled: 1-line block ×3, first 2 shown]
	s_waitcnt lgkmcnt(1)
	v_mul_f32_e32 v66, v61, v75
	v_add_f32_e32 v62, v51, v62
	ds_read2_b64 v[51:54], v46 offset0:64 offset1:80
	v_add_f32_e32 v56, v56, v82
	v_fmac_f32_e32 v65, v67, v64
	v_fma_f32 v66, v60, v74, -v66
	v_mul_f32_e32 v67, v61, v77
	v_mul_f32_e32 v64, v60, v75
	v_add_f32_e32 v57, v57, v83
	v_add_f32_e32 v50, v50, v65
	v_mul_f32_e32 v65, v60, v77
	v_add_f32_e32 v66, v56, v66
	v_fma_f32 v56, v60, v76, -v67
	v_mul_f32_e32 v60, v69, v75
	v_add_f32_e32 v55, v55, v85
	v_fmac_f32_e32 v64, v61, v74
	v_fmac_f32_e32 v65, v61, v76
	v_add_f32_e32 v61, v58, v56
	v_fma_f32 v56, v68, v74, -v60
	v_mul_f32_e32 v58, v69, v77
	v_add_f32_e32 v64, v57, v64
	v_mul_f32_e32 v57, v68, v75
	v_add_f32_e32 v60, v55, v65
	;; [unrolled: 2-line block ×3, first 2 shown]
	s_waitcnt lgkmcnt(0)
	v_mul_f32_e32 v56, v71, v52
	v_fmac_f32_e32 v57, v69, v74
	v_fma_f32 v55, v68, v76, -v58
	v_fmac_f32_e32 v65, v69, v76
	v_mul_f32_e32 v67, v70, v52
	v_fma_f32 v68, v70, v51, -v56
	v_mul_f32_e32 v69, v71, v54
	v_add_f32_e32 v63, v63, v57
	v_add_f32_e32 v62, v62, v55
	ds_read2_b64 v[55:58], v46 offset0:96 offset1:112
	v_fmac_f32_e32 v67, v71, v51
	v_add_f32_e32 v65, v50, v65
	v_add_f32_e32 v66, v66, v68
	v_mul_f32_e32 v50, v70, v54
	v_fma_f32 v68, v70, v53, -v69
	v_add_f32_e32 v64, v64, v67
	v_mul_f32_e32 v67, v79, v52
	v_mul_f32_e32 v52, v78, v52
	v_fmac_f32_e32 v50, v71, v53
	v_add_f32_e32 v61, v61, v68
	v_mul_f32_e32 v68, v79, v54
	v_mul_f32_e32 v54, v78, v54
	v_fmac_f32_e32 v52, v79, v51
	v_add_f32_e32 v60, v60, v50
	v_fma_f32 v67, v78, v51, -v67
	v_fma_f32 v50, v78, v53, -v68
	v_fmac_f32_e32 v54, v79, v53
	v_add_f32_e32 v63, v63, v52
	s_addc_u32 s39, s39, 0
	v_add_f32_e32 v67, v59, v67
	v_add_f32_e32 v68, v62, v50
	ds_read2_b64 v[50:53], v46 offset0:128 offset1:144
	s_waitcnt lgkmcnt(1)
	v_mul_f32_e32 v59, v73, v56
	v_add_f32_e32 v65, v65, v54
	v_mul_f32_e32 v54, v72, v58
	v_mul_f32_e32 v62, v72, v56
	v_mul_f32_e32 v69, v73, v58
	v_fma_f32 v59, v72, v55, -v59
	s_cmp_ge_i32 s38, s44
	v_fmac_f32_e32 v54, v73, v57
	v_fmac_f32_e32 v62, v73, v55
	v_fma_f32 v69, v72, v57, -v69
	v_add_f32_e32 v66, v66, v59
	v_mul_f32_e32 v59, v81, v56
	v_mul_f32_e32 v56, v80, v56
	v_add_f32_e32 v71, v60, v54
	v_mul_f32_e32 v54, v81, v58
	v_add_f32_e32 v64, v64, v62
	v_add_f32_e32 v69, v61, v69
	v_fma_f32 v70, v80, v55, -v59
	ds_read_b128 v[59:62], v44 offset:4128
	v_fmac_f32_e32 v56, v81, v55
	v_mul_f32_e32 v58, v80, v58
	v_fma_f32 v54, v80, v57, -v54
	s_waitcnt lgkmcnt(1)
	v_mul_f32_e32 v55, v7, v51
	v_add_f32_e32 v67, v67, v70
	v_add_f32_e32 v70, v63, v56
	v_fmac_f32_e32 v58, v81, v57
	v_add_f32_e32 v68, v68, v54
	v_fma_f32 v72, v6, v50, -v55
	ds_read2_b64 v[54:57], v46 offset0:160 offset1:176
	v_mul_f32_e32 v63, v6, v51
	v_mul_f32_e32 v73, v7, v53
	;; [unrolled: 1-line block ×3, first 2 shown]
	v_add_f32_e32 v58, v65, v58
	v_add_f32_e32 v72, v66, v72
	v_fmac_f32_e32 v63, v7, v50
	v_fma_f32 v6, v6, v52, -v73
	v_fmac_f32_e32 v74, v7, v52
	v_add_f32_e32 v75, v64, v63
	ds_read_b128 v[63:66], v44 offset:4144
	s_waitcnt lgkmcnt(2)
	v_mul_f32_e32 v73, v60, v51
	v_mul_f32_e32 v7, v59, v51
	;; [unrolled: 1-line block ×3, first 2 shown]
	v_add_f32_e32 v6, v69, v6
	v_add_f32_e32 v71, v71, v74
	v_fma_f32 v69, v59, v50, -v73
	v_fmac_f32_e32 v7, v60, v50
	v_mul_f32_e32 v73, v59, v53
	v_fma_f32 v50, v59, v52, -v51
	s_waitcnt lgkmcnt(1)
	v_mul_f32_e32 v51, v9, v55
	v_add_f32_e32 v59, v67, v69
	v_mul_f32_e32 v69, v9, v57
	v_fmac_f32_e32 v73, v60, v52
	v_add_f32_e32 v60, v68, v50
	v_fma_f32 v68, v8, v54, -v51
	ds_read2_b64 v[50:53], v46 offset0:192 offset1:208
	v_add_f32_e32 v7, v70, v7
	v_mul_f32_e32 v67, v8, v55
	v_mul_f32_e32 v70, v8, v57
	v_fma_f32 v8, v8, v56, -v69
	v_mul_f32_e32 v69, v62, v55
	v_mul_f32_e32 v55, v61, v55
	v_add_f32_e32 v68, v72, v68
	v_fmac_f32_e32 v67, v9, v54
	v_add_f32_e32 v72, v6, v8
	v_fma_f32 v6, v61, v54, -v69
	v_fmac_f32_e32 v55, v62, v54
	v_mul_f32_e32 v8, v62, v57
	v_fmac_f32_e32 v70, v9, v56
	v_mul_f32_e32 v57, v61, v57
	v_add_f32_e32 v59, v59, v6
	v_add_f32_e32 v55, v7, v55
	v_fma_f32 v61, v61, v56, -v8
	ds_read2_b64 v[6:9], v46 offset0:224 offset1:240
	v_fmac_f32_e32 v57, v62, v56
	s_waitcnt lgkmcnt(1)
	v_mul_f32_e32 v69, v3, v51
	v_mul_f32_e32 v56, v2, v51
	v_add_f32_e32 v67, v75, v67
	v_add_f32_e32 v60, v60, v61
	v_mul_f32_e32 v62, v3, v53
	v_fma_f32 v61, v2, v50, -v69
	v_fmac_f32_e32 v56, v3, v50
	v_mul_f32_e32 v69, v2, v53
	v_add_f32_e32 v58, v58, v73
	v_fma_f32 v2, v2, v52, -v62
	v_add_f32_e32 v54, v71, v70
	v_add_f32_e32 v62, v67, v56
	v_fmac_f32_e32 v69, v3, v52
	v_mul_f32_e32 v3, v64, v51
	v_mul_f32_e32 v51, v63, v51
	;; [unrolled: 1-line block ×3, first 2 shown]
	v_add_f32_e32 v61, v68, v61
	v_mul_f32_e32 v68, v63, v53
	v_fma_f32 v3, v63, v50, -v3
	v_fmac_f32_e32 v51, v64, v50
	v_fma_f32 v50, v63, v52, -v56
	s_waitcnt lgkmcnt(0)
	v_mul_f32_e32 v53, v5, v7
	v_add_f32_e32 v58, v58, v57
	v_add_f32_e32 v67, v54, v69
	;; [unrolled: 1-line block ×4, first 2 shown]
	v_fmac_f32_e32 v68, v64, v52
	v_add_f32_e32 v64, v60, v50
	v_fma_f32 v3, v4, v6, -v53
	ds_read_b128 v[50:53], v44 offset:64
	ds_read2_b64 v[54:57], v0 offset1:16
	v_mul_f32_e32 v60, v4, v7
	v_mul_f32_e32 v69, v5, v9
	v_add_f32_e32 v2, v72, v2
	v_add_f32_e32 v68, v58, v68
	v_mul_f32_e32 v58, v4, v9
	v_fmac_f32_e32 v60, v5, v6
	v_add_f32_e32 v70, v61, v3
	v_fma_f32 v3, v4, v8, -v69
	v_mul_f32_e32 v4, v66, v7
	v_mul_f32_e32 v7, v65, v7
	;; [unrolled: 1-line block ×3, first 2 shown]
	v_add_f32_e32 v62, v62, v60
	v_fmac_f32_e32 v58, v5, v8
	v_add_f32_e32 v69, v2, v3
	v_fma_f32 v60, v65, v6, -v4
	v_fmac_f32_e32 v7, v66, v6
	ds_read_b128 v[2:5], v44 offset:4160
	v_fma_f32 v6, v65, v8, -v61
	v_mul_f32_e32 v65, v65, v9
	s_waitcnt lgkmcnt(1)
	v_mul_f32_e32 v9, v51, v55
	v_add_f32_e32 v72, v63, v7
	v_mul_f32_e32 v63, v50, v55
	v_mul_f32_e32 v73, v51, v57
	v_fmac_f32_e32 v65, v66, v8
	v_add_f32_e32 v66, v64, v6
	v_fma_f32 v64, v50, v54, -v9
	ds_read2_b64 v[6:9], v0 offset0:32 offset1:48
	v_mul_f32_e32 v74, v50, v57
	v_add_f32_e32 v67, v67, v58
	v_add_f32_e32 v71, v59, v60
	ds_read_b128 v[58:61], v44 offset:80
	v_fmac_f32_e32 v63, v51, v54
	v_fma_f32 v50, v50, v56, -v73
	v_fmac_f32_e32 v74, v51, v56
	v_add_f32_e32 v70, v70, v64
	v_add_f32_e32 v68, v68, v65
	s_waitcnt lgkmcnt(2)
	v_mul_f32_e32 v73, v3, v55
	v_mul_f32_e32 v51, v2, v55
	;; [unrolled: 1-line block ×3, first 2 shown]
	v_add_f32_e32 v50, v69, v50
	v_add_f32_e32 v75, v62, v63
	v_fma_f32 v69, v2, v54, -v73
	v_fmac_f32_e32 v51, v3, v54
	v_mul_f32_e32 v73, v2, v57
	v_fma_f32 v2, v2, v56, -v55
	ds_read_b128 v[62:65], v44 offset:4176
	s_waitcnt lgkmcnt(2)
	v_mul_f32_e32 v54, v53, v7
	v_add_f32_e32 v69, v71, v69
	v_fmac_f32_e32 v73, v3, v56
	v_add_f32_e32 v66, v66, v2
	v_mul_f32_e32 v2, v52, v7
	v_fma_f32 v3, v52, v6, -v54
	ds_read2_b64 v[54:57], v0 offset0:64 offset1:80
	v_mul_f32_e32 v71, v53, v9
	v_add_f32_e32 v67, v67, v74
	v_fmac_f32_e32 v2, v53, v6
	v_add_f32_e32 v70, v70, v3
	v_mul_f32_e32 v3, v52, v9
	v_fma_f32 v52, v52, v8, -v71
	v_mul_f32_e32 v71, v5, v7
	v_mul_f32_e32 v7, v4, v7
	v_add_f32_e32 v51, v72, v51
	v_add_f32_e32 v72, v75, v2
	v_fmac_f32_e32 v3, v53, v8
	v_fma_f32 v2, v4, v6, -v71
	v_fmac_f32_e32 v7, v5, v6
	v_mul_f32_e32 v6, v5, v9
	v_mul_f32_e32 v9, v4, v9
	v_add_f32_e32 v50, v50, v52
	v_add_f32_e32 v52, v67, v3
	;; [unrolled: 1-line block ×3, first 2 shown]
	v_fma_f32 v6, v4, v8, -v6
	v_fmac_f32_e32 v9, v5, v8
	ds_read2_b64 v[2:5], v0 offset0:96 offset1:112
	v_add_f32_e32 v68, v68, v73
	v_add_f32_e32 v7, v51, v7
	s_waitcnt lgkmcnt(1)
	v_mul_f32_e32 v51, v59, v55
	v_mul_f32_e32 v8, v58, v55
	v_add_f32_e32 v6, v66, v6
	v_mul_f32_e32 v66, v59, v57
	v_add_f32_e32 v68, v68, v9
	v_fma_f32 v51, v58, v54, -v51
	v_fmac_f32_e32 v8, v59, v54
	v_mul_f32_e32 v67, v58, v57
	v_fma_f32 v9, v58, v56, -v66
	v_add_f32_e32 v69, v70, v51
	v_add_f32_e32 v58, v72, v8
	v_mul_f32_e32 v8, v63, v55
	v_mul_f32_e32 v51, v62, v55
	v_add_f32_e32 v55, v50, v9
	v_mul_f32_e32 v9, v63, v57
	v_fmac_f32_e32 v67, v59, v56
	v_fma_f32 v8, v62, v54, -v8
	v_fmac_f32_e32 v51, v63, v54
	v_mul_f32_e32 v54, v62, v57
	v_fma_f32 v9, v62, v56, -v9
	s_waitcnt lgkmcnt(0)
	v_mul_f32_e32 v50, v61, v3
	v_add_f32_e32 v59, v52, v67
	v_add_f32_e32 v62, v53, v8
	;; [unrolled: 1-line block ×3, first 2 shown]
	v_fmac_f32_e32 v54, v63, v56
	v_add_f32_e32 v63, v6, v9
	v_fma_f32 v56, v60, v2, -v50
	ds_read_b128 v[6:9], v44 offset:96
	ds_read2_b64 v[50:53], v0 offset0:128 offset1:144
	v_mul_f32_e32 v57, v60, v3
	v_mul_f32_e32 v67, v61, v5
	v_add_f32_e32 v68, v68, v54
	v_mul_f32_e32 v54, v60, v5
	v_add_f32_e32 v69, v69, v56
	v_fmac_f32_e32 v57, v61, v2
	v_fma_f32 v56, v60, v4, -v67
	v_mul_f32_e32 v60, v65, v3
	v_fmac_f32_e32 v54, v61, v4
	v_mul_f32_e32 v3, v64, v3
	v_add_f32_e32 v67, v58, v57
	v_add_f32_e32 v70, v55, v56
	v_fma_f32 v58, v64, v2, -v60
	v_mul_f32_e32 v60, v65, v5
	v_add_f32_e32 v71, v59, v54
	v_fmac_f32_e32 v3, v65, v2
	ds_read_b128 v[54:57], v44 offset:4192
	v_add_f32_e32 v72, v62, v58
	v_fma_f32 v2, v64, v4, -v60
	v_mul_f32_e32 v62, v64, v5
	s_waitcnt lgkmcnt(1)
	v_mul_f32_e32 v5, v7, v51
	v_add_f32_e32 v66, v66, v3
	v_mul_f32_e32 v64, v6, v51
	v_add_f32_e32 v73, v63, v2
	v_fmac_f32_e32 v62, v65, v4
	v_fma_f32 v63, v6, v50, -v5
	ds_read2_b64 v[2:5], v0 offset0:160 offset1:176
	v_mul_f32_e32 v65, v7, v53
	v_mul_f32_e32 v74, v6, v53
	ds_read_b128 v[58:61], v44 offset:112
	v_fmac_f32_e32 v64, v7, v50
	v_add_f32_e32 v69, v69, v63
	v_fma_f32 v6, v6, v52, -v65
	v_fmac_f32_e32 v74, v7, v52
	v_add_f32_e32 v68, v68, v62
	v_add_f32_e32 v67, v67, v64
	s_waitcnt lgkmcnt(2)
	v_mul_f32_e32 v75, v55, v51
	v_mul_f32_e32 v7, v54, v51
	;; [unrolled: 1-line block ×3, first 2 shown]
	v_add_f32_e32 v6, v70, v6
	v_add_f32_e32 v71, v71, v74
	v_fma_f32 v70, v54, v50, -v75
	v_fmac_f32_e32 v7, v55, v50
	v_mul_f32_e32 v74, v54, v53
	v_fma_f32 v50, v54, v52, -v51
	ds_read_b128 v[62:65], v44 offset:4208
	s_waitcnt lgkmcnt(2)
	v_mul_f32_e32 v51, v9, v3
	v_add_f32_e32 v54, v72, v70
	v_fmac_f32_e32 v74, v55, v52
	v_add_f32_e32 v55, v73, v50
	v_add_f32_e32 v7, v66, v7
	v_fma_f32 v70, v8, v2, -v51
	ds_read2_b64 v[50:53], v0 offset0:192 offset1:208
	v_mul_f32_e32 v66, v8, v3
	v_mul_f32_e32 v72, v9, v5
	v_add_f32_e32 v68, v68, v74
	v_add_f32_e32 v69, v69, v70
	v_mul_f32_e32 v70, v8, v5
	v_fmac_f32_e32 v66, v9, v2
	v_fma_f32 v8, v8, v4, -v72
	v_mul_f32_e32 v72, v57, v3
	v_mul_f32_e32 v3, v56, v3
	v_fmac_f32_e32 v70, v9, v4
	v_add_f32_e32 v66, v67, v66
	v_add_f32_e32 v6, v6, v8
	v_fma_f32 v8, v56, v2, -v72
	v_fmac_f32_e32 v3, v57, v2
	v_mul_f32_e32 v2, v57, v5
	v_mul_f32_e32 v67, v56, v5
	v_add_f32_e32 v9, v71, v70
	v_add_f32_e32 v8, v54, v8
	;; [unrolled: 1-line block ×3, first 2 shown]
	v_fma_f32 v54, v56, v4, -v2
	s_waitcnt lgkmcnt(0)
	v_mul_f32_e32 v56, v59, v51
	v_fmac_f32_e32 v67, v57, v4
	ds_read2_b64 v[2:5], v0 offset0:224 offset1:240
	v_mul_f32_e32 v70, v58, v53
	v_add_f32_e32 v54, v55, v54
	v_fma_f32 v55, v58, v50, -v56
	v_mul_f32_e32 v56, v59, v53
	v_mul_f32_e32 v57, v58, v51
	v_fmac_f32_e32 v70, v59, v52
	v_add_f32_e32 v67, v68, v67
	v_add_f32_e32 v55, v69, v55
	v_fma_f32 v56, v58, v52, -v56
	v_mul_f32_e32 v58, v63, v51
	v_mul_f32_e32 v51, v62, v51
	v_fmac_f32_e32 v57, v59, v50
	v_add_f32_e32 v59, v9, v70
	v_add_f32_e32 v56, v6, v56
	v_mul_f32_e32 v6, v63, v53
	v_fma_f32 v9, v62, v50, -v58
	v_fmac_f32_e32 v51, v63, v50
	v_mul_f32_e32 v58, v62, v53
	v_add_f32_e32 v57, v66, v57
	v_fma_f32 v6, v62, v52, -v6
	s_waitcnt lgkmcnt(0)
	v_mul_f32_e32 v50, v61, v3
	v_add_f32_e32 v62, v8, v9
	v_add_f32_e32 v66, v7, v51
	v_fmac_f32_e32 v58, v63, v52
	v_add_f32_e32 v63, v54, v6
	v_fma_f32 v54, v60, v2, -v50
	ds_read_b128 v[6:9], v44 offset:128
	ds_read2_b64 v[50:53], v48 offset1:16
	v_mul_f32_e32 v68, v60, v3
	v_mul_f32_e32 v69, v61, v5
	v_add_f32_e32 v67, v67, v58
	v_mul_f32_e32 v58, v60, v5
	v_add_f32_e32 v70, v55, v54
	v_mul_f32_e32 v55, v65, v3
	v_fmac_f32_e32 v68, v61, v2
	v_fma_f32 v54, v60, v4, -v69
	v_fmac_f32_e32 v58, v61, v4
	v_mul_f32_e32 v3, v64, v3
	v_fma_f32 v60, v64, v2, -v55
	v_mul_f32_e32 v61, v65, v5
	v_add_f32_e32 v68, v57, v68
	v_add_f32_e32 v69, v56, v54
	v_fmac_f32_e32 v3, v65, v2
	ds_read_b128 v[54:57], v44 offset:4224
	v_add_f32_e32 v72, v62, v60
	v_fma_f32 v2, v64, v4, -v61
	v_mul_f32_e32 v62, v64, v5
	s_waitcnt lgkmcnt(1)
	v_mul_f32_e32 v5, v7, v51
	v_add_f32_e32 v66, v66, v3
	v_mul_f32_e32 v64, v6, v51
	v_add_f32_e32 v73, v63, v2
	v_fmac_f32_e32 v62, v65, v4
	v_fma_f32 v63, v6, v50, -v5
	ds_read2_b64 v[2:5], v48 offset0:32 offset1:48
	v_mul_f32_e32 v65, v7, v53
	v_mul_f32_e32 v74, v6, v53
	v_add_f32_e32 v71, v59, v58
	ds_read_b128 v[58:61], v44 offset:144
	v_fmac_f32_e32 v64, v7, v50
	v_fma_f32 v6, v6, v52, -v65
	v_fmac_f32_e32 v74, v7, v52
	v_add_f32_e32 v70, v70, v63
	v_add_f32_e32 v67, v67, v62
	s_waitcnt lgkmcnt(2)
	v_mul_f32_e32 v75, v55, v51
	v_mul_f32_e32 v7, v54, v51
	;; [unrolled: 1-line block ×3, first 2 shown]
	v_add_f32_e32 v6, v69, v6
	v_add_f32_e32 v71, v71, v74
	v_fma_f32 v69, v54, v50, -v75
	v_fmac_f32_e32 v7, v55, v50
	v_mul_f32_e32 v74, v54, v53
	v_fma_f32 v50, v54, v52, -v51
	v_add_f32_e32 v68, v68, v64
	s_waitcnt lgkmcnt(1)
	v_mul_f32_e32 v51, v9, v3
	v_add_f32_e32 v54, v72, v69
	v_fmac_f32_e32 v74, v55, v52
	v_add_f32_e32 v55, v73, v50
	v_add_f32_e32 v7, v66, v7
	v_fma_f32 v69, v8, v2, -v51
	ds_read2_b64 v[50:53], v48 offset0:64 offset1:80
	v_mul_f32_e32 v66, v8, v3
	v_mul_f32_e32 v72, v9, v5
	ds_read_b128 v[62:65], v44 offset:4240
	v_add_f32_e32 v69, v70, v69
	v_mul_f32_e32 v70, v8, v5
	v_fmac_f32_e32 v66, v9, v2
	v_fma_f32 v8, v8, v4, -v72
	v_mul_f32_e32 v72, v57, v3
	v_mul_f32_e32 v3, v56, v3
	v_fmac_f32_e32 v70, v9, v4
	v_add_f32_e32 v66, v68, v66
	v_add_f32_e32 v6, v6, v8
	v_fma_f32 v8, v56, v2, -v72
	v_fmac_f32_e32 v3, v57, v2
	v_mul_f32_e32 v2, v57, v5
	v_mul_f32_e32 v68, v56, v5
	v_add_f32_e32 v9, v71, v70
	v_add_f32_e32 v8, v54, v8
	;; [unrolled: 1-line block ×3, first 2 shown]
	v_fma_f32 v54, v56, v4, -v2
	s_waitcnt lgkmcnt(1)
	v_mul_f32_e32 v56, v59, v51
	v_fmac_f32_e32 v68, v57, v4
	ds_read2_b64 v[2:5], v48 offset0:96 offset1:112
	v_mul_f32_e32 v70, v58, v53
	v_add_f32_e32 v54, v55, v54
	v_fma_f32 v55, v58, v50, -v56
	v_mul_f32_e32 v56, v59, v53
	v_mul_f32_e32 v57, v58, v51
	v_fmac_f32_e32 v70, v59, v52
	v_add_f32_e32 v67, v67, v74
	v_add_f32_e32 v55, v69, v55
	v_fma_f32 v56, v58, v52, -v56
	s_waitcnt lgkmcnt(1)
	v_mul_f32_e32 v58, v63, v51
	v_mul_f32_e32 v51, v62, v51
	v_fmac_f32_e32 v57, v59, v50
	v_add_f32_e32 v59, v9, v70
	v_add_f32_e32 v56, v6, v56
	v_mul_f32_e32 v6, v63, v53
	v_fma_f32 v9, v62, v50, -v58
	v_fmac_f32_e32 v51, v63, v50
	v_mul_f32_e32 v58, v62, v53
	v_add_f32_e32 v57, v66, v57
	v_fma_f32 v6, v62, v52, -v6
	s_waitcnt lgkmcnt(0)
	v_mul_f32_e32 v50, v61, v3
	v_add_f32_e32 v62, v8, v9
	v_add_f32_e32 v66, v7, v51
	v_fmac_f32_e32 v58, v63, v52
	v_add_f32_e32 v63, v54, v6
	v_fma_f32 v54, v60, v2, -v50
	ds_read_b128 v[6:9], v44 offset:160
	ds_read2_b64 v[50:53], v48 offset0:128 offset1:144
	v_add_f32_e32 v67, v67, v68
	v_mul_f32_e32 v68, v60, v3
	v_mul_f32_e32 v69, v61, v5
	v_add_f32_e32 v70, v55, v54
	v_mul_f32_e32 v55, v65, v3
	v_add_f32_e32 v67, v67, v58
	v_mul_f32_e32 v58, v60, v5
	v_fmac_f32_e32 v68, v61, v2
	v_fma_f32 v54, v60, v4, -v69
	v_mul_f32_e32 v3, v64, v3
	v_fma_f32 v60, v64, v2, -v55
	v_fmac_f32_e32 v58, v61, v4
	v_mul_f32_e32 v61, v65, v5
	v_add_f32_e32 v68, v57, v68
	v_add_f32_e32 v69, v56, v54
	v_fmac_f32_e32 v3, v65, v2
	ds_read_b128 v[54:57], v44 offset:4256
	v_add_f32_e32 v72, v62, v60
	v_fma_f32 v2, v64, v4, -v61
	v_mul_f32_e32 v62, v64, v5
	s_waitcnt lgkmcnt(1)
	v_mul_f32_e32 v5, v7, v51
	v_add_f32_e32 v66, v66, v3
	v_mul_f32_e32 v64, v6, v51
	v_add_f32_e32 v73, v63, v2
	v_fmac_f32_e32 v62, v65, v4
	v_fma_f32 v63, v6, v50, -v5
	ds_read2_b64 v[2:5], v48 offset0:160 offset1:176
	v_mul_f32_e32 v65, v7, v53
	v_mul_f32_e32 v74, v6, v53
	v_add_f32_e32 v71, v59, v58
	ds_read_b128 v[58:61], v44 offset:176
	v_fmac_f32_e32 v64, v7, v50
	v_fma_f32 v6, v6, v52, -v65
	v_fmac_f32_e32 v74, v7, v52
	v_add_f32_e32 v70, v70, v63
	v_add_f32_e32 v67, v67, v62
	s_waitcnt lgkmcnt(2)
	v_mul_f32_e32 v75, v55, v51
	v_mul_f32_e32 v7, v54, v51
	;; [unrolled: 1-line block ×3, first 2 shown]
	v_add_f32_e32 v6, v69, v6
	v_add_f32_e32 v71, v71, v74
	v_fma_f32 v69, v54, v50, -v75
	v_fmac_f32_e32 v7, v55, v50
	v_mul_f32_e32 v74, v54, v53
	v_fma_f32 v50, v54, v52, -v51
	v_add_f32_e32 v68, v68, v64
	s_waitcnt lgkmcnt(1)
	v_mul_f32_e32 v51, v9, v3
	v_add_f32_e32 v54, v72, v69
	v_fmac_f32_e32 v74, v55, v52
	v_add_f32_e32 v55, v73, v50
	v_add_f32_e32 v7, v66, v7
	v_fma_f32 v69, v8, v2, -v51
	ds_read2_b64 v[50:53], v48 offset0:192 offset1:208
	v_mul_f32_e32 v66, v8, v3
	v_mul_f32_e32 v72, v9, v5
	ds_read_b128 v[62:65], v44 offset:4272
	v_add_f32_e32 v69, v70, v69
	v_mul_f32_e32 v70, v8, v5
	v_fmac_f32_e32 v66, v9, v2
	v_fma_f32 v8, v8, v4, -v72
	v_mul_f32_e32 v72, v57, v3
	v_mul_f32_e32 v3, v56, v3
	v_fmac_f32_e32 v70, v9, v4
	v_add_f32_e32 v66, v68, v66
	v_add_f32_e32 v6, v6, v8
	v_fma_f32 v8, v56, v2, -v72
	v_fmac_f32_e32 v3, v57, v2
	v_mul_f32_e32 v2, v57, v5
	v_mul_f32_e32 v68, v56, v5
	v_add_f32_e32 v9, v71, v70
	v_add_f32_e32 v8, v54, v8
	;; [unrolled: 1-line block ×3, first 2 shown]
	v_fma_f32 v54, v56, v4, -v2
	s_waitcnt lgkmcnt(1)
	v_mul_f32_e32 v56, v59, v51
	v_fmac_f32_e32 v68, v57, v4
	ds_read2_b64 v[2:5], v48 offset0:224 offset1:240
	v_mul_f32_e32 v70, v58, v53
	v_add_f32_e32 v54, v55, v54
	v_fma_f32 v55, v58, v50, -v56
	v_mul_f32_e32 v56, v59, v53
	v_mul_f32_e32 v57, v58, v51
	v_fmac_f32_e32 v70, v59, v52
	v_add_f32_e32 v67, v67, v74
	v_add_f32_e32 v55, v69, v55
	v_fma_f32 v56, v58, v52, -v56
	s_waitcnt lgkmcnt(1)
	v_mul_f32_e32 v58, v63, v51
	v_mul_f32_e32 v51, v62, v51
	v_fmac_f32_e32 v57, v59, v50
	v_add_f32_e32 v59, v9, v70
	v_add_f32_e32 v56, v6, v56
	v_mul_f32_e32 v6, v63, v53
	v_fma_f32 v9, v62, v50, -v58
	v_fmac_f32_e32 v51, v63, v50
	v_mul_f32_e32 v58, v62, v53
	v_add_f32_e32 v57, v66, v57
	v_fma_f32 v6, v62, v52, -v6
	s_waitcnt lgkmcnt(0)
	v_mul_f32_e32 v50, v61, v3
	v_add_f32_e32 v62, v8, v9
	v_add_f32_e32 v66, v7, v51
	v_fmac_f32_e32 v58, v63, v52
	v_add_f32_e32 v63, v54, v6
	v_fma_f32 v54, v60, v2, -v50
	ds_read_b128 v[6:9], v44 offset:192
	ds_read2_b64 v[50:53], v49 offset1:16
	v_add_f32_e32 v67, v67, v68
	v_mul_f32_e32 v68, v60, v3
	v_mul_f32_e32 v69, v61, v5
	v_add_f32_e32 v70, v55, v54
	v_mul_f32_e32 v55, v65, v3
	v_add_f32_e32 v67, v67, v58
	v_mul_f32_e32 v58, v60, v5
	v_fmac_f32_e32 v68, v61, v2
	v_fma_f32 v54, v60, v4, -v69
	v_mul_f32_e32 v3, v64, v3
	v_fma_f32 v60, v64, v2, -v55
	v_fmac_f32_e32 v58, v61, v4
	v_mul_f32_e32 v61, v65, v5
	v_add_f32_e32 v68, v57, v68
	v_add_f32_e32 v69, v56, v54
	v_fmac_f32_e32 v3, v65, v2
	ds_read_b128 v[54:57], v44 offset:4288
	v_add_f32_e32 v72, v62, v60
	v_fma_f32 v2, v64, v4, -v61
	v_mul_f32_e32 v62, v64, v5
	s_waitcnt lgkmcnt(1)
	v_mul_f32_e32 v5, v7, v51
	v_add_f32_e32 v66, v66, v3
	v_mul_f32_e32 v64, v6, v51
	v_add_f32_e32 v73, v63, v2
	v_fmac_f32_e32 v62, v65, v4
	v_fma_f32 v63, v6, v50, -v5
	ds_read2_b64 v[2:5], v49 offset0:32 offset1:48
	v_mul_f32_e32 v65, v7, v53
	v_mul_f32_e32 v74, v6, v53
	v_add_f32_e32 v71, v59, v58
	ds_read_b128 v[58:61], v44 offset:208
	v_fmac_f32_e32 v64, v7, v50
	v_fma_f32 v6, v6, v52, -v65
	v_fmac_f32_e32 v74, v7, v52
	v_add_f32_e32 v70, v70, v63
	v_add_f32_e32 v67, v67, v62
	s_waitcnt lgkmcnt(2)
	v_mul_f32_e32 v75, v55, v51
	v_mul_f32_e32 v7, v54, v51
	v_mul_f32_e32 v51, v55, v53
	v_add_f32_e32 v6, v69, v6
	v_add_f32_e32 v71, v71, v74
	v_fma_f32 v69, v54, v50, -v75
	v_fmac_f32_e32 v7, v55, v50
	v_mul_f32_e32 v74, v54, v53
	v_fma_f32 v50, v54, v52, -v51
	v_add_f32_e32 v68, v68, v64
	s_waitcnt lgkmcnt(1)
	v_mul_f32_e32 v51, v9, v3
	v_add_f32_e32 v54, v72, v69
	v_fmac_f32_e32 v74, v55, v52
	v_add_f32_e32 v55, v73, v50
	v_add_f32_e32 v7, v66, v7
	v_fma_f32 v69, v8, v2, -v51
	ds_read2_b64 v[50:53], v49 offset0:64 offset1:80
	v_mul_f32_e32 v66, v8, v3
	v_mul_f32_e32 v72, v9, v5
	ds_read_b128 v[62:65], v44 offset:4304
	v_add_f32_e32 v69, v70, v69
	v_mul_f32_e32 v70, v8, v5
	v_fmac_f32_e32 v66, v9, v2
	v_fma_f32 v8, v8, v4, -v72
	v_mul_f32_e32 v72, v57, v3
	v_mul_f32_e32 v3, v56, v3
	v_fmac_f32_e32 v70, v9, v4
	v_add_f32_e32 v66, v68, v66
	v_add_f32_e32 v6, v6, v8
	v_fma_f32 v8, v56, v2, -v72
	v_fmac_f32_e32 v3, v57, v2
	v_mul_f32_e32 v2, v57, v5
	v_mul_f32_e32 v68, v56, v5
	v_add_f32_e32 v9, v71, v70
	v_add_f32_e32 v8, v54, v8
	;; [unrolled: 1-line block ×3, first 2 shown]
	v_fma_f32 v54, v56, v4, -v2
	s_waitcnt lgkmcnt(1)
	v_mul_f32_e32 v56, v59, v51
	v_fmac_f32_e32 v68, v57, v4
	ds_read2_b64 v[2:5], v49 offset0:96 offset1:112
	v_mul_f32_e32 v70, v58, v53
	v_add_f32_e32 v54, v55, v54
	v_fma_f32 v55, v58, v50, -v56
	v_mul_f32_e32 v56, v59, v53
	v_mul_f32_e32 v57, v58, v51
	v_fmac_f32_e32 v70, v59, v52
	v_add_f32_e32 v67, v67, v74
	v_add_f32_e32 v55, v69, v55
	v_fma_f32 v56, v58, v52, -v56
	s_waitcnt lgkmcnt(1)
	v_mul_f32_e32 v58, v63, v51
	v_mul_f32_e32 v51, v62, v51
	v_fmac_f32_e32 v57, v59, v50
	v_add_f32_e32 v59, v9, v70
	v_add_f32_e32 v56, v6, v56
	v_mul_f32_e32 v6, v63, v53
	v_fma_f32 v9, v62, v50, -v58
	v_fmac_f32_e32 v51, v63, v50
	v_mul_f32_e32 v58, v62, v53
	v_add_f32_e32 v67, v67, v68
	v_fma_f32 v6, v62, v52, -v6
	s_waitcnt lgkmcnt(0)
	v_mul_f32_e32 v50, v61, v3
	v_add_f32_e32 v57, v66, v57
	v_add_f32_e32 v62, v8, v9
	;; [unrolled: 1-line block ×3, first 2 shown]
	v_fmac_f32_e32 v58, v63, v52
	v_add_f32_e32 v63, v54, v6
	v_fma_f32 v54, v60, v2, -v50
	ds_read_b128 v[6:9], v44 offset:224
	ds_read2_b64 v[50:53], v49 offset0:128 offset1:144
	v_mul_f32_e32 v68, v60, v3
	v_mul_f32_e32 v69, v61, v5
	v_add_f32_e32 v67, v67, v58
	v_mul_f32_e32 v58, v60, v5
	v_fmac_f32_e32 v68, v61, v2
	v_fma_f32 v60, v60, v4, -v69
	v_add_f32_e32 v69, v55, v54
	v_mul_f32_e32 v54, v65, v3
	v_fmac_f32_e32 v58, v61, v4
	v_add_f32_e32 v68, v57, v68
	v_add_f32_e32 v70, v56, v60
	v_mul_f32_e32 v3, v64, v3
	v_fma_f32 v60, v64, v2, -v54
	v_add_f32_e32 v71, v59, v58
	v_mul_f32_e32 v58, v65, v5
	ds_read_b128 v[54:57], v44 offset:4320
	v_fmac_f32_e32 v3, v65, v2
	v_add_f32_e32 v72, v62, v60
	v_mul_f32_e32 v62, v64, v5
	v_fma_f32 v2, v64, v4, -v58
	s_waitcnt lgkmcnt(1)
	v_mul_f32_e32 v5, v7, v51
	v_add_f32_e32 v66, v66, v3
	v_mul_f32_e32 v64, v7, v53
	v_fmac_f32_e32 v62, v65, v4
	v_add_f32_e32 v73, v63, v2
	v_fma_f32 v63, v6, v50, -v5
	ds_read2_b64 v[2:5], v49 offset0:160 offset1:176
	ds_read_b128 v[58:61], v44 offset:240
	v_mul_f32_e32 v74, v6, v51
	v_mul_f32_e32 v75, v6, v53
	v_fma_f32 v6, v6, v52, -v64
	v_add_f32_e32 v69, v69, v63
	v_add_f32_e32 v67, v67, v62
	v_fmac_f32_e32 v74, v7, v50
	v_fmac_f32_e32 v75, v7, v52
	s_waitcnt lgkmcnt(2)
	v_mul_f32_e32 v76, v55, v51
	v_mul_f32_e32 v7, v54, v51
	v_add_f32_e32 v6, v70, v6
	v_mul_f32_e32 v70, v55, v53
	v_add_f32_e32 v68, v68, v74
	v_fma_f32 v51, v54, v50, -v76
	v_fmac_f32_e32 v7, v55, v50
	v_mul_f32_e32 v74, v54, v53
	v_fma_f32 v50, v54, v52, -v70
	ds_read_b128 v[62:65], v44 offset:4336
	v_add_f32_e32 v72, v72, v51
	s_waitcnt lgkmcnt(2)
	v_mul_f32_e32 v51, v9, v3
	v_add_f32_e32 v7, v66, v7
	v_fmac_f32_e32 v74, v55, v52
	v_mul_f32_e32 v54, v8, v3
	v_add_f32_e32 v55, v73, v50
	v_fma_f32 v66, v8, v2, -v51
	ds_read2_b64 v[50:53], v49 offset0:192 offset1:208
	v_mul_f32_e32 v70, v9, v5
	v_fmac_f32_e32 v54, v9, v2
	v_add_f32_e32 v71, v71, v75
	v_add_f32_e32 v66, v69, v66
	v_mul_f32_e32 v69, v8, v5
	v_fma_f32 v8, v8, v4, -v70
	v_add_f32_e32 v54, v68, v54
	v_mul_f32_e32 v68, v57, v3
	v_mul_f32_e32 v3, v56, v3
	v_fmac_f32_e32 v69, v9, v4
	v_add_f32_e32 v6, v6, v8
	v_mul_f32_e32 v8, v57, v5
	v_fma_f32 v9, v56, v2, -v68
	v_fmac_f32_e32 v3, v57, v2
	v_add_f32_e32 v68, v71, v69
	v_mul_f32_e32 v69, v56, v5
	v_fma_f32 v2, v56, v4, -v8
	v_add_f32_e32 v67, v67, v74
	v_add_f32_e32 v8, v72, v9
	;; [unrolled: 1-line block ×3, first 2 shown]
	s_waitcnt lgkmcnt(0)
	v_mul_f32_e32 v9, v59, v51
	v_fmac_f32_e32 v69, v57, v4
	v_add_f32_e32 v55, v55, v2
	ds_read2_b64 v[2:5], v49 offset0:224 offset1:240
	v_mul_f32_e32 v56, v58, v51
	v_fma_f32 v9, v58, v50, -v9
	v_add_f32_e32 v57, v67, v69
	v_mul_f32_e32 v67, v59, v53
	v_mul_f32_e32 v69, v58, v53
	v_fmac_f32_e32 v56, v59, v50
	v_add_f32_e32 v9, v66, v9
	v_mul_f32_e32 v66, v63, v51
	v_fma_f32 v58, v58, v52, -v67
	v_mul_f32_e32 v51, v62, v51
	v_add_f32_e32 v54, v54, v56
	v_fmac_f32_e32 v69, v59, v52
	v_fma_f32 v56, v62, v50, -v66
	v_add_f32_e32 v6, v6, v58
	v_mul_f32_e32 v58, v63, v53
	v_fmac_f32_e32 v51, v63, v50
	v_mul_f32_e32 v50, v62, v53
	v_add_f32_e32 v8, v8, v56
	v_add_f32_e32 v59, v68, v69
	v_fma_f32 v53, v62, v52, -v58
	s_waitcnt lgkmcnt(0)
	v_mul_f32_e32 v56, v61, v3
	v_mul_f32_e32 v58, v60, v3
	v_add_f32_e32 v7, v7, v51
	v_fmac_f32_e32 v50, v63, v52
	v_add_f32_e32 v51, v55, v53
	v_fma_f32 v52, v60, v2, -v56
	v_mul_f32_e32 v53, v61, v5
	v_fmac_f32_e32 v58, v61, v2
	v_mul_f32_e32 v55, v60, v5
	v_add_f32_e32 v50, v57, v50
	v_add_f32_e32 v56, v9, v52
	v_fma_f32 v9, v60, v4, -v53
	v_mul_f32_e32 v52, v65, v3
	v_mul_f32_e32 v3, v64, v3
	;; [unrolled: 1-line block ×4, first 2 shown]
	v_add_f32_e32 v57, v54, v58
	v_fmac_f32_e32 v55, v61, v4
	v_add_f32_e32 v54, v6, v9
	v_fma_f32 v6, v64, v2, -v52
	v_fmac_f32_e32 v3, v65, v2
	v_fma_f32 v2, v64, v4, -v53
	v_fmac_f32_e32 v5, v65, v4
	v_add_f32_e32 v55, v59, v55
	v_add_f32_e32 v52, v8, v6
	;; [unrolled: 1-line block ×5, first 2 shown]
	s_barrier
	buffer_gl0_inv
	s_cbranch_scc1 .LBB84_56
.LBB84_7:                               ;   Parent Loop BB84_4 Depth=1
                                        ; =>  This Inner Loop Header: Depth=2
	v_add_co_u32 v2, s5, v12, s38
	v_add_co_ci_u32_e64 v3, null, s39, v13, s5
	v_cmp_eq_u64_e64 s8, s[38:39], v[24:25]
	v_add_co_u32 v4, s9, v32, v26
	v_cmp_lt_i64_e64 s5, v[2:3], v[22:23]
	v_cmp_le_i64_e64 s6, s[14:15], v[2:3]
	v_add_co_ci_u32_e64 v5, null, v33, v27, s9
	s_and_b32 s46, s42, s8
	s_or_b32 s9, s3, s5
	s_or_b32 s8, s6, s9
	s_nor_b32 s8, s8, s46
	s_and_saveexec_b32 s9, s8
	s_xor_b32 s8, exec_lo, s9
	s_cbranch_execz .LBB84_9
; %bb.8:                                ;   in Loop: Header=BB84_7 Depth=2
	global_load_dwordx2 v[6:7], v[4:5], off
	s_waitcnt vmcnt(0)
	ds_write_b64 v45, v[6:7]
.LBB84_9:                               ;   in Loop: Header=BB84_7 Depth=2
	s_or_saveexec_b32 s8, s8
	s_xor_b32 s45, s46, -1
	s_xor_b32 exec_lo, exec_lo, s8
	s_cbranch_execz .LBB84_15
; %bb.10:                               ;   in Loop: Header=BB84_7 Depth=2
	s_and_saveexec_b32 s9, s45
	s_xor_b32 s9, exec_lo, s9
; %bb.11:                               ;   in Loop: Header=BB84_7 Depth=2
	v_mov_b32_e32 v6, v21
	v_mov_b32_e32 v7, v21
	ds_write_b64 v45, v[6:7]
; %bb.12:                               ;   in Loop: Header=BB84_7 Depth=2
	s_andn2_saveexec_b32 s9, s9
; %bb.13:                               ;   in Loop: Header=BB84_7 Depth=2
	ds_write_b64 v45, v[20:21]
; %bb.14:                               ;   in Loop: Header=BB84_7 Depth=2
	s_or_b32 exec_lo, exec_lo, s9
.LBB84_15:                              ;   in Loop: Header=BB84_7 Depth=2
	s_or_b32 exec_lo, exec_lo, s8
	v_add_co_u32 v6, s8, v2, 16
	v_add_co_ci_u32_e64 v7, null, 0, v3, s8
	v_cmp_eq_u64_e64 s10, s[38:39], v[40:41]
	v_cmp_lt_i64_e64 s9, v[6:7], v[22:23]
	v_cmp_le_i64_e64 s8, s[14:15], v[6:7]
	s_and_b32 s10, s42, s10
	s_or_b32 s9, s3, s9
	s_or_b32 s9, s8, s9
	s_nor_b32 s9, s9, s10
	s_and_saveexec_b32 s47, s9
	s_xor_b32 s9, exec_lo, s47
	s_cbranch_execz .LBB84_17
; %bb.16:                               ;   in Loop: Header=BB84_7 Depth=2
	global_load_dwordx2 v[4:5], v[4:5], off offset:128
	s_waitcnt vmcnt(0)
	ds_write_b64 v45, v[4:5] offset:128
.LBB84_17:                              ;   in Loop: Header=BB84_7 Depth=2
	s_andn2_saveexec_b32 s9, s9
	s_cbranch_execz .LBB84_23
; %bb.18:                               ;   in Loop: Header=BB84_7 Depth=2
	s_xor_b32 s10, s10, -1
	s_and_saveexec_b32 s47, s10
	s_xor_b32 s10, exec_lo, s47
; %bb.19:                               ;   in Loop: Header=BB84_7 Depth=2
	v_mov_b32_e32 v4, v21
	v_mov_b32_e32 v5, v21
	ds_write_b64 v45, v[4:5] offset:128
; %bb.20:                               ;   in Loop: Header=BB84_7 Depth=2
	s_andn2_saveexec_b32 s10, s10
; %bb.21:                               ;   in Loop: Header=BB84_7 Depth=2
	ds_write_b64 v45, v[20:21] offset:128
; %bb.22:                               ;   in Loop: Header=BB84_7 Depth=2
	s_or_b32 exec_lo, exec_lo, s10
.LBB84_23:                              ;   in Loop: Header=BB84_7 Depth=2
	s_or_b32 exec_lo, exec_lo, s9
	v_cmp_eq_u64_e64 s9, s[38:39], v[38:39]
	v_cmp_lt_i64_e64 s10, v[2:3], v[36:37]
	s_and_b32 s47, s42, s9
	v_add_co_u32 v2, s9, v28, v26
	s_or_b32 s10, s4, s10
	v_add_co_ci_u32_e64 v3, null, v29, v27, s9
	s_or_b32 s9, s10, s47
	s_nor_b32 s6, s6, s9
	s_and_saveexec_b32 s9, s6
	s_xor_b32 s6, exec_lo, s9
	s_cbranch_execz .LBB84_25
; %bb.24:                               ;   in Loop: Header=BB84_7 Depth=2
	global_load_dwordx2 v[4:5], v[2:3], off
	s_waitcnt vmcnt(0)
	ds_write_b64 v45, v[4:5] offset:4096
.LBB84_25:                              ;   in Loop: Header=BB84_7 Depth=2
	s_andn2_saveexec_b32 s6, s6
	s_cbranch_execz .LBB84_31
; %bb.26:                               ;   in Loop: Header=BB84_7 Depth=2
	s_xor_b32 s9, s47, -1
	s_and_saveexec_b32 s10, s9
	s_xor_b32 s9, exec_lo, s10
; %bb.27:                               ;   in Loop: Header=BB84_7 Depth=2
	v_mov_b32_e32 v4, v21
	v_mov_b32_e32 v5, v21
	ds_write_b64 v45, v[4:5] offset:4096
; %bb.28:                               ;   in Loop: Header=BB84_7 Depth=2
	s_andn2_saveexec_b32 s9, s9
; %bb.29:                               ;   in Loop: Header=BB84_7 Depth=2
	ds_write_b64 v45, v[20:21] offset:4096
; %bb.30:                               ;   in Loop: Header=BB84_7 Depth=2
	s_or_b32 exec_lo, exec_lo, s9
.LBB84_31:                              ;   in Loop: Header=BB84_7 Depth=2
	s_or_b32 exec_lo, exec_lo, s6
	s_or_b32 s5, s4, s5
	s_or_b32 s5, s8, s5
	s_nor_b32 s5, s5, s46
	s_and_saveexec_b32 s6, s5
	s_xor_b32 s5, exec_lo, s6
	s_cbranch_execz .LBB84_33
; %bb.32:                               ;   in Loop: Header=BB84_7 Depth=2
	global_load_dwordx2 v[2:3], v[2:3], off offset:128
	s_waitcnt vmcnt(0)
	ds_write_b64 v45, v[2:3] offset:4224
.LBB84_33:                              ;   in Loop: Header=BB84_7 Depth=2
	s_andn2_saveexec_b32 s5, s5
	s_cbranch_execz .LBB84_39
; %bb.34:                               ;   in Loop: Header=BB84_7 Depth=2
	s_and_saveexec_b32 s6, s45
	s_xor_b32 s6, exec_lo, s6
; %bb.35:                               ;   in Loop: Header=BB84_7 Depth=2
	v_mov_b32_e32 v2, v21
	v_mov_b32_e32 v3, v21
	ds_write_b64 v45, v[2:3] offset:4224
; %bb.36:                               ;   in Loop: Header=BB84_7 Depth=2
	s_andn2_saveexec_b32 s6, s6
; %bb.37:                               ;   in Loop: Header=BB84_7 Depth=2
	ds_write_b64 v45, v[20:21] offset:4224
; %bb.38:                               ;   in Loop: Header=BB84_7 Depth=2
	s_or_b32 exec_lo, exec_lo, s6
.LBB84_39:                              ;   in Loop: Header=BB84_7 Depth=2
	s_or_b32 exec_lo, exec_lo, s5
	v_add_co_u32 v2, s5, v14, s38
	v_add_co_ci_u32_e64 v3, null, s39, v15, s5
	v_add_co_u32 v4, s6, v30, v42
	v_add_co_ci_u32_e64 v5, null, v31, v43, s6
	v_cmp_le_i64_e64 s5, s[14:15], v[2:3]
	s_nor_b32 s6, s5, s1
	s_and_saveexec_b32 s8, s6
	s_xor_b32 s6, exec_lo, s8
	s_cbranch_execz .LBB84_41
; %bb.40:                               ;   in Loop: Header=BB84_7 Depth=2
	global_load_dwordx2 v[6:7], v[4:5], off offset:-128
	s_waitcnt vmcnt(0)
	ds_write_b64 v47, v[6:7]
.LBB84_41:                              ;   in Loop: Header=BB84_7 Depth=2
	s_andn2_saveexec_b32 s6, s6
; %bb.42:                               ;   in Loop: Header=BB84_7 Depth=2
	v_mov_b32_e32 v6, v21
	v_mov_b32_e32 v7, v21
	ds_write_b64 v47, v[6:7]
; %bb.43:                               ;   in Loop: Header=BB84_7 Depth=2
	s_or_b32 exec_lo, exec_lo, s6
	s_nor_b32 s5, s5, s2
	s_and_saveexec_b32 s6, s5
	s_xor_b32 s5, exec_lo, s6
	s_cbranch_execz .LBB84_45
; %bb.44:                               ;   in Loop: Header=BB84_7 Depth=2
	global_load_dwordx2 v[4:5], v[4:5], off
	s_waitcnt vmcnt(0)
	ds_write_b64 v47, v[4:5] offset:128
.LBB84_45:                              ;   in Loop: Header=BB84_7 Depth=2
	s_andn2_saveexec_b32 s5, s5
; %bb.46:                               ;   in Loop: Header=BB84_7 Depth=2
	v_mov_b32_e32 v4, v21
	v_mov_b32_e32 v5, v21
	ds_write_b64 v47, v[4:5] offset:128
; %bb.47:                               ;   in Loop: Header=BB84_7 Depth=2
	s_or_b32 exec_lo, exec_lo, s5
	v_cmp_le_i64_e64 s5, s[12:13], v[2:3]
	v_add_co_u32 v2, s6, v34, v42
	v_add_co_ci_u32_e64 v3, null, v35, v43, s6
	s_nor_b32 s6, s5, s1
	s_and_saveexec_b32 s8, s6
	s_xor_b32 s6, exec_lo, s8
	s_cbranch_execz .LBB84_49
; %bb.48:                               ;   in Loop: Header=BB84_7 Depth=2
	global_load_dwordx2 v[4:5], v[2:3], off
	s_waitcnt vmcnt(0)
	ds_write_b64 v47, v[4:5] offset:4096
.LBB84_49:                              ;   in Loop: Header=BB84_7 Depth=2
	s_andn2_saveexec_b32 s6, s6
; %bb.50:                               ;   in Loop: Header=BB84_7 Depth=2
	v_mov_b32_e32 v4, v21
	v_mov_b32_e32 v5, v21
	ds_write_b64 v47, v[4:5] offset:4096
; %bb.51:                               ;   in Loop: Header=BB84_7 Depth=2
	s_or_b32 exec_lo, exec_lo, s6
	s_nor_b32 s5, s5, s2
	s_and_saveexec_b32 s6, s5
	s_xor_b32 s5, exec_lo, s6
	s_cbranch_execz .LBB84_53
; %bb.52:                               ;   in Loop: Header=BB84_7 Depth=2
	global_load_dwordx2 v[2:3], v[2:3], off offset:128
	s_waitcnt vmcnt(0)
	ds_write_b64 v47, v[2:3] offset:4224
.LBB84_53:                              ;   in Loop: Header=BB84_7 Depth=2
	s_andn2_saveexec_b32 s5, s5
	s_cbranch_execz .LBB84_6
; %bb.54:                               ;   in Loop: Header=BB84_7 Depth=2
	v_mov_b32_e32 v2, v21
	v_mov_b32_e32 v3, v21
	ds_write_b64 v47, v[2:3] offset:4224
	s_branch .LBB84_6
.LBB84_55:                              ;   in Loop: Header=BB84_4 Depth=1
	v_mov_b32_e32 v56, 0
	v_mov_b32_e32 v57, 0
	;; [unrolled: 1-line block ×8, first 2 shown]
.LBB84_56:                              ;   in Loop: Header=BB84_4 Depth=1
	v_mul_lo_u32 v4, s29, v22
	v_mul_lo_u32 v5, s28, v23
	v_mad_u64_u32 v[2:3], null, s28, v22, 0
	v_cmp_gt_i32_e64 s3, s14, v22
	v_add3_u32 v3, v3, v5, v4
	v_lshlrev_b64 v[2:3], 3, v[2:3]
	v_add_co_u32 v2, s4, s40, v2
	v_add_co_ci_u32_e64 v3, null, s41, v3, s4
	s_and_b32 s4, vcc_lo, s3
	s_and_saveexec_b32 s5, s4
	s_cbranch_execz .LBB84_58
; %bb.57:                               ;   in Loop: Header=BB84_4 Depth=1
	v_add_co_u32 v4, s4, v2, v16
	v_add_co_ci_u32_e64 v5, null, v3, v17, s4
	v_mul_f32_e32 v8, s35, v57
	v_mul_f32_e32 v9, s34, v57
	global_load_dwordx2 v[6:7], v[4:5], off
	v_fma_f32 v8, v56, s34, -v8
	v_fmac_f32_e32 v9, s35, v56
	s_waitcnt vmcnt(0)
	v_add_f32_e32 v6, v6, v8
	v_add_f32_e32 v7, v9, v7
	global_store_dwordx2 v[4:5], v[6:7], off
.LBB84_58:                              ;   in Loop: Header=BB84_4 Depth=1
	s_or_b32 exec_lo, exec_lo, s5
	s_and_b32 s3, s0, s3
	s_and_saveexec_b32 s4, s3
	s_cbranch_execz .LBB84_60
; %bb.59:                               ;   in Loop: Header=BB84_4 Depth=1
	v_lshlrev_b64 v[4:5], 3, v[10:11]
	v_mul_f32_e32 v6, s35, v55
	v_mul_f32_e32 v7, s34, v55
	v_fma_f32 v6, v54, s34, -v6
	v_add_co_u32 v2, s3, v2, v4
	v_add_co_ci_u32_e64 v3, null, v3, v5, s3
	v_fmac_f32_e32 v7, s35, v54
	global_load_dwordx2 v[4:5], v[2:3], off
	s_waitcnt vmcnt(0)
	v_add_f32_e32 v4, v4, v6
	v_add_f32_e32 v5, v7, v5
	global_store_dwordx2 v[2:3], v[4:5], off
.LBB84_60:                              ;   in Loop: Header=BB84_4 Depth=1
	s_or_b32 exec_lo, exec_lo, s4
	v_add_nc_u32_e32 v4, 16, v22
	v_ashrrev_i32_e32 v5, 31, v4
	v_mul_lo_u32 v6, s29, v4
	v_mad_u64_u32 v[2:3], null, s28, v4, 0
	v_cmp_gt_i32_e64 s3, s14, v4
	v_mul_lo_u32 v5, s28, v5
	v_add3_u32 v3, v3, v5, v6
	v_lshlrev_b64 v[2:3], 3, v[2:3]
	v_add_co_u32 v2, s4, s40, v2
	v_add_co_ci_u32_e64 v3, null, s41, v3, s4
	s_and_b32 s4, vcc_lo, s3
	s_and_saveexec_b32 s5, s4
	s_cbranch_execz .LBB84_62
; %bb.61:                               ;   in Loop: Header=BB84_4 Depth=1
	v_add_co_u32 v4, s4, v2, v16
	v_add_co_ci_u32_e64 v5, null, v3, v17, s4
	v_mul_f32_e32 v8, s35, v53
	v_mul_f32_e32 v9, s34, v53
	global_load_dwordx2 v[6:7], v[4:5], off
	v_fma_f32 v8, v52, s34, -v8
	v_fmac_f32_e32 v9, s35, v52
	s_waitcnt vmcnt(0)
	v_add_f32_e32 v6, v6, v8
	v_add_f32_e32 v7, v9, v7
	global_store_dwordx2 v[4:5], v[6:7], off
.LBB84_62:                              ;   in Loop: Header=BB84_4 Depth=1
	s_or_b32 exec_lo, exec_lo, s5
	s_and_b32 s3, s0, s3
	s_and_saveexec_b32 s4, s3
	s_cbranch_execz .LBB84_3
; %bb.63:                               ;   in Loop: Header=BB84_4 Depth=1
	v_lshlrev_b64 v[4:5], 3, v[10:11]
	v_mul_f32_e32 v6, s35, v50
	v_mul_f32_e32 v7, s34, v50
	v_fma_f32 v6, v51, s34, -v6
	v_add_co_u32 v2, s3, v2, v4
	v_add_co_ci_u32_e64 v3, null, v3, v5, s3
	v_fmac_f32_e32 v7, s35, v51
	global_load_dwordx2 v[4:5], v[2:3], off
	s_waitcnt vmcnt(0)
	v_add_f32_e32 v4, v4, v6
	v_add_f32_e32 v5, v7, v5
	global_store_dwordx2 v[2:3], v[4:5], off
	s_branch .LBB84_3
.LBB84_64:
	s_endpgm
	.section	.rodata,"a",@progbits
	.p2align	6, 0x0
	.amdhsa_kernel _ZL30rocblas_trmm_outofplace_kernelI19rocblas_complex_numIfELi32ELi2ELb0ELb0ELb0ELb0EPKS1_S2_S1_Ev17rocblas_diagonal_iiT6_lPT7_lllS7_lllPT8_llli
		.amdhsa_group_segment_fixed_size 16384
		.amdhsa_private_segment_fixed_size 0
		.amdhsa_kernarg_size 392
		.amdhsa_user_sgpr_count 6
		.amdhsa_user_sgpr_private_segment_buffer 1
		.amdhsa_user_sgpr_dispatch_ptr 0
		.amdhsa_user_sgpr_queue_ptr 0
		.amdhsa_user_sgpr_kernarg_segment_ptr 1
		.amdhsa_user_sgpr_dispatch_id 0
		.amdhsa_user_sgpr_flat_scratch_init 0
		.amdhsa_user_sgpr_private_segment_size 0
		.amdhsa_wavefront_size32 1
		.amdhsa_uses_dynamic_stack 0
		.amdhsa_system_sgpr_private_segment_wavefront_offset 0
		.amdhsa_system_sgpr_workgroup_id_x 1
		.amdhsa_system_sgpr_workgroup_id_y 1
		.amdhsa_system_sgpr_workgroup_id_z 1
		.amdhsa_system_sgpr_workgroup_info 0
		.amdhsa_system_vgpr_workitem_id 1
		.amdhsa_next_free_vgpr 88
		.amdhsa_next_free_sgpr 48
		.amdhsa_reserve_vcc 1
		.amdhsa_reserve_flat_scratch 0
		.amdhsa_float_round_mode_32 0
		.amdhsa_float_round_mode_16_64 0
		.amdhsa_float_denorm_mode_32 3
		.amdhsa_float_denorm_mode_16_64 3
		.amdhsa_dx10_clamp 1
		.amdhsa_ieee_mode 1
		.amdhsa_fp16_overflow 0
		.amdhsa_workgroup_processor_mode 1
		.amdhsa_memory_ordered 1
		.amdhsa_forward_progress 1
		.amdhsa_shared_vgpr_count 0
		.amdhsa_exception_fp_ieee_invalid_op 0
		.amdhsa_exception_fp_denorm_src 0
		.amdhsa_exception_fp_ieee_div_zero 0
		.amdhsa_exception_fp_ieee_overflow 0
		.amdhsa_exception_fp_ieee_underflow 0
		.amdhsa_exception_fp_ieee_inexact 0
		.amdhsa_exception_int_div_zero 0
	.end_amdhsa_kernel
	.section	.text._ZL30rocblas_trmm_outofplace_kernelI19rocblas_complex_numIfELi32ELi2ELb0ELb0ELb0ELb0EPKS1_S2_S1_Ev17rocblas_diagonal_iiT6_lPT7_lllS7_lllPT8_llli,"axG",@progbits,_ZL30rocblas_trmm_outofplace_kernelI19rocblas_complex_numIfELi32ELi2ELb0ELb0ELb0ELb0EPKS1_S2_S1_Ev17rocblas_diagonal_iiT6_lPT7_lllS7_lllPT8_llli,comdat
.Lfunc_end84:
	.size	_ZL30rocblas_trmm_outofplace_kernelI19rocblas_complex_numIfELi32ELi2ELb0ELb0ELb0ELb0EPKS1_S2_S1_Ev17rocblas_diagonal_iiT6_lPT7_lllS7_lllPT8_llli, .Lfunc_end84-_ZL30rocblas_trmm_outofplace_kernelI19rocblas_complex_numIfELi32ELi2ELb0ELb0ELb0ELb0EPKS1_S2_S1_Ev17rocblas_diagonal_iiT6_lPT7_lllS7_lllPT8_llli
                                        ; -- End function
	.set _ZL30rocblas_trmm_outofplace_kernelI19rocblas_complex_numIfELi32ELi2ELb0ELb0ELb0ELb0EPKS1_S2_S1_Ev17rocblas_diagonal_iiT6_lPT7_lllS7_lllPT8_llli.num_vgpr, 88
	.set _ZL30rocblas_trmm_outofplace_kernelI19rocblas_complex_numIfELi32ELi2ELb0ELb0ELb0ELb0EPKS1_S2_S1_Ev17rocblas_diagonal_iiT6_lPT7_lllS7_lllPT8_llli.num_agpr, 0
	.set _ZL30rocblas_trmm_outofplace_kernelI19rocblas_complex_numIfELi32ELi2ELb0ELb0ELb0ELb0EPKS1_S2_S1_Ev17rocblas_diagonal_iiT6_lPT7_lllS7_lllPT8_llli.numbered_sgpr, 48
	.set _ZL30rocblas_trmm_outofplace_kernelI19rocblas_complex_numIfELi32ELi2ELb0ELb0ELb0ELb0EPKS1_S2_S1_Ev17rocblas_diagonal_iiT6_lPT7_lllS7_lllPT8_llli.num_named_barrier, 0
	.set _ZL30rocblas_trmm_outofplace_kernelI19rocblas_complex_numIfELi32ELi2ELb0ELb0ELb0ELb0EPKS1_S2_S1_Ev17rocblas_diagonal_iiT6_lPT7_lllS7_lllPT8_llli.private_seg_size, 0
	.set _ZL30rocblas_trmm_outofplace_kernelI19rocblas_complex_numIfELi32ELi2ELb0ELb0ELb0ELb0EPKS1_S2_S1_Ev17rocblas_diagonal_iiT6_lPT7_lllS7_lllPT8_llli.uses_vcc, 1
	.set _ZL30rocblas_trmm_outofplace_kernelI19rocblas_complex_numIfELi32ELi2ELb0ELb0ELb0ELb0EPKS1_S2_S1_Ev17rocblas_diagonal_iiT6_lPT7_lllS7_lllPT8_llli.uses_flat_scratch, 0
	.set _ZL30rocblas_trmm_outofplace_kernelI19rocblas_complex_numIfELi32ELi2ELb0ELb0ELb0ELb0EPKS1_S2_S1_Ev17rocblas_diagonal_iiT6_lPT7_lllS7_lllPT8_llli.has_dyn_sized_stack, 0
	.set _ZL30rocblas_trmm_outofplace_kernelI19rocblas_complex_numIfELi32ELi2ELb0ELb0ELb0ELb0EPKS1_S2_S1_Ev17rocblas_diagonal_iiT6_lPT7_lllS7_lllPT8_llli.has_recursion, 0
	.set _ZL30rocblas_trmm_outofplace_kernelI19rocblas_complex_numIfELi32ELi2ELb0ELb0ELb0ELb0EPKS1_S2_S1_Ev17rocblas_diagonal_iiT6_lPT7_lllS7_lllPT8_llli.has_indirect_call, 0
	.section	.AMDGPU.csdata,"",@progbits
; Kernel info:
; codeLenInByte = 6540
; TotalNumSgprs: 50
; NumVgprs: 88
; ScratchSize: 0
; MemoryBound: 1
; FloatMode: 240
; IeeeMode: 1
; LDSByteSize: 16384 bytes/workgroup (compile time only)
; SGPRBlocks: 0
; VGPRBlocks: 10
; NumSGPRsForWavesPerEU: 50
; NumVGPRsForWavesPerEU: 88
; Occupancy: 10
; WaveLimiterHint : 0
; COMPUTE_PGM_RSRC2:SCRATCH_EN: 0
; COMPUTE_PGM_RSRC2:USER_SGPR: 6
; COMPUTE_PGM_RSRC2:TRAP_HANDLER: 0
; COMPUTE_PGM_RSRC2:TGID_X_EN: 1
; COMPUTE_PGM_RSRC2:TGID_Y_EN: 1
; COMPUTE_PGM_RSRC2:TGID_Z_EN: 1
; COMPUTE_PGM_RSRC2:TIDIG_COMP_CNT: 1
	.section	.text._ZL30rocblas_trmm_outofplace_kernelI19rocblas_complex_numIfELi32ELi2ELb0ELb0ELb0ELb0ES1_KS1_S1_Ev17rocblas_diagonal_iiT6_lPT7_lllS6_lllPT8_llli,"axG",@progbits,_ZL30rocblas_trmm_outofplace_kernelI19rocblas_complex_numIfELi32ELi2ELb0ELb0ELb0ELb0ES1_KS1_S1_Ev17rocblas_diagonal_iiT6_lPT7_lllS6_lllPT8_llli,comdat
	.globl	_ZL30rocblas_trmm_outofplace_kernelI19rocblas_complex_numIfELi32ELi2ELb0ELb0ELb0ELb0ES1_KS1_S1_Ev17rocblas_diagonal_iiT6_lPT7_lllS6_lllPT8_llli ; -- Begin function _ZL30rocblas_trmm_outofplace_kernelI19rocblas_complex_numIfELi32ELi2ELb0ELb0ELb0ELb0ES1_KS1_S1_Ev17rocblas_diagonal_iiT6_lPT7_lllS6_lllPT8_llli
	.p2align	8
	.type	_ZL30rocblas_trmm_outofplace_kernelI19rocblas_complex_numIfELi32ELi2ELb0ELb0ELb0ELb0ES1_KS1_S1_Ev17rocblas_diagonal_iiT6_lPT7_lllS6_lllPT8_llli,@function
_ZL30rocblas_trmm_outofplace_kernelI19rocblas_complex_numIfELi32ELi2ELb0ELb0ELb0ELb0ES1_KS1_S1_Ev17rocblas_diagonal_iiT6_lPT7_lllS6_lllPT8_llli: ; @_ZL30rocblas_trmm_outofplace_kernelI19rocblas_complex_numIfELi32ELi2ELb0ELb0ELb0ELb0ES1_KS1_S1_Ev17rocblas_diagonal_iiT6_lPT7_lllS6_lllPT8_llli
; %bb.0:
	s_clause 0x1
	s_load_dwordx4 s[28:31], s[4:5], 0x0
	s_load_dword s11, s[4:5], 0x10
	s_waitcnt lgkmcnt(0)
	s_or_b32 s0, s31, s11
	s_bitset0_b32 s0, 31
	s_cmp_eq_u32 s0, 0
	s_cbranch_scc1 .LBB85_64
; %bb.1:
	s_add_i32 s0, s30, -1
	s_ashr_i32 s1, s0, 31
	s_lshr_b32 s1, s1, 27
	s_add_i32 s0, s0, s1
	s_ashr_i32 s33, s0, 5
	s_cmp_gt_i32 s7, s33
	s_cbranch_scc1 .LBB85_64
; %bb.2:
	s_clause 0x2
	s_load_dwordx8 s[36:43], s[4:5], 0x60
	s_load_dwordx16 s[12:27], s[4:5], 0x20
	s_load_dword s44, s[4:5], 0x8c
	v_lshl_add_u32 v2, s6, 5, v0
	v_lshlrev_b32_e32 v4, 3, v0
	v_lshlrev_b32_e32 v44, 8, v1
	v_mov_b32_e32 v21, 0
	v_mov_b32_e32 v20, 1.0
	v_add_nc_u32_e32 v10, 16, v2
	v_ashrrev_i32_e32 v3, 31, v2
	v_or_b32_e32 v45, 0x2000, v4
	v_add_nc_u32_e32 v46, v44, v4
	v_cmp_gt_i32_e32 vcc_lo, s29, v2
	v_ashrrev_i32_e32 v11, 31, v10
	v_lshlrev_b64 v[16:17], 3, v[2:3]
	v_add_nc_u32_e32 v47, v45, v44
	v_add_nc_u32_e32 v48, 0x1000, v45
	;; [unrolled: 1-line block ×3, first 2 shown]
	s_waitcnt lgkmcnt(0)
	s_mul_i32 s0, s43, s8
	s_mul_hi_u32 s1, s42, s8
	s_mul_i32 s2, s42, s8
	s_add_i32 s3, s1, s0
	s_mul_i32 s5, s19, s8
	s_lshl_b64 s[2:3], s[2:3], 3
	v_cmp_gt_i32_e64 s0, s29, v10
	s_add_u32 s1, s36, s2
	s_addc_u32 s4, s37, s3
	s_lshl_b64 s[2:3], s[38:39], 3
	s_add_u32 s38, s1, s2
	s_addc_u32 s39, s4, s3
	s_cmpk_eq_i32 s28, 0x84
	s_mul_hi_u32 s2, s18, s8
	s_cselect_b32 s42, -1, 0
	s_ashr_i32 s19, s30, 31
	s_ashr_i32 s3, s29, 31
	s_lshl_b64 s[34:35], s[24:25], 8
	s_add_u32 s28, s30, -16
	v_sub_co_u32 v4, s1, s29, v2
	s_addc_u32 s29, s19, -1
	s_add_i32 s5, s2, s5
	s_mul_i32 s4, s18, s8
	s_lshl_b64 s[14:15], s[14:15], 3
	s_lshl_b64 s[4:5], s[4:5], 3
	v_sub_co_ci_u32_e64 v5, null, s3, v3, s1
	s_lshl_b32 s3, s7, 5
	s_lshl_b32 s43, s44, 5
	s_add_u32 s4, s4, s14
	s_addc_u32 s5, s5, s15
	s_add_u32 s12, s12, s4
	s_addc_u32 s13, s13, s5
	s_mul_i32 s4, s27, s8
	s_mul_hi_u32 s5, s26, s8
	s_add_u32 s14, s20, 0x80
	s_addc_u32 s15, s21, 0
	s_add_i32 s5, s5, s4
	s_mul_i32 s4, s26, s8
	s_lshl_b64 s[8:9], s[22:23], 3
	s_lshl_b64 s[4:5], s[4:5], 3
	;; [unrolled: 1-line block ×3, first 2 shown]
	v_add_nc_u32_e32 v12, s3, v0
	v_add_nc_u32_e32 v14, s3, v1
	s_add_u32 s3, s4, s8
	s_addc_u32 s4, s5, s9
	v_add_co_u32 v18, s3, s3, v16
	v_cmp_gt_i64_e64 s1, 1, v[4:5]
	v_cmp_gt_i64_e64 s2, 17, v[4:5]
	v_add_co_ci_u32_e64 v19, null, s4, v17, s3
	v_add_nc_u32_e32 v0, 0x800, v45
	s_mov_b32 s18, s30
	s_lshl_b64 s[26:27], s[16:17], 3
	s_branch .LBB85_4
.LBB85_3:                               ;   in Loop: Header=BB85_4 Depth=1
	s_or_b32 exec_lo, exec_lo, s4
	v_add_nc_u32_e32 v12, s43, v12
	v_add_nc_u32_e32 v14, s43, v14
	s_add_i32 s7, s44, s7
	s_cmp_le_i32 s7, s33
	s_cbranch_scc0 .LBB85_64
.LBB85_4:                               ; =>This Loop Header: Depth=1
                                        ;     Child Loop BB85_7 Depth 2
	s_lshl_b32 s3, s7, 5
	v_ashrrev_i32_e32 v13, 31, v12
	v_add_nc_u32_e32 v22, s3, v1
	v_ashrrev_i32_e32 v15, 31, v14
	s_sub_i32 s45, s30, s3
	s_cmp_lt_i32 s45, 1
	v_ashrrev_i32_e32 v23, 31, v22
	s_cbranch_scc1 .LBB85_55
; %bb.5:                                ;   in Loop: Header=BB85_4 Depth=1
	v_lshlrev_b64 v[2:3], 3, v[14:15]
	v_mad_u64_u32 v[30:31], null, s22, v14, s[14:15]
	v_mul_lo_u32 v6, s22, v15
	v_mul_lo_u32 v7, s23, v14
	v_mad_u64_u32 v[32:33], null, s26, v14, s[12:13]
	v_add_co_u32 v2, s3, 0x80, v2
	v_add_co_ci_u32_e64 v3, null, 0, v3, s3
	v_sub_co_u32 v24, s3, v14, v12
	v_mul_lo_u32 v38, s25, v2
	v_mul_lo_u32 v4, s16, v3
	;; [unrolled: 1-line block ×3, first 2 shown]
	v_mad_u64_u32 v[34:35], null, s24, v2, s[20:21]
	v_sub_co_ci_u32_e64 v25, null, v15, v13, s3
	v_mul_lo_u32 v5, s17, v2
	v_mad_u64_u32 v[28:29], null, s16, v2, s[12:13]
	v_mul_lo_u32 v8, s26, v15
	v_mul_lo_u32 v9, s27, v14
	v_add_co_u32 v36, s3, v22, 16
	v_add_co_ci_u32_e64 v37, null, 0, v23, s3
	v_add3_u32 v35, v38, v35, v3
	v_add_co_u32 v38, s5, v24, 16
	v_add_co_ci_u32_e64 v39, null, 0, v25, s5
	v_add_co_u32 v40, s5, v24, -16
	v_lshlrev_b64 v[26:27], 3, v[12:13]
	v_cmp_le_i64_e64 s4, s[18:19], v[36:37]
	v_mov_b32_e32 v43, v19
	v_add3_u32 v29, v5, v29, v4
	v_add3_u32 v31, v7, v31, v6
	;; [unrolled: 1-line block ×3, first 2 shown]
	v_cmp_le_i32_e64 s3, s30, v22
	v_add_co_ci_u32_e64 v41, null, -1, v25, s5
	v_mov_b32_e32 v50, 0
	v_mov_b32_e32 v42, v18
	;; [unrolled: 1-line block ×9, first 2 shown]
	s_mov_b64 s[36:37], 0
	s_branch .LBB85_7
.LBB85_6:                               ;   in Loop: Header=BB85_7 Depth=2
	s_or_b32 exec_lo, exec_lo, s5
	s_waitcnt lgkmcnt(0)
	s_barrier
	buffer_gl0_inv
	ds_read_b128 v[58:61], v44
	ds_read2_b64 v[62:65], v45 offset1:16
	ds_read_b128 v[66:69], v44 offset:4096
	ds_read_b128 v[70:73], v44 offset:16
	;; [unrolled: 1-line block ×4, first 2 shown]
	ds_read2_b64 v[74:77], v45 offset0:32 offset1:48
	ds_read_b128 v[78:81], v44 offset:4112
	v_add_co_u32 v28, s5, 0x100, v28
	v_add_co_ci_u32_e64 v29, null, 0, v29, s5
	v_add_co_u32 v42, s5, v42, s34
	v_add_co_ci_u32_e64 v43, null, s35, v43, s5
	;; [unrolled: 2-line block ×3, first 2 shown]
	s_add_u32 s36, s36, 32
	s_waitcnt lgkmcnt(6)
	v_mul_f32_e32 v82, v59, v63
	v_mul_f32_e32 v83, v58, v63
	v_mul_f32_e32 v84, v59, v65
	v_mul_f32_e32 v85, v58, v65
	s_waitcnt lgkmcnt(5)
	v_mul_f32_e32 v86, v67, v63
	v_mul_f32_e32 v63, v66, v63
	;; [unrolled: 1-line block ×3, first 2 shown]
	v_fma_f32 v82, v58, v62, -v82
	v_fmac_f32_e32 v83, v59, v62
	v_fma_f32 v58, v58, v64, -v84
	v_fmac_f32_e32 v85, v59, v64
	;; [unrolled: 2-line block ×3, first 2 shown]
	v_fma_f32 v62, v66, v64, -v87
	v_mul_f32_e32 v65, v66, v65
	v_add_f32_e32 v58, v54, v58
	v_add_f32_e32 v59, v52, v59
	;; [unrolled: 1-line block ×3, first 2 shown]
	s_waitcnt lgkmcnt(1)
	v_mul_f32_e32 v66, v61, v75
	v_add_f32_e32 v62, v51, v62
	ds_read2_b64 v[51:54], v45 offset0:64 offset1:80
	v_add_f32_e32 v56, v56, v82
	v_fmac_f32_e32 v65, v67, v64
	v_fma_f32 v66, v60, v74, -v66
	v_mul_f32_e32 v67, v61, v77
	v_mul_f32_e32 v64, v60, v75
	v_add_f32_e32 v57, v57, v83
	v_add_f32_e32 v50, v50, v65
	v_mul_f32_e32 v65, v60, v77
	v_add_f32_e32 v66, v56, v66
	v_fma_f32 v56, v60, v76, -v67
	v_mul_f32_e32 v60, v69, v75
	v_add_f32_e32 v55, v55, v85
	v_fmac_f32_e32 v64, v61, v74
	v_fmac_f32_e32 v65, v61, v76
	v_add_f32_e32 v61, v58, v56
	v_fma_f32 v56, v68, v74, -v60
	v_mul_f32_e32 v58, v69, v77
	v_add_f32_e32 v64, v57, v64
	v_mul_f32_e32 v57, v68, v75
	v_add_f32_e32 v60, v55, v65
	;; [unrolled: 2-line block ×3, first 2 shown]
	s_waitcnt lgkmcnt(0)
	v_mul_f32_e32 v56, v71, v52
	v_fmac_f32_e32 v57, v69, v74
	v_fma_f32 v55, v68, v76, -v58
	v_fmac_f32_e32 v65, v69, v76
	v_mul_f32_e32 v67, v70, v52
	v_fma_f32 v68, v70, v51, -v56
	v_mul_f32_e32 v69, v71, v54
	v_add_f32_e32 v63, v63, v57
	v_add_f32_e32 v62, v62, v55
	ds_read2_b64 v[55:58], v45 offset0:96 offset1:112
	v_fmac_f32_e32 v67, v71, v51
	v_add_f32_e32 v65, v50, v65
	v_add_f32_e32 v66, v66, v68
	v_mul_f32_e32 v50, v70, v54
	v_fma_f32 v68, v70, v53, -v69
	v_add_f32_e32 v64, v64, v67
	v_mul_f32_e32 v67, v79, v52
	v_mul_f32_e32 v52, v78, v52
	v_fmac_f32_e32 v50, v71, v53
	v_add_f32_e32 v61, v61, v68
	v_mul_f32_e32 v68, v79, v54
	v_mul_f32_e32 v54, v78, v54
	v_fmac_f32_e32 v52, v79, v51
	v_add_f32_e32 v60, v60, v50
	v_fma_f32 v67, v78, v51, -v67
	v_fma_f32 v50, v78, v53, -v68
	v_fmac_f32_e32 v54, v79, v53
	v_add_f32_e32 v63, v63, v52
	s_addc_u32 s37, s37, 0
	v_add_f32_e32 v67, v59, v67
	v_add_f32_e32 v68, v62, v50
	ds_read2_b64 v[50:53], v45 offset0:128 offset1:144
	s_waitcnt lgkmcnt(1)
	v_mul_f32_e32 v59, v73, v56
	v_add_f32_e32 v65, v65, v54
	v_mul_f32_e32 v54, v72, v58
	v_mul_f32_e32 v62, v72, v56
	;; [unrolled: 1-line block ×3, first 2 shown]
	v_fma_f32 v59, v72, v55, -v59
	s_cmp_ge_i32 s36, s45
	v_fmac_f32_e32 v54, v73, v57
	v_fmac_f32_e32 v62, v73, v55
	v_fma_f32 v69, v72, v57, -v69
	v_add_f32_e32 v66, v66, v59
	v_mul_f32_e32 v59, v81, v56
	v_mul_f32_e32 v56, v80, v56
	v_add_f32_e32 v71, v60, v54
	v_mul_f32_e32 v54, v81, v58
	v_add_f32_e32 v64, v64, v62
	v_add_f32_e32 v69, v61, v69
	v_fma_f32 v70, v80, v55, -v59
	ds_read_b128 v[59:62], v44 offset:4128
	v_fmac_f32_e32 v56, v81, v55
	v_mul_f32_e32 v58, v80, v58
	v_fma_f32 v54, v80, v57, -v54
	s_waitcnt lgkmcnt(1)
	v_mul_f32_e32 v55, v7, v51
	v_add_f32_e32 v67, v67, v70
	v_add_f32_e32 v70, v63, v56
	v_fmac_f32_e32 v58, v81, v57
	v_add_f32_e32 v68, v68, v54
	v_fma_f32 v72, v6, v50, -v55
	ds_read2_b64 v[54:57], v45 offset0:160 offset1:176
	v_mul_f32_e32 v63, v6, v51
	v_mul_f32_e32 v73, v7, v53
	;; [unrolled: 1-line block ×3, first 2 shown]
	v_add_f32_e32 v58, v65, v58
	v_add_f32_e32 v72, v66, v72
	v_fmac_f32_e32 v63, v7, v50
	v_fma_f32 v6, v6, v52, -v73
	v_fmac_f32_e32 v74, v7, v52
	v_add_f32_e32 v75, v64, v63
	ds_read_b128 v[63:66], v44 offset:4144
	s_waitcnt lgkmcnt(2)
	v_mul_f32_e32 v73, v60, v51
	v_mul_f32_e32 v7, v59, v51
	;; [unrolled: 1-line block ×3, first 2 shown]
	v_add_f32_e32 v6, v69, v6
	v_add_f32_e32 v71, v71, v74
	v_fma_f32 v69, v59, v50, -v73
	v_fmac_f32_e32 v7, v60, v50
	v_mul_f32_e32 v73, v59, v53
	v_fma_f32 v50, v59, v52, -v51
	s_waitcnt lgkmcnt(1)
	v_mul_f32_e32 v51, v9, v55
	v_add_f32_e32 v59, v67, v69
	v_mul_f32_e32 v69, v9, v57
	v_fmac_f32_e32 v73, v60, v52
	v_add_f32_e32 v60, v68, v50
	v_fma_f32 v68, v8, v54, -v51
	ds_read2_b64 v[50:53], v45 offset0:192 offset1:208
	v_add_f32_e32 v7, v70, v7
	v_mul_f32_e32 v67, v8, v55
	v_mul_f32_e32 v70, v8, v57
	v_fma_f32 v8, v8, v56, -v69
	v_mul_f32_e32 v69, v62, v55
	v_mul_f32_e32 v55, v61, v55
	v_add_f32_e32 v68, v72, v68
	v_fmac_f32_e32 v67, v9, v54
	v_add_f32_e32 v72, v6, v8
	v_fma_f32 v6, v61, v54, -v69
	v_fmac_f32_e32 v55, v62, v54
	v_mul_f32_e32 v8, v62, v57
	v_fmac_f32_e32 v70, v9, v56
	v_mul_f32_e32 v57, v61, v57
	v_add_f32_e32 v59, v59, v6
	v_add_f32_e32 v55, v7, v55
	v_fma_f32 v61, v61, v56, -v8
	ds_read2_b64 v[6:9], v45 offset0:224 offset1:240
	v_fmac_f32_e32 v57, v62, v56
	s_waitcnt lgkmcnt(1)
	v_mul_f32_e32 v69, v3, v51
	v_mul_f32_e32 v56, v2, v51
	v_add_f32_e32 v67, v75, v67
	v_add_f32_e32 v60, v60, v61
	v_mul_f32_e32 v62, v3, v53
	v_fma_f32 v61, v2, v50, -v69
	v_fmac_f32_e32 v56, v3, v50
	v_mul_f32_e32 v69, v2, v53
	v_add_f32_e32 v58, v58, v73
	v_fma_f32 v2, v2, v52, -v62
	v_add_f32_e32 v54, v71, v70
	v_add_f32_e32 v62, v67, v56
	v_fmac_f32_e32 v69, v3, v52
	v_mul_f32_e32 v3, v64, v51
	v_mul_f32_e32 v51, v63, v51
	;; [unrolled: 1-line block ×3, first 2 shown]
	v_add_f32_e32 v61, v68, v61
	v_mul_f32_e32 v68, v63, v53
	v_fma_f32 v3, v63, v50, -v3
	v_fmac_f32_e32 v51, v64, v50
	v_fma_f32 v50, v63, v52, -v56
	s_waitcnt lgkmcnt(0)
	v_mul_f32_e32 v53, v5, v7
	v_add_f32_e32 v58, v58, v57
	v_add_f32_e32 v67, v54, v69
	;; [unrolled: 1-line block ×4, first 2 shown]
	v_fmac_f32_e32 v68, v64, v52
	v_add_f32_e32 v64, v60, v50
	v_fma_f32 v3, v4, v6, -v53
	ds_read_b128 v[50:53], v44 offset:64
	ds_read2_b64 v[54:57], v0 offset1:16
	v_mul_f32_e32 v60, v4, v7
	v_mul_f32_e32 v69, v5, v9
	v_add_f32_e32 v2, v72, v2
	v_add_f32_e32 v68, v58, v68
	v_mul_f32_e32 v58, v4, v9
	v_fmac_f32_e32 v60, v5, v6
	v_add_f32_e32 v70, v61, v3
	v_fma_f32 v3, v4, v8, -v69
	v_mul_f32_e32 v4, v66, v7
	v_mul_f32_e32 v7, v65, v7
	;; [unrolled: 1-line block ×3, first 2 shown]
	v_add_f32_e32 v62, v62, v60
	v_fmac_f32_e32 v58, v5, v8
	v_add_f32_e32 v69, v2, v3
	v_fma_f32 v60, v65, v6, -v4
	v_fmac_f32_e32 v7, v66, v6
	ds_read_b128 v[2:5], v44 offset:4160
	v_fma_f32 v6, v65, v8, -v61
	v_mul_f32_e32 v65, v65, v9
	s_waitcnt lgkmcnt(1)
	v_mul_f32_e32 v9, v51, v55
	v_add_f32_e32 v72, v63, v7
	v_mul_f32_e32 v63, v50, v55
	v_mul_f32_e32 v73, v51, v57
	v_fmac_f32_e32 v65, v66, v8
	v_add_f32_e32 v66, v64, v6
	v_fma_f32 v64, v50, v54, -v9
	ds_read2_b64 v[6:9], v0 offset0:32 offset1:48
	v_mul_f32_e32 v74, v50, v57
	v_add_f32_e32 v67, v67, v58
	v_add_f32_e32 v71, v59, v60
	ds_read_b128 v[58:61], v44 offset:80
	v_fmac_f32_e32 v63, v51, v54
	v_fma_f32 v50, v50, v56, -v73
	v_fmac_f32_e32 v74, v51, v56
	v_add_f32_e32 v70, v70, v64
	v_add_f32_e32 v68, v68, v65
	s_waitcnt lgkmcnt(2)
	v_mul_f32_e32 v73, v3, v55
	v_mul_f32_e32 v51, v2, v55
	;; [unrolled: 1-line block ×3, first 2 shown]
	v_add_f32_e32 v50, v69, v50
	v_add_f32_e32 v75, v62, v63
	v_fma_f32 v69, v2, v54, -v73
	v_fmac_f32_e32 v51, v3, v54
	v_mul_f32_e32 v73, v2, v57
	v_fma_f32 v2, v2, v56, -v55
	ds_read_b128 v[62:65], v44 offset:4176
	s_waitcnt lgkmcnt(2)
	v_mul_f32_e32 v54, v53, v7
	v_add_f32_e32 v69, v71, v69
	v_fmac_f32_e32 v73, v3, v56
	v_add_f32_e32 v66, v66, v2
	v_mul_f32_e32 v2, v52, v7
	v_fma_f32 v3, v52, v6, -v54
	ds_read2_b64 v[54:57], v0 offset0:64 offset1:80
	v_mul_f32_e32 v71, v53, v9
	v_add_f32_e32 v67, v67, v74
	v_fmac_f32_e32 v2, v53, v6
	v_add_f32_e32 v70, v70, v3
	v_mul_f32_e32 v3, v52, v9
	v_fma_f32 v52, v52, v8, -v71
	v_mul_f32_e32 v71, v5, v7
	v_mul_f32_e32 v7, v4, v7
	v_add_f32_e32 v51, v72, v51
	v_add_f32_e32 v72, v75, v2
	v_fmac_f32_e32 v3, v53, v8
	v_fma_f32 v2, v4, v6, -v71
	v_fmac_f32_e32 v7, v5, v6
	v_mul_f32_e32 v6, v5, v9
	v_mul_f32_e32 v9, v4, v9
	v_add_f32_e32 v50, v50, v52
	v_add_f32_e32 v52, v67, v3
	;; [unrolled: 1-line block ×3, first 2 shown]
	v_fma_f32 v6, v4, v8, -v6
	v_fmac_f32_e32 v9, v5, v8
	ds_read2_b64 v[2:5], v0 offset0:96 offset1:112
	v_add_f32_e32 v68, v68, v73
	v_add_f32_e32 v7, v51, v7
	s_waitcnt lgkmcnt(1)
	v_mul_f32_e32 v51, v59, v55
	v_mul_f32_e32 v8, v58, v55
	v_add_f32_e32 v6, v66, v6
	v_mul_f32_e32 v66, v59, v57
	v_add_f32_e32 v68, v68, v9
	v_fma_f32 v51, v58, v54, -v51
	v_fmac_f32_e32 v8, v59, v54
	v_mul_f32_e32 v67, v58, v57
	v_fma_f32 v9, v58, v56, -v66
	v_add_f32_e32 v69, v70, v51
	v_add_f32_e32 v58, v72, v8
	v_mul_f32_e32 v8, v63, v55
	v_mul_f32_e32 v51, v62, v55
	v_add_f32_e32 v55, v50, v9
	v_mul_f32_e32 v9, v63, v57
	v_fmac_f32_e32 v67, v59, v56
	v_fma_f32 v8, v62, v54, -v8
	v_fmac_f32_e32 v51, v63, v54
	v_mul_f32_e32 v54, v62, v57
	v_fma_f32 v9, v62, v56, -v9
	s_waitcnt lgkmcnt(0)
	v_mul_f32_e32 v50, v61, v3
	v_add_f32_e32 v59, v52, v67
	v_add_f32_e32 v62, v53, v8
	;; [unrolled: 1-line block ×3, first 2 shown]
	v_fmac_f32_e32 v54, v63, v56
	v_add_f32_e32 v63, v6, v9
	v_fma_f32 v56, v60, v2, -v50
	ds_read_b128 v[6:9], v44 offset:96
	ds_read2_b64 v[50:53], v0 offset0:128 offset1:144
	v_mul_f32_e32 v57, v60, v3
	v_mul_f32_e32 v67, v61, v5
	v_add_f32_e32 v68, v68, v54
	v_mul_f32_e32 v54, v60, v5
	v_add_f32_e32 v69, v69, v56
	v_fmac_f32_e32 v57, v61, v2
	v_fma_f32 v56, v60, v4, -v67
	v_mul_f32_e32 v60, v65, v3
	v_fmac_f32_e32 v54, v61, v4
	v_mul_f32_e32 v3, v64, v3
	v_add_f32_e32 v67, v58, v57
	v_add_f32_e32 v70, v55, v56
	v_fma_f32 v58, v64, v2, -v60
	v_mul_f32_e32 v60, v65, v5
	v_add_f32_e32 v71, v59, v54
	v_fmac_f32_e32 v3, v65, v2
	ds_read_b128 v[54:57], v44 offset:4192
	v_add_f32_e32 v72, v62, v58
	v_fma_f32 v2, v64, v4, -v60
	v_mul_f32_e32 v62, v64, v5
	s_waitcnt lgkmcnt(1)
	v_mul_f32_e32 v5, v7, v51
	v_add_f32_e32 v66, v66, v3
	v_mul_f32_e32 v64, v6, v51
	v_add_f32_e32 v73, v63, v2
	v_fmac_f32_e32 v62, v65, v4
	v_fma_f32 v63, v6, v50, -v5
	ds_read2_b64 v[2:5], v0 offset0:160 offset1:176
	v_mul_f32_e32 v65, v7, v53
	v_mul_f32_e32 v74, v6, v53
	ds_read_b128 v[58:61], v44 offset:112
	v_fmac_f32_e32 v64, v7, v50
	v_add_f32_e32 v69, v69, v63
	v_fma_f32 v6, v6, v52, -v65
	v_fmac_f32_e32 v74, v7, v52
	v_add_f32_e32 v68, v68, v62
	v_add_f32_e32 v67, v67, v64
	s_waitcnt lgkmcnt(2)
	v_mul_f32_e32 v75, v55, v51
	v_mul_f32_e32 v7, v54, v51
	;; [unrolled: 1-line block ×3, first 2 shown]
	v_add_f32_e32 v6, v70, v6
	v_add_f32_e32 v71, v71, v74
	v_fma_f32 v70, v54, v50, -v75
	v_fmac_f32_e32 v7, v55, v50
	v_mul_f32_e32 v74, v54, v53
	v_fma_f32 v50, v54, v52, -v51
	ds_read_b128 v[62:65], v44 offset:4208
	s_waitcnt lgkmcnt(2)
	v_mul_f32_e32 v51, v9, v3
	v_add_f32_e32 v54, v72, v70
	v_fmac_f32_e32 v74, v55, v52
	v_add_f32_e32 v55, v73, v50
	v_add_f32_e32 v7, v66, v7
	v_fma_f32 v70, v8, v2, -v51
	ds_read2_b64 v[50:53], v0 offset0:192 offset1:208
	v_mul_f32_e32 v66, v8, v3
	v_mul_f32_e32 v72, v9, v5
	v_add_f32_e32 v68, v68, v74
	v_add_f32_e32 v69, v69, v70
	v_mul_f32_e32 v70, v8, v5
	v_fmac_f32_e32 v66, v9, v2
	v_fma_f32 v8, v8, v4, -v72
	v_mul_f32_e32 v72, v57, v3
	v_mul_f32_e32 v3, v56, v3
	v_fmac_f32_e32 v70, v9, v4
	v_add_f32_e32 v66, v67, v66
	v_add_f32_e32 v6, v6, v8
	v_fma_f32 v8, v56, v2, -v72
	v_fmac_f32_e32 v3, v57, v2
	v_mul_f32_e32 v2, v57, v5
	v_mul_f32_e32 v67, v56, v5
	v_add_f32_e32 v9, v71, v70
	v_add_f32_e32 v8, v54, v8
	;; [unrolled: 1-line block ×3, first 2 shown]
	v_fma_f32 v54, v56, v4, -v2
	s_waitcnt lgkmcnt(0)
	v_mul_f32_e32 v56, v59, v51
	v_fmac_f32_e32 v67, v57, v4
	ds_read2_b64 v[2:5], v0 offset0:224 offset1:240
	v_mul_f32_e32 v70, v58, v53
	v_add_f32_e32 v54, v55, v54
	v_fma_f32 v55, v58, v50, -v56
	v_mul_f32_e32 v56, v59, v53
	v_mul_f32_e32 v57, v58, v51
	v_fmac_f32_e32 v70, v59, v52
	v_add_f32_e32 v67, v68, v67
	v_add_f32_e32 v55, v69, v55
	v_fma_f32 v56, v58, v52, -v56
	v_mul_f32_e32 v58, v63, v51
	v_mul_f32_e32 v51, v62, v51
	v_fmac_f32_e32 v57, v59, v50
	v_add_f32_e32 v59, v9, v70
	v_add_f32_e32 v56, v6, v56
	v_mul_f32_e32 v6, v63, v53
	v_fma_f32 v9, v62, v50, -v58
	v_fmac_f32_e32 v51, v63, v50
	v_mul_f32_e32 v58, v62, v53
	v_add_f32_e32 v57, v66, v57
	v_fma_f32 v6, v62, v52, -v6
	s_waitcnt lgkmcnt(0)
	v_mul_f32_e32 v50, v61, v3
	v_add_f32_e32 v62, v8, v9
	v_add_f32_e32 v66, v7, v51
	v_fmac_f32_e32 v58, v63, v52
	v_add_f32_e32 v63, v54, v6
	v_fma_f32 v54, v60, v2, -v50
	ds_read_b128 v[6:9], v44 offset:128
	ds_read2_b64 v[50:53], v48 offset1:16
	v_mul_f32_e32 v68, v60, v3
	v_mul_f32_e32 v69, v61, v5
	v_add_f32_e32 v67, v67, v58
	v_mul_f32_e32 v58, v60, v5
	v_add_f32_e32 v70, v55, v54
	v_mul_f32_e32 v55, v65, v3
	v_fmac_f32_e32 v68, v61, v2
	v_fma_f32 v54, v60, v4, -v69
	v_fmac_f32_e32 v58, v61, v4
	v_mul_f32_e32 v3, v64, v3
	v_fma_f32 v60, v64, v2, -v55
	v_mul_f32_e32 v61, v65, v5
	v_add_f32_e32 v68, v57, v68
	v_add_f32_e32 v69, v56, v54
	v_fmac_f32_e32 v3, v65, v2
	ds_read_b128 v[54:57], v44 offset:4224
	v_add_f32_e32 v72, v62, v60
	v_fma_f32 v2, v64, v4, -v61
	v_mul_f32_e32 v62, v64, v5
	s_waitcnt lgkmcnt(1)
	v_mul_f32_e32 v5, v7, v51
	v_add_f32_e32 v66, v66, v3
	v_mul_f32_e32 v64, v6, v51
	v_add_f32_e32 v73, v63, v2
	v_fmac_f32_e32 v62, v65, v4
	v_fma_f32 v63, v6, v50, -v5
	ds_read2_b64 v[2:5], v48 offset0:32 offset1:48
	v_mul_f32_e32 v65, v7, v53
	v_mul_f32_e32 v74, v6, v53
	v_add_f32_e32 v71, v59, v58
	ds_read_b128 v[58:61], v44 offset:144
	v_fmac_f32_e32 v64, v7, v50
	v_fma_f32 v6, v6, v52, -v65
	v_fmac_f32_e32 v74, v7, v52
	v_add_f32_e32 v70, v70, v63
	v_add_f32_e32 v67, v67, v62
	s_waitcnt lgkmcnt(2)
	v_mul_f32_e32 v75, v55, v51
	v_mul_f32_e32 v7, v54, v51
	v_mul_f32_e32 v51, v55, v53
	v_add_f32_e32 v6, v69, v6
	v_add_f32_e32 v71, v71, v74
	v_fma_f32 v69, v54, v50, -v75
	v_fmac_f32_e32 v7, v55, v50
	v_mul_f32_e32 v74, v54, v53
	v_fma_f32 v50, v54, v52, -v51
	v_add_f32_e32 v68, v68, v64
	s_waitcnt lgkmcnt(1)
	v_mul_f32_e32 v51, v9, v3
	v_add_f32_e32 v54, v72, v69
	v_fmac_f32_e32 v74, v55, v52
	v_add_f32_e32 v55, v73, v50
	v_add_f32_e32 v7, v66, v7
	v_fma_f32 v69, v8, v2, -v51
	ds_read2_b64 v[50:53], v48 offset0:64 offset1:80
	v_mul_f32_e32 v66, v8, v3
	v_mul_f32_e32 v72, v9, v5
	ds_read_b128 v[62:65], v44 offset:4240
	v_add_f32_e32 v69, v70, v69
	v_mul_f32_e32 v70, v8, v5
	v_fmac_f32_e32 v66, v9, v2
	v_fma_f32 v8, v8, v4, -v72
	v_mul_f32_e32 v72, v57, v3
	v_mul_f32_e32 v3, v56, v3
	v_fmac_f32_e32 v70, v9, v4
	v_add_f32_e32 v66, v68, v66
	v_add_f32_e32 v6, v6, v8
	v_fma_f32 v8, v56, v2, -v72
	v_fmac_f32_e32 v3, v57, v2
	v_mul_f32_e32 v2, v57, v5
	v_mul_f32_e32 v68, v56, v5
	v_add_f32_e32 v9, v71, v70
	v_add_f32_e32 v8, v54, v8
	;; [unrolled: 1-line block ×3, first 2 shown]
	v_fma_f32 v54, v56, v4, -v2
	s_waitcnt lgkmcnt(1)
	v_mul_f32_e32 v56, v59, v51
	v_fmac_f32_e32 v68, v57, v4
	ds_read2_b64 v[2:5], v48 offset0:96 offset1:112
	v_mul_f32_e32 v70, v58, v53
	v_add_f32_e32 v54, v55, v54
	v_fma_f32 v55, v58, v50, -v56
	v_mul_f32_e32 v56, v59, v53
	v_mul_f32_e32 v57, v58, v51
	v_fmac_f32_e32 v70, v59, v52
	v_add_f32_e32 v67, v67, v74
	v_add_f32_e32 v55, v69, v55
	v_fma_f32 v56, v58, v52, -v56
	s_waitcnt lgkmcnt(1)
	v_mul_f32_e32 v58, v63, v51
	v_mul_f32_e32 v51, v62, v51
	v_fmac_f32_e32 v57, v59, v50
	v_add_f32_e32 v59, v9, v70
	v_add_f32_e32 v56, v6, v56
	v_mul_f32_e32 v6, v63, v53
	v_fma_f32 v9, v62, v50, -v58
	v_fmac_f32_e32 v51, v63, v50
	v_mul_f32_e32 v58, v62, v53
	v_add_f32_e32 v57, v66, v57
	v_fma_f32 v6, v62, v52, -v6
	s_waitcnt lgkmcnt(0)
	v_mul_f32_e32 v50, v61, v3
	v_add_f32_e32 v62, v8, v9
	v_add_f32_e32 v66, v7, v51
	v_fmac_f32_e32 v58, v63, v52
	v_add_f32_e32 v63, v54, v6
	v_fma_f32 v54, v60, v2, -v50
	ds_read_b128 v[6:9], v44 offset:160
	ds_read2_b64 v[50:53], v48 offset0:128 offset1:144
	v_add_f32_e32 v67, v67, v68
	v_mul_f32_e32 v68, v60, v3
	v_mul_f32_e32 v69, v61, v5
	v_add_f32_e32 v70, v55, v54
	v_mul_f32_e32 v55, v65, v3
	v_add_f32_e32 v67, v67, v58
	v_mul_f32_e32 v58, v60, v5
	v_fmac_f32_e32 v68, v61, v2
	v_fma_f32 v54, v60, v4, -v69
	v_mul_f32_e32 v3, v64, v3
	v_fma_f32 v60, v64, v2, -v55
	v_fmac_f32_e32 v58, v61, v4
	v_mul_f32_e32 v61, v65, v5
	v_add_f32_e32 v68, v57, v68
	v_add_f32_e32 v69, v56, v54
	v_fmac_f32_e32 v3, v65, v2
	ds_read_b128 v[54:57], v44 offset:4256
	v_add_f32_e32 v72, v62, v60
	v_fma_f32 v2, v64, v4, -v61
	v_mul_f32_e32 v62, v64, v5
	s_waitcnt lgkmcnt(1)
	v_mul_f32_e32 v5, v7, v51
	v_add_f32_e32 v66, v66, v3
	v_mul_f32_e32 v64, v6, v51
	v_add_f32_e32 v73, v63, v2
	v_fmac_f32_e32 v62, v65, v4
	v_fma_f32 v63, v6, v50, -v5
	ds_read2_b64 v[2:5], v48 offset0:160 offset1:176
	v_mul_f32_e32 v65, v7, v53
	v_mul_f32_e32 v74, v6, v53
	v_add_f32_e32 v71, v59, v58
	ds_read_b128 v[58:61], v44 offset:176
	v_fmac_f32_e32 v64, v7, v50
	v_fma_f32 v6, v6, v52, -v65
	v_fmac_f32_e32 v74, v7, v52
	v_add_f32_e32 v70, v70, v63
	v_add_f32_e32 v67, v67, v62
	s_waitcnt lgkmcnt(2)
	v_mul_f32_e32 v75, v55, v51
	v_mul_f32_e32 v7, v54, v51
	;; [unrolled: 1-line block ×3, first 2 shown]
	v_add_f32_e32 v6, v69, v6
	v_add_f32_e32 v71, v71, v74
	v_fma_f32 v69, v54, v50, -v75
	v_fmac_f32_e32 v7, v55, v50
	v_mul_f32_e32 v74, v54, v53
	v_fma_f32 v50, v54, v52, -v51
	v_add_f32_e32 v68, v68, v64
	s_waitcnt lgkmcnt(1)
	v_mul_f32_e32 v51, v9, v3
	v_add_f32_e32 v54, v72, v69
	v_fmac_f32_e32 v74, v55, v52
	v_add_f32_e32 v55, v73, v50
	v_add_f32_e32 v7, v66, v7
	v_fma_f32 v69, v8, v2, -v51
	ds_read2_b64 v[50:53], v48 offset0:192 offset1:208
	v_mul_f32_e32 v66, v8, v3
	v_mul_f32_e32 v72, v9, v5
	ds_read_b128 v[62:65], v44 offset:4272
	v_add_f32_e32 v69, v70, v69
	v_mul_f32_e32 v70, v8, v5
	v_fmac_f32_e32 v66, v9, v2
	v_fma_f32 v8, v8, v4, -v72
	v_mul_f32_e32 v72, v57, v3
	v_mul_f32_e32 v3, v56, v3
	v_fmac_f32_e32 v70, v9, v4
	v_add_f32_e32 v66, v68, v66
	v_add_f32_e32 v6, v6, v8
	v_fma_f32 v8, v56, v2, -v72
	v_fmac_f32_e32 v3, v57, v2
	v_mul_f32_e32 v2, v57, v5
	v_mul_f32_e32 v68, v56, v5
	v_add_f32_e32 v9, v71, v70
	v_add_f32_e32 v8, v54, v8
	;; [unrolled: 1-line block ×3, first 2 shown]
	v_fma_f32 v54, v56, v4, -v2
	s_waitcnt lgkmcnt(1)
	v_mul_f32_e32 v56, v59, v51
	v_fmac_f32_e32 v68, v57, v4
	ds_read2_b64 v[2:5], v48 offset0:224 offset1:240
	v_mul_f32_e32 v70, v58, v53
	v_add_f32_e32 v54, v55, v54
	v_fma_f32 v55, v58, v50, -v56
	v_mul_f32_e32 v56, v59, v53
	v_mul_f32_e32 v57, v58, v51
	v_fmac_f32_e32 v70, v59, v52
	v_add_f32_e32 v67, v67, v74
	v_add_f32_e32 v55, v69, v55
	v_fma_f32 v56, v58, v52, -v56
	s_waitcnt lgkmcnt(1)
	v_mul_f32_e32 v58, v63, v51
	v_mul_f32_e32 v51, v62, v51
	v_fmac_f32_e32 v57, v59, v50
	v_add_f32_e32 v59, v9, v70
	v_add_f32_e32 v56, v6, v56
	v_mul_f32_e32 v6, v63, v53
	v_fma_f32 v9, v62, v50, -v58
	v_fmac_f32_e32 v51, v63, v50
	v_mul_f32_e32 v58, v62, v53
	v_add_f32_e32 v57, v66, v57
	v_fma_f32 v6, v62, v52, -v6
	s_waitcnt lgkmcnt(0)
	v_mul_f32_e32 v50, v61, v3
	v_add_f32_e32 v62, v8, v9
	v_add_f32_e32 v66, v7, v51
	v_fmac_f32_e32 v58, v63, v52
	v_add_f32_e32 v63, v54, v6
	v_fma_f32 v54, v60, v2, -v50
	ds_read_b128 v[6:9], v44 offset:192
	ds_read2_b64 v[50:53], v49 offset1:16
	v_add_f32_e32 v67, v67, v68
	v_mul_f32_e32 v68, v60, v3
	v_mul_f32_e32 v69, v61, v5
	v_add_f32_e32 v70, v55, v54
	v_mul_f32_e32 v55, v65, v3
	v_add_f32_e32 v67, v67, v58
	v_mul_f32_e32 v58, v60, v5
	v_fmac_f32_e32 v68, v61, v2
	v_fma_f32 v54, v60, v4, -v69
	v_mul_f32_e32 v3, v64, v3
	v_fma_f32 v60, v64, v2, -v55
	v_fmac_f32_e32 v58, v61, v4
	v_mul_f32_e32 v61, v65, v5
	v_add_f32_e32 v68, v57, v68
	v_add_f32_e32 v69, v56, v54
	v_fmac_f32_e32 v3, v65, v2
	ds_read_b128 v[54:57], v44 offset:4288
	v_add_f32_e32 v72, v62, v60
	v_fma_f32 v2, v64, v4, -v61
	v_mul_f32_e32 v62, v64, v5
	s_waitcnt lgkmcnt(1)
	v_mul_f32_e32 v5, v7, v51
	v_add_f32_e32 v66, v66, v3
	v_mul_f32_e32 v64, v6, v51
	v_add_f32_e32 v73, v63, v2
	v_fmac_f32_e32 v62, v65, v4
	v_fma_f32 v63, v6, v50, -v5
	ds_read2_b64 v[2:5], v49 offset0:32 offset1:48
	v_mul_f32_e32 v65, v7, v53
	v_mul_f32_e32 v74, v6, v53
	v_add_f32_e32 v71, v59, v58
	ds_read_b128 v[58:61], v44 offset:208
	v_fmac_f32_e32 v64, v7, v50
	v_fma_f32 v6, v6, v52, -v65
	v_fmac_f32_e32 v74, v7, v52
	v_add_f32_e32 v70, v70, v63
	v_add_f32_e32 v67, v67, v62
	s_waitcnt lgkmcnt(2)
	v_mul_f32_e32 v75, v55, v51
	v_mul_f32_e32 v7, v54, v51
	;; [unrolled: 1-line block ×3, first 2 shown]
	v_add_f32_e32 v6, v69, v6
	v_add_f32_e32 v71, v71, v74
	v_fma_f32 v69, v54, v50, -v75
	v_fmac_f32_e32 v7, v55, v50
	v_mul_f32_e32 v74, v54, v53
	v_fma_f32 v50, v54, v52, -v51
	v_add_f32_e32 v68, v68, v64
	s_waitcnt lgkmcnt(1)
	v_mul_f32_e32 v51, v9, v3
	v_add_f32_e32 v54, v72, v69
	v_fmac_f32_e32 v74, v55, v52
	v_add_f32_e32 v55, v73, v50
	v_add_f32_e32 v7, v66, v7
	v_fma_f32 v69, v8, v2, -v51
	ds_read2_b64 v[50:53], v49 offset0:64 offset1:80
	v_mul_f32_e32 v66, v8, v3
	v_mul_f32_e32 v72, v9, v5
	ds_read_b128 v[62:65], v44 offset:4304
	v_add_f32_e32 v69, v70, v69
	v_mul_f32_e32 v70, v8, v5
	v_fmac_f32_e32 v66, v9, v2
	v_fma_f32 v8, v8, v4, -v72
	v_mul_f32_e32 v72, v57, v3
	v_mul_f32_e32 v3, v56, v3
	v_fmac_f32_e32 v70, v9, v4
	v_add_f32_e32 v66, v68, v66
	v_add_f32_e32 v6, v6, v8
	v_fma_f32 v8, v56, v2, -v72
	v_fmac_f32_e32 v3, v57, v2
	v_mul_f32_e32 v2, v57, v5
	v_mul_f32_e32 v68, v56, v5
	v_add_f32_e32 v9, v71, v70
	v_add_f32_e32 v8, v54, v8
	;; [unrolled: 1-line block ×3, first 2 shown]
	v_fma_f32 v54, v56, v4, -v2
	s_waitcnt lgkmcnt(1)
	v_mul_f32_e32 v56, v59, v51
	v_fmac_f32_e32 v68, v57, v4
	ds_read2_b64 v[2:5], v49 offset0:96 offset1:112
	v_mul_f32_e32 v70, v58, v53
	v_add_f32_e32 v54, v55, v54
	v_fma_f32 v55, v58, v50, -v56
	v_mul_f32_e32 v56, v59, v53
	v_mul_f32_e32 v57, v58, v51
	v_fmac_f32_e32 v70, v59, v52
	v_add_f32_e32 v67, v67, v74
	v_add_f32_e32 v55, v69, v55
	v_fma_f32 v56, v58, v52, -v56
	s_waitcnt lgkmcnt(1)
	v_mul_f32_e32 v58, v63, v51
	v_mul_f32_e32 v51, v62, v51
	v_fmac_f32_e32 v57, v59, v50
	v_add_f32_e32 v59, v9, v70
	v_add_f32_e32 v56, v6, v56
	v_mul_f32_e32 v6, v63, v53
	v_fma_f32 v9, v62, v50, -v58
	v_fmac_f32_e32 v51, v63, v50
	v_mul_f32_e32 v58, v62, v53
	v_add_f32_e32 v67, v67, v68
	v_fma_f32 v6, v62, v52, -v6
	s_waitcnt lgkmcnt(0)
	v_mul_f32_e32 v50, v61, v3
	v_add_f32_e32 v57, v66, v57
	v_add_f32_e32 v62, v8, v9
	;; [unrolled: 1-line block ×3, first 2 shown]
	v_fmac_f32_e32 v58, v63, v52
	v_add_f32_e32 v63, v54, v6
	v_fma_f32 v54, v60, v2, -v50
	ds_read_b128 v[6:9], v44 offset:224
	ds_read2_b64 v[50:53], v49 offset0:128 offset1:144
	v_mul_f32_e32 v68, v60, v3
	v_mul_f32_e32 v69, v61, v5
	v_add_f32_e32 v67, v67, v58
	v_mul_f32_e32 v58, v60, v5
	v_fmac_f32_e32 v68, v61, v2
	v_fma_f32 v60, v60, v4, -v69
	v_add_f32_e32 v69, v55, v54
	v_mul_f32_e32 v54, v65, v3
	v_fmac_f32_e32 v58, v61, v4
	v_add_f32_e32 v68, v57, v68
	v_add_f32_e32 v70, v56, v60
	v_mul_f32_e32 v3, v64, v3
	v_fma_f32 v60, v64, v2, -v54
	v_add_f32_e32 v71, v59, v58
	v_mul_f32_e32 v58, v65, v5
	ds_read_b128 v[54:57], v44 offset:4320
	v_fmac_f32_e32 v3, v65, v2
	v_add_f32_e32 v72, v62, v60
	v_mul_f32_e32 v62, v64, v5
	v_fma_f32 v2, v64, v4, -v58
	s_waitcnt lgkmcnt(1)
	v_mul_f32_e32 v5, v7, v51
	v_add_f32_e32 v66, v66, v3
	v_mul_f32_e32 v64, v7, v53
	v_fmac_f32_e32 v62, v65, v4
	v_add_f32_e32 v73, v63, v2
	v_fma_f32 v63, v6, v50, -v5
	ds_read2_b64 v[2:5], v49 offset0:160 offset1:176
	ds_read_b128 v[58:61], v44 offset:240
	v_mul_f32_e32 v74, v6, v51
	v_mul_f32_e32 v75, v6, v53
	v_fma_f32 v6, v6, v52, -v64
	v_add_f32_e32 v69, v69, v63
	v_add_f32_e32 v67, v67, v62
	v_fmac_f32_e32 v74, v7, v50
	v_fmac_f32_e32 v75, v7, v52
	s_waitcnt lgkmcnt(2)
	v_mul_f32_e32 v76, v55, v51
	v_mul_f32_e32 v7, v54, v51
	v_add_f32_e32 v6, v70, v6
	v_mul_f32_e32 v70, v55, v53
	v_add_f32_e32 v68, v68, v74
	v_fma_f32 v51, v54, v50, -v76
	v_fmac_f32_e32 v7, v55, v50
	v_mul_f32_e32 v74, v54, v53
	v_fma_f32 v50, v54, v52, -v70
	ds_read_b128 v[62:65], v44 offset:4336
	v_add_f32_e32 v72, v72, v51
	s_waitcnt lgkmcnt(2)
	v_mul_f32_e32 v51, v9, v3
	v_add_f32_e32 v7, v66, v7
	v_fmac_f32_e32 v74, v55, v52
	v_mul_f32_e32 v54, v8, v3
	v_add_f32_e32 v55, v73, v50
	v_fma_f32 v66, v8, v2, -v51
	ds_read2_b64 v[50:53], v49 offset0:192 offset1:208
	v_mul_f32_e32 v70, v9, v5
	v_fmac_f32_e32 v54, v9, v2
	v_add_f32_e32 v71, v71, v75
	v_add_f32_e32 v66, v69, v66
	v_mul_f32_e32 v69, v8, v5
	v_fma_f32 v8, v8, v4, -v70
	v_add_f32_e32 v54, v68, v54
	v_mul_f32_e32 v68, v57, v3
	v_mul_f32_e32 v3, v56, v3
	v_fmac_f32_e32 v69, v9, v4
	v_add_f32_e32 v6, v6, v8
	v_mul_f32_e32 v8, v57, v5
	v_fma_f32 v9, v56, v2, -v68
	v_fmac_f32_e32 v3, v57, v2
	v_add_f32_e32 v68, v71, v69
	v_mul_f32_e32 v69, v56, v5
	v_fma_f32 v2, v56, v4, -v8
	v_add_f32_e32 v67, v67, v74
	v_add_f32_e32 v8, v72, v9
	v_add_f32_e32 v7, v7, v3
	s_waitcnt lgkmcnt(0)
	v_mul_f32_e32 v9, v59, v51
	v_fmac_f32_e32 v69, v57, v4
	v_add_f32_e32 v55, v55, v2
	ds_read2_b64 v[2:5], v49 offset0:224 offset1:240
	v_mul_f32_e32 v56, v58, v51
	v_fma_f32 v9, v58, v50, -v9
	v_add_f32_e32 v57, v67, v69
	v_mul_f32_e32 v67, v59, v53
	v_mul_f32_e32 v69, v58, v53
	v_fmac_f32_e32 v56, v59, v50
	v_add_f32_e32 v9, v66, v9
	v_mul_f32_e32 v66, v63, v51
	v_fma_f32 v58, v58, v52, -v67
	v_mul_f32_e32 v51, v62, v51
	v_add_f32_e32 v54, v54, v56
	v_fmac_f32_e32 v69, v59, v52
	v_fma_f32 v56, v62, v50, -v66
	v_add_f32_e32 v6, v6, v58
	v_mul_f32_e32 v58, v63, v53
	v_fmac_f32_e32 v51, v63, v50
	v_mul_f32_e32 v50, v62, v53
	v_add_f32_e32 v8, v8, v56
	v_add_f32_e32 v59, v68, v69
	v_fma_f32 v53, v62, v52, -v58
	s_waitcnt lgkmcnt(0)
	v_mul_f32_e32 v56, v61, v3
	v_mul_f32_e32 v58, v60, v3
	v_add_f32_e32 v7, v7, v51
	v_fmac_f32_e32 v50, v63, v52
	v_add_f32_e32 v51, v55, v53
	v_fma_f32 v52, v60, v2, -v56
	v_mul_f32_e32 v53, v61, v5
	v_fmac_f32_e32 v58, v61, v2
	v_mul_f32_e32 v55, v60, v5
	v_add_f32_e32 v50, v57, v50
	v_add_f32_e32 v56, v9, v52
	v_fma_f32 v9, v60, v4, -v53
	v_mul_f32_e32 v52, v65, v3
	v_mul_f32_e32 v3, v64, v3
	;; [unrolled: 1-line block ×4, first 2 shown]
	v_add_f32_e32 v57, v54, v58
	v_fmac_f32_e32 v55, v61, v4
	v_add_f32_e32 v54, v6, v9
	v_fma_f32 v6, v64, v2, -v52
	v_fmac_f32_e32 v3, v65, v2
	v_fma_f32 v2, v64, v4, -v53
	v_fmac_f32_e32 v5, v65, v4
	v_add_f32_e32 v55, v59, v55
	v_add_f32_e32 v52, v8, v6
	;; [unrolled: 1-line block ×5, first 2 shown]
	s_barrier
	buffer_gl0_inv
	s_cbranch_scc1 .LBB85_56
.LBB85_7:                               ;   Parent Loop BB85_4 Depth=1
                                        ; =>  This Inner Loop Header: Depth=2
	v_add_co_u32 v2, s5, v12, s36
	v_add_co_ci_u32_e64 v3, null, s37, v13, s5
	v_cmp_eq_u64_e64 s8, s[36:37], v[24:25]
	v_add_co_u32 v4, s9, v32, v26
	v_cmp_lt_i64_e64 s5, v[2:3], v[22:23]
	v_cmp_le_i64_e64 s6, s[18:19], v[2:3]
	v_add_co_ci_u32_e64 v5, null, v33, v27, s9
	s_and_b32 s47, s42, s8
	s_or_b32 s9, s3, s5
	s_or_b32 s8, s6, s9
	s_nor_b32 s8, s8, s47
	s_and_saveexec_b32 s9, s8
	s_xor_b32 s8, exec_lo, s9
	s_cbranch_execz .LBB85_9
; %bb.8:                                ;   in Loop: Header=BB85_7 Depth=2
	global_load_dwordx2 v[6:7], v[4:5], off
	s_waitcnt vmcnt(0)
	ds_write_b64 v46, v[6:7]
.LBB85_9:                               ;   in Loop: Header=BB85_7 Depth=2
	s_or_saveexec_b32 s8, s8
	s_xor_b32 s46, s47, -1
	s_xor_b32 exec_lo, exec_lo, s8
	s_cbranch_execz .LBB85_15
; %bb.10:                               ;   in Loop: Header=BB85_7 Depth=2
	s_and_saveexec_b32 s9, s46
	s_xor_b32 s9, exec_lo, s9
; %bb.11:                               ;   in Loop: Header=BB85_7 Depth=2
	v_mov_b32_e32 v6, v21
	v_mov_b32_e32 v7, v21
	ds_write_b64 v46, v[6:7]
; %bb.12:                               ;   in Loop: Header=BB85_7 Depth=2
	s_andn2_saveexec_b32 s9, s9
; %bb.13:                               ;   in Loop: Header=BB85_7 Depth=2
	ds_write_b64 v46, v[20:21]
; %bb.14:                               ;   in Loop: Header=BB85_7 Depth=2
	s_or_b32 exec_lo, exec_lo, s9
.LBB85_15:                              ;   in Loop: Header=BB85_7 Depth=2
	s_or_b32 exec_lo, exec_lo, s8
	v_add_co_u32 v6, s8, v2, 16
	v_add_co_ci_u32_e64 v7, null, 0, v3, s8
	v_cmp_eq_u64_e64 s10, s[36:37], v[40:41]
	v_cmp_lt_i64_e64 s9, v[6:7], v[22:23]
	v_cmp_le_i64_e64 s8, s[18:19], v[6:7]
	s_and_b32 s10, s42, s10
	s_or_b32 s9, s3, s9
	s_or_b32 s9, s8, s9
	s_nor_b32 s9, s9, s10
	s_and_saveexec_b32 s48, s9
	s_xor_b32 s9, exec_lo, s48
	s_cbranch_execz .LBB85_17
; %bb.16:                               ;   in Loop: Header=BB85_7 Depth=2
	global_load_dwordx2 v[4:5], v[4:5], off offset:128
	s_waitcnt vmcnt(0)
	ds_write_b64 v46, v[4:5] offset:128
.LBB85_17:                              ;   in Loop: Header=BB85_7 Depth=2
	s_andn2_saveexec_b32 s9, s9
	s_cbranch_execz .LBB85_23
; %bb.18:                               ;   in Loop: Header=BB85_7 Depth=2
	s_xor_b32 s10, s10, -1
	s_and_saveexec_b32 s48, s10
	s_xor_b32 s10, exec_lo, s48
; %bb.19:                               ;   in Loop: Header=BB85_7 Depth=2
	v_mov_b32_e32 v4, v21
	v_mov_b32_e32 v5, v21
	ds_write_b64 v46, v[4:5] offset:128
; %bb.20:                               ;   in Loop: Header=BB85_7 Depth=2
	s_andn2_saveexec_b32 s10, s10
; %bb.21:                               ;   in Loop: Header=BB85_7 Depth=2
	ds_write_b64 v46, v[20:21] offset:128
; %bb.22:                               ;   in Loop: Header=BB85_7 Depth=2
	s_or_b32 exec_lo, exec_lo, s10
.LBB85_23:                              ;   in Loop: Header=BB85_7 Depth=2
	s_or_b32 exec_lo, exec_lo, s9
	v_cmp_eq_u64_e64 s9, s[36:37], v[38:39]
	v_cmp_lt_i64_e64 s10, v[2:3], v[36:37]
	s_and_b32 s48, s42, s9
	v_add_co_u32 v2, s9, v28, v26
	s_or_b32 s10, s4, s10
	v_add_co_ci_u32_e64 v3, null, v29, v27, s9
	s_or_b32 s9, s10, s48
	s_nor_b32 s6, s6, s9
	s_and_saveexec_b32 s9, s6
	s_xor_b32 s6, exec_lo, s9
	s_cbranch_execz .LBB85_25
; %bb.24:                               ;   in Loop: Header=BB85_7 Depth=2
	global_load_dwordx2 v[4:5], v[2:3], off
	s_waitcnt vmcnt(0)
	ds_write_b64 v46, v[4:5] offset:4096
.LBB85_25:                              ;   in Loop: Header=BB85_7 Depth=2
	s_andn2_saveexec_b32 s6, s6
	s_cbranch_execz .LBB85_31
; %bb.26:                               ;   in Loop: Header=BB85_7 Depth=2
	s_xor_b32 s9, s48, -1
	s_and_saveexec_b32 s10, s9
	s_xor_b32 s9, exec_lo, s10
; %bb.27:                               ;   in Loop: Header=BB85_7 Depth=2
	v_mov_b32_e32 v4, v21
	v_mov_b32_e32 v5, v21
	ds_write_b64 v46, v[4:5] offset:4096
; %bb.28:                               ;   in Loop: Header=BB85_7 Depth=2
	s_andn2_saveexec_b32 s9, s9
; %bb.29:                               ;   in Loop: Header=BB85_7 Depth=2
	ds_write_b64 v46, v[20:21] offset:4096
; %bb.30:                               ;   in Loop: Header=BB85_7 Depth=2
	s_or_b32 exec_lo, exec_lo, s9
.LBB85_31:                              ;   in Loop: Header=BB85_7 Depth=2
	s_or_b32 exec_lo, exec_lo, s6
	s_or_b32 s5, s4, s5
	s_or_b32 s5, s8, s5
	s_nor_b32 s5, s5, s47
	s_and_saveexec_b32 s6, s5
	s_xor_b32 s5, exec_lo, s6
	s_cbranch_execz .LBB85_33
; %bb.32:                               ;   in Loop: Header=BB85_7 Depth=2
	global_load_dwordx2 v[2:3], v[2:3], off offset:128
	s_waitcnt vmcnt(0)
	ds_write_b64 v46, v[2:3] offset:4224
.LBB85_33:                              ;   in Loop: Header=BB85_7 Depth=2
	s_andn2_saveexec_b32 s5, s5
	s_cbranch_execz .LBB85_39
; %bb.34:                               ;   in Loop: Header=BB85_7 Depth=2
	s_and_saveexec_b32 s6, s46
	s_xor_b32 s6, exec_lo, s6
; %bb.35:                               ;   in Loop: Header=BB85_7 Depth=2
	v_mov_b32_e32 v2, v21
	v_mov_b32_e32 v3, v21
	ds_write_b64 v46, v[2:3] offset:4224
; %bb.36:                               ;   in Loop: Header=BB85_7 Depth=2
	s_andn2_saveexec_b32 s6, s6
; %bb.37:                               ;   in Loop: Header=BB85_7 Depth=2
	ds_write_b64 v46, v[20:21] offset:4224
; %bb.38:                               ;   in Loop: Header=BB85_7 Depth=2
	s_or_b32 exec_lo, exec_lo, s6
.LBB85_39:                              ;   in Loop: Header=BB85_7 Depth=2
	s_or_b32 exec_lo, exec_lo, s5
	v_add_co_u32 v2, s5, v14, s36
	v_add_co_ci_u32_e64 v3, null, s37, v15, s5
	v_add_co_u32 v4, s6, v30, v42
	v_add_co_ci_u32_e64 v5, null, v31, v43, s6
	v_cmp_le_i64_e64 s5, s[18:19], v[2:3]
	s_nor_b32 s6, s5, s1
	s_and_saveexec_b32 s8, s6
	s_xor_b32 s6, exec_lo, s8
	s_cbranch_execz .LBB85_41
; %bb.40:                               ;   in Loop: Header=BB85_7 Depth=2
	global_load_dwordx2 v[6:7], v[4:5], off offset:-128
	s_waitcnt vmcnt(0)
	ds_write_b64 v47, v[6:7]
.LBB85_41:                              ;   in Loop: Header=BB85_7 Depth=2
	s_andn2_saveexec_b32 s6, s6
; %bb.42:                               ;   in Loop: Header=BB85_7 Depth=2
	v_mov_b32_e32 v6, v21
	v_mov_b32_e32 v7, v21
	ds_write_b64 v47, v[6:7]
; %bb.43:                               ;   in Loop: Header=BB85_7 Depth=2
	s_or_b32 exec_lo, exec_lo, s6
	s_nor_b32 s5, s5, s2
	s_and_saveexec_b32 s6, s5
	s_xor_b32 s5, exec_lo, s6
	s_cbranch_execz .LBB85_45
; %bb.44:                               ;   in Loop: Header=BB85_7 Depth=2
	global_load_dwordx2 v[4:5], v[4:5], off
	s_waitcnt vmcnt(0)
	ds_write_b64 v47, v[4:5] offset:128
.LBB85_45:                              ;   in Loop: Header=BB85_7 Depth=2
	s_andn2_saveexec_b32 s5, s5
; %bb.46:                               ;   in Loop: Header=BB85_7 Depth=2
	v_mov_b32_e32 v4, v21
	v_mov_b32_e32 v5, v21
	ds_write_b64 v47, v[4:5] offset:128
; %bb.47:                               ;   in Loop: Header=BB85_7 Depth=2
	s_or_b32 exec_lo, exec_lo, s5
	v_cmp_le_i64_e64 s5, s[28:29], v[2:3]
	v_add_co_u32 v2, s6, v34, v42
	v_add_co_ci_u32_e64 v3, null, v35, v43, s6
	s_nor_b32 s6, s5, s1
	s_and_saveexec_b32 s8, s6
	s_xor_b32 s6, exec_lo, s8
	s_cbranch_execz .LBB85_49
; %bb.48:                               ;   in Loop: Header=BB85_7 Depth=2
	global_load_dwordx2 v[4:5], v[2:3], off
	s_waitcnt vmcnt(0)
	ds_write_b64 v47, v[4:5] offset:4096
.LBB85_49:                              ;   in Loop: Header=BB85_7 Depth=2
	s_andn2_saveexec_b32 s6, s6
; %bb.50:                               ;   in Loop: Header=BB85_7 Depth=2
	v_mov_b32_e32 v4, v21
	v_mov_b32_e32 v5, v21
	ds_write_b64 v47, v[4:5] offset:4096
; %bb.51:                               ;   in Loop: Header=BB85_7 Depth=2
	s_or_b32 exec_lo, exec_lo, s6
	s_nor_b32 s5, s5, s2
	s_and_saveexec_b32 s6, s5
	s_xor_b32 s5, exec_lo, s6
	s_cbranch_execz .LBB85_53
; %bb.52:                               ;   in Loop: Header=BB85_7 Depth=2
	global_load_dwordx2 v[2:3], v[2:3], off offset:128
	s_waitcnt vmcnt(0)
	ds_write_b64 v47, v[2:3] offset:4224
.LBB85_53:                              ;   in Loop: Header=BB85_7 Depth=2
	s_andn2_saveexec_b32 s5, s5
	s_cbranch_execz .LBB85_6
; %bb.54:                               ;   in Loop: Header=BB85_7 Depth=2
	v_mov_b32_e32 v2, v21
	v_mov_b32_e32 v3, v21
	ds_write_b64 v47, v[2:3] offset:4224
	s_branch .LBB85_6
.LBB85_55:                              ;   in Loop: Header=BB85_4 Depth=1
	v_mov_b32_e32 v56, 0
	v_mov_b32_e32 v57, 0
	;; [unrolled: 1-line block ×8, first 2 shown]
.LBB85_56:                              ;   in Loop: Header=BB85_4 Depth=1
	v_mul_lo_u32 v4, s41, v22
	v_mul_lo_u32 v5, s40, v23
	v_mad_u64_u32 v[2:3], null, s40, v22, 0
	v_cmp_gt_i32_e64 s3, s30, v22
	v_add3_u32 v3, v3, v5, v4
	v_lshlrev_b64 v[2:3], 3, v[2:3]
	v_add_co_u32 v2, s4, s38, v2
	v_add_co_ci_u32_e64 v3, null, s39, v3, s4
	s_and_b32 s4, vcc_lo, s3
	s_and_saveexec_b32 s5, s4
	s_cbranch_execz .LBB85_58
; %bb.57:                               ;   in Loop: Header=BB85_4 Depth=1
	v_add_co_u32 v4, s4, v2, v16
	v_add_co_ci_u32_e64 v5, null, v3, v17, s4
	v_mul_f32_e32 v8, s11, v57
	v_mul_f32_e32 v9, s31, v57
	global_load_dwordx2 v[6:7], v[4:5], off
	v_fma_f32 v8, v56, s31, -v8
	v_fmac_f32_e32 v9, s11, v56
	s_waitcnt vmcnt(0)
	v_add_f32_e32 v6, v6, v8
	v_add_f32_e32 v7, v9, v7
	global_store_dwordx2 v[4:5], v[6:7], off
.LBB85_58:                              ;   in Loop: Header=BB85_4 Depth=1
	s_or_b32 exec_lo, exec_lo, s5
	s_and_b32 s3, s0, s3
	s_and_saveexec_b32 s4, s3
	s_cbranch_execz .LBB85_60
; %bb.59:                               ;   in Loop: Header=BB85_4 Depth=1
	v_lshlrev_b64 v[4:5], 3, v[10:11]
	v_mul_f32_e32 v6, s11, v55
	v_mul_f32_e32 v7, s31, v55
	v_fma_f32 v6, v54, s31, -v6
	v_add_co_u32 v2, s3, v2, v4
	v_add_co_ci_u32_e64 v3, null, v3, v5, s3
	v_fmac_f32_e32 v7, s11, v54
	global_load_dwordx2 v[4:5], v[2:3], off
	s_waitcnt vmcnt(0)
	v_add_f32_e32 v4, v4, v6
	v_add_f32_e32 v5, v7, v5
	global_store_dwordx2 v[2:3], v[4:5], off
.LBB85_60:                              ;   in Loop: Header=BB85_4 Depth=1
	s_or_b32 exec_lo, exec_lo, s4
	v_add_nc_u32_e32 v4, 16, v22
	v_ashrrev_i32_e32 v5, 31, v4
	v_mul_lo_u32 v6, s41, v4
	v_mad_u64_u32 v[2:3], null, s40, v4, 0
	v_cmp_gt_i32_e64 s3, s30, v4
	v_mul_lo_u32 v5, s40, v5
	v_add3_u32 v3, v3, v5, v6
	v_lshlrev_b64 v[2:3], 3, v[2:3]
	v_add_co_u32 v2, s4, s38, v2
	v_add_co_ci_u32_e64 v3, null, s39, v3, s4
	s_and_b32 s4, vcc_lo, s3
	s_and_saveexec_b32 s5, s4
	s_cbranch_execz .LBB85_62
; %bb.61:                               ;   in Loop: Header=BB85_4 Depth=1
	v_add_co_u32 v4, s4, v2, v16
	v_add_co_ci_u32_e64 v5, null, v3, v17, s4
	v_mul_f32_e32 v8, s11, v53
	v_mul_f32_e32 v9, s31, v53
	global_load_dwordx2 v[6:7], v[4:5], off
	v_fma_f32 v8, v52, s31, -v8
	v_fmac_f32_e32 v9, s11, v52
	s_waitcnt vmcnt(0)
	v_add_f32_e32 v6, v6, v8
	v_add_f32_e32 v7, v9, v7
	global_store_dwordx2 v[4:5], v[6:7], off
.LBB85_62:                              ;   in Loop: Header=BB85_4 Depth=1
	s_or_b32 exec_lo, exec_lo, s5
	s_and_b32 s3, s0, s3
	s_and_saveexec_b32 s4, s3
	s_cbranch_execz .LBB85_3
; %bb.63:                               ;   in Loop: Header=BB85_4 Depth=1
	v_lshlrev_b64 v[4:5], 3, v[10:11]
	v_mul_f32_e32 v6, s11, v50
	v_mul_f32_e32 v7, s31, v50
	v_fma_f32 v6, v51, s31, -v6
	v_add_co_u32 v2, s3, v2, v4
	v_add_co_ci_u32_e64 v3, null, v3, v5, s3
	v_fmac_f32_e32 v7, s11, v51
	global_load_dwordx2 v[4:5], v[2:3], off
	s_waitcnt vmcnt(0)
	v_add_f32_e32 v4, v4, v6
	v_add_f32_e32 v5, v7, v5
	global_store_dwordx2 v[2:3], v[4:5], off
	s_branch .LBB85_3
.LBB85_64:
	s_endpgm
	.section	.rodata,"a",@progbits
	.p2align	6, 0x0
	.amdhsa_kernel _ZL30rocblas_trmm_outofplace_kernelI19rocblas_complex_numIfELi32ELi2ELb0ELb0ELb0ELb0ES1_KS1_S1_Ev17rocblas_diagonal_iiT6_lPT7_lllS6_lllPT8_llli
		.amdhsa_group_segment_fixed_size 16384
		.amdhsa_private_segment_fixed_size 0
		.amdhsa_kernarg_size 392
		.amdhsa_user_sgpr_count 6
		.amdhsa_user_sgpr_private_segment_buffer 1
		.amdhsa_user_sgpr_dispatch_ptr 0
		.amdhsa_user_sgpr_queue_ptr 0
		.amdhsa_user_sgpr_kernarg_segment_ptr 1
		.amdhsa_user_sgpr_dispatch_id 0
		.amdhsa_user_sgpr_flat_scratch_init 0
		.amdhsa_user_sgpr_private_segment_size 0
		.amdhsa_wavefront_size32 1
		.amdhsa_uses_dynamic_stack 0
		.amdhsa_system_sgpr_private_segment_wavefront_offset 0
		.amdhsa_system_sgpr_workgroup_id_x 1
		.amdhsa_system_sgpr_workgroup_id_y 1
		.amdhsa_system_sgpr_workgroup_id_z 1
		.amdhsa_system_sgpr_workgroup_info 0
		.amdhsa_system_vgpr_workitem_id 1
		.amdhsa_next_free_vgpr 88
		.amdhsa_next_free_sgpr 49
		.amdhsa_reserve_vcc 1
		.amdhsa_reserve_flat_scratch 0
		.amdhsa_float_round_mode_32 0
		.amdhsa_float_round_mode_16_64 0
		.amdhsa_float_denorm_mode_32 3
		.amdhsa_float_denorm_mode_16_64 3
		.amdhsa_dx10_clamp 1
		.amdhsa_ieee_mode 1
		.amdhsa_fp16_overflow 0
		.amdhsa_workgroup_processor_mode 1
		.amdhsa_memory_ordered 1
		.amdhsa_forward_progress 1
		.amdhsa_shared_vgpr_count 0
		.amdhsa_exception_fp_ieee_invalid_op 0
		.amdhsa_exception_fp_denorm_src 0
		.amdhsa_exception_fp_ieee_div_zero 0
		.amdhsa_exception_fp_ieee_overflow 0
		.amdhsa_exception_fp_ieee_underflow 0
		.amdhsa_exception_fp_ieee_inexact 0
		.amdhsa_exception_int_div_zero 0
	.end_amdhsa_kernel
	.section	.text._ZL30rocblas_trmm_outofplace_kernelI19rocblas_complex_numIfELi32ELi2ELb0ELb0ELb0ELb0ES1_KS1_S1_Ev17rocblas_diagonal_iiT6_lPT7_lllS6_lllPT8_llli,"axG",@progbits,_ZL30rocblas_trmm_outofplace_kernelI19rocblas_complex_numIfELi32ELi2ELb0ELb0ELb0ELb0ES1_KS1_S1_Ev17rocblas_diagonal_iiT6_lPT7_lllS6_lllPT8_llli,comdat
.Lfunc_end85:
	.size	_ZL30rocblas_trmm_outofplace_kernelI19rocblas_complex_numIfELi32ELi2ELb0ELb0ELb0ELb0ES1_KS1_S1_Ev17rocblas_diagonal_iiT6_lPT7_lllS6_lllPT8_llli, .Lfunc_end85-_ZL30rocblas_trmm_outofplace_kernelI19rocblas_complex_numIfELi32ELi2ELb0ELb0ELb0ELb0ES1_KS1_S1_Ev17rocblas_diagonal_iiT6_lPT7_lllS6_lllPT8_llli
                                        ; -- End function
	.set _ZL30rocblas_trmm_outofplace_kernelI19rocblas_complex_numIfELi32ELi2ELb0ELb0ELb0ELb0ES1_KS1_S1_Ev17rocblas_diagonal_iiT6_lPT7_lllS6_lllPT8_llli.num_vgpr, 88
	.set _ZL30rocblas_trmm_outofplace_kernelI19rocblas_complex_numIfELi32ELi2ELb0ELb0ELb0ELb0ES1_KS1_S1_Ev17rocblas_diagonal_iiT6_lPT7_lllS6_lllPT8_llli.num_agpr, 0
	.set _ZL30rocblas_trmm_outofplace_kernelI19rocblas_complex_numIfELi32ELi2ELb0ELb0ELb0ELb0ES1_KS1_S1_Ev17rocblas_diagonal_iiT6_lPT7_lllS6_lllPT8_llli.numbered_sgpr, 49
	.set _ZL30rocblas_trmm_outofplace_kernelI19rocblas_complex_numIfELi32ELi2ELb0ELb0ELb0ELb0ES1_KS1_S1_Ev17rocblas_diagonal_iiT6_lPT7_lllS6_lllPT8_llli.num_named_barrier, 0
	.set _ZL30rocblas_trmm_outofplace_kernelI19rocblas_complex_numIfELi32ELi2ELb0ELb0ELb0ELb0ES1_KS1_S1_Ev17rocblas_diagonal_iiT6_lPT7_lllS6_lllPT8_llli.private_seg_size, 0
	.set _ZL30rocblas_trmm_outofplace_kernelI19rocblas_complex_numIfELi32ELi2ELb0ELb0ELb0ELb0ES1_KS1_S1_Ev17rocblas_diagonal_iiT6_lPT7_lllS6_lllPT8_llli.uses_vcc, 1
	.set _ZL30rocblas_trmm_outofplace_kernelI19rocblas_complex_numIfELi32ELi2ELb0ELb0ELb0ELb0ES1_KS1_S1_Ev17rocblas_diagonal_iiT6_lPT7_lllS6_lllPT8_llli.uses_flat_scratch, 0
	.set _ZL30rocblas_trmm_outofplace_kernelI19rocblas_complex_numIfELi32ELi2ELb0ELb0ELb0ELb0ES1_KS1_S1_Ev17rocblas_diagonal_iiT6_lPT7_lllS6_lllPT8_llli.has_dyn_sized_stack, 0
	.set _ZL30rocblas_trmm_outofplace_kernelI19rocblas_complex_numIfELi32ELi2ELb0ELb0ELb0ELb0ES1_KS1_S1_Ev17rocblas_diagonal_iiT6_lPT7_lllS6_lllPT8_llli.has_recursion, 0
	.set _ZL30rocblas_trmm_outofplace_kernelI19rocblas_complex_numIfELi32ELi2ELb0ELb0ELb0ELb0ES1_KS1_S1_Ev17rocblas_diagonal_iiT6_lPT7_lllS6_lllPT8_llli.has_indirect_call, 0
	.section	.AMDGPU.csdata,"",@progbits
; Kernel info:
; codeLenInByte = 6504
; TotalNumSgprs: 51
; NumVgprs: 88
; ScratchSize: 0
; MemoryBound: 1
; FloatMode: 240
; IeeeMode: 1
; LDSByteSize: 16384 bytes/workgroup (compile time only)
; SGPRBlocks: 0
; VGPRBlocks: 10
; NumSGPRsForWavesPerEU: 51
; NumVGPRsForWavesPerEU: 88
; Occupancy: 10
; WaveLimiterHint : 0
; COMPUTE_PGM_RSRC2:SCRATCH_EN: 0
; COMPUTE_PGM_RSRC2:USER_SGPR: 6
; COMPUTE_PGM_RSRC2:TRAP_HANDLER: 0
; COMPUTE_PGM_RSRC2:TGID_X_EN: 1
; COMPUTE_PGM_RSRC2:TGID_Y_EN: 1
; COMPUTE_PGM_RSRC2:TGID_Z_EN: 1
; COMPUTE_PGM_RSRC2:TIDIG_COMP_CNT: 1
	.section	.text._ZL30rocblas_trmm_outofplace_kernelI19rocblas_complex_numIfELi32ELi2ELb0ELb1ELb0ELb0EPKS1_S2_S1_Ev17rocblas_diagonal_iiT6_lPT7_lllS7_lllPT8_llli,"axG",@progbits,_ZL30rocblas_trmm_outofplace_kernelI19rocblas_complex_numIfELi32ELi2ELb0ELb1ELb0ELb0EPKS1_S2_S1_Ev17rocblas_diagonal_iiT6_lPT7_lllS7_lllPT8_llli,comdat
	.globl	_ZL30rocblas_trmm_outofplace_kernelI19rocblas_complex_numIfELi32ELi2ELb0ELb1ELb0ELb0EPKS1_S2_S1_Ev17rocblas_diagonal_iiT6_lPT7_lllS7_lllPT8_llli ; -- Begin function _ZL30rocblas_trmm_outofplace_kernelI19rocblas_complex_numIfELi32ELi2ELb0ELb1ELb0ELb0EPKS1_S2_S1_Ev17rocblas_diagonal_iiT6_lPT7_lllS7_lllPT8_llli
	.p2align	8
	.type	_ZL30rocblas_trmm_outofplace_kernelI19rocblas_complex_numIfELi32ELi2ELb0ELb1ELb0ELb0EPKS1_S2_S1_Ev17rocblas_diagonal_iiT6_lPT7_lllS7_lllPT8_llli,@function
_ZL30rocblas_trmm_outofplace_kernelI19rocblas_complex_numIfELi32ELi2ELb0ELb1ELb0ELb0EPKS1_S2_S1_Ev17rocblas_diagonal_iiT6_lPT7_lllS7_lllPT8_llli: ; @_ZL30rocblas_trmm_outofplace_kernelI19rocblas_complex_numIfELi32ELi2ELb0ELb1ELb0ELb0EPKS1_S2_S1_Ev17rocblas_diagonal_iiT6_lPT7_lllS7_lllPT8_llli
; %bb.0:
	s_load_dwordx16 s[12:27], s[4:5], 0x10
	s_waitcnt lgkmcnt(0)
	s_mul_i32 s0, s15, s8
	s_mul_hi_u32 s1, s14, s8
	s_add_i32 s1, s1, s0
	s_mul_i32 s0, s14, s8
	s_lshl_b64 s[0:1], s[0:1], 3
	s_add_u32 s0, s12, s0
	s_addc_u32 s1, s13, s1
	s_load_dwordx2 s[34:35], s[0:1], 0x0
	s_waitcnt lgkmcnt(0)
	s_or_b32 s0, s34, s35
	s_bitset0_b32 s0, 31
	s_cmp_eq_u32 s0, 0
	s_cbranch_scc1 .LBB86_63
; %bb.1:
	s_load_dwordx4 s[12:15], s[4:5], 0x0
	s_waitcnt lgkmcnt(0)
	s_add_i32 s0, s14, -1
	s_ashr_i32 s1, s0, 31
	s_lshr_b32 s1, s1, 27
	s_add_i32 s0, s0, s1
	s_ashr_i32 s11, s0, 5
	s_cmp_gt_i32 s7, s11
	s_cbranch_scc1 .LBB86_63
; %bb.2:
	s_clause 0x2
	s_load_dwordx8 s[36:43], s[4:5], 0x50
	s_load_dwordx4 s[28:31], s[4:5], 0x70
	s_load_dword s33, s[4:5], 0x8c
	v_lshl_add_u32 v2, s6, 5, v0
	v_lshl_add_u32 v8, v1, 3, 0x80
	v_lshlrev_b32_e32 v39, 3, v0
	v_lshlrev_b32_e32 v38, 8, v1
	v_mov_b32_e32 v11, 0
	v_ashrrev_i32_e32 v3, 31, v2
	v_sub_co_u32 v6, vcc_lo, s13, v2
	v_or_b32_e32 v41, 0x2000, v39
	v_add_nc_u32_e32 v40, v38, v39
	v_lshlrev_b64 v[12:13], 3, v[2:3]
	v_lshl_add_u32 v18, s7, 5, v1
	v_mov_b32_e32 v10, 1.0
	v_add_nc_u32_e32 v42, v41, v38
	v_add_nc_u32_e32 v47, 0x800, v41
	;; [unrolled: 1-line block ×4, first 2 shown]
	s_waitcnt lgkmcnt(0)
	s_mul_i32 s1, s39, s8
	s_mul_hi_u32 s2, s38, s8
	s_mul_i32 s0, s38, s8
	s_add_i32 s1, s2, s1
	s_mul_i32 s3, s31, s8
	s_lshl_b64 s[0:1], s[0:1], 3
	s_mul_hi_u32 s4, s30, s8
	s_add_u32 s5, s24, s0
	s_addc_u32 s6, s25, s1
	s_lshl_b64 s[0:1], s[26:27], 3
	s_mul_i32 s2, s30, s8
	s_add_u32 s5, s5, s0
	s_addc_u32 s6, s6, s1
	s_add_i32 s3, s4, s3
	v_mad_u64_u32 v[4:5], null, s36, v1, 0
	s_lshl_b64 s[0:1], s[2:3], 3
	v_mad_u64_u32 v[16:17], null, s36, v8, 0
	s_add_u32 s2, s40, s0
	s_addc_u32 s3, s41, s1
	s_lshl_b64 s[0:1], s[42:43], 3
	s_mul_hi_u32 s4, s22, s8
	s_add_u32 s30, s2, s0
	s_addc_u32 s31, s3, s1
	s_cmpk_eq_i32 s12, 0x84
	v_cmp_gt_i32_e64 s1, s13, v2
	s_cselect_b32 s38, -1, 0
	s_ashr_i32 s0, s13, 31
	v_sub_co_u32 v43, s3, 0, v0
	v_sub_co_ci_u32_e64 v7, null, s0, v3, vcc_lo
	v_add_co_u32 v14, vcc_lo, s5, v12
	v_add_co_ci_u32_e64 v15, null, s6, v13, vcc_lo
	v_cmp_gt_i64_e32 vcc_lo, 1, v[6:7]
	v_cmp_gt_i64_e64 s0, 17, v[6:7]
	v_add_nc_u32_e32 v6, 16, v2
	v_mov_b32_e32 v2, v5
	s_ashr_i32 s15, s14, 31
	s_lshl_b64 s[24:25], s[36:37], 8
	v_sub_co_ci_u32_e64 v44, null, 0, 0, s3
	v_mad_u64_u32 v[2:3], null, s37, v1, v[2:3]
	v_ashrrev_i32_e32 v7, 31, v6
	s_mul_i32 s3, s23, s8
	s_add_u32 s26, s14, -16
	s_addc_u32 s27, s15, -1
	s_add_i32 s5, s4, s3
	s_mul_i32 s4, s22, s8
	v_mov_b32_e32 v5, v2
	v_mov_b32_e32 v2, v17
	s_lshl_b64 s[4:5], s[4:5], 3
	s_lshl_b64 s[8:9], s[18:19], 3
	s_lshl_b32 s22, s33, 5
	v_lshlrev_b64 v[3:4], 3, v[4:5]
	v_lshlrev_b64 v[20:21], 3, v[6:7]
	v_cmp_gt_i32_e64 s2, s13, v6
	s_add_u32 s4, s4, s8
	s_addc_u32 s5, s5, s9
	s_add_u32 s12, s16, s4
	v_mad_u64_u32 v[8:9], null, s37, v8, v[2:3]
	v_add_co_u32 v17, s3, 0x80, v3
	v_add_co_ci_u32_e64 v45, null, 0, v4, s3
	s_addc_u32 s13, s17, s5
	s_lshl_b64 s[16:17], s[20:21], 3
	v_mov_b32_e32 v46, v8
	s_branch .LBB86_4
.LBB86_3:                               ;   in Loop: Header=BB86_4 Depth=1
	s_or_b32 exec_lo, exec_lo, s4
	v_add_nc_u32_e32 v18, s22, v18
	s_add_i32 s7, s33, s7
	s_cmp_le_i32 s7, s11
	s_cbranch_scc0 .LBB86_63
.LBB86_4:                               ; =>This Loop Header: Depth=1
                                        ;     Child Loop BB86_7 Depth 2
	s_lshl_b32 s23, s7, 5
	v_mov_b32_e32 v55, v11
	v_add_nc_u32_e32 v22, s23, v1
	v_mov_b32_e32 v56, v11
	v_mov_b32_e32 v53, v11
	;; [unrolled: 1-line block ×4, first 2 shown]
	v_ashrrev_i32_e32 v23, 31, v22
	v_mov_b32_e32 v52, v11
	v_mov_b32_e32 v50, v11
	;; [unrolled: 1-line block ×3, first 2 shown]
	s_cmp_lt_i32 s7, 0
	s_cbranch_scc1 .LBB86_55
; %bb.5:                                ;   in Loop: Header=BB86_4 Depth=1
	v_ashrrev_i32_e32 v19, 31, v18
	v_add_co_u32 v28, s4, v22, 16
	v_add_co_ci_u32_e64 v29, null, 0, v23, s4
	v_lshlrev_b64 v[2:3], 3, v[18:19]
	v_add_co_u32 v30, s4, v43, v18
	v_mad_u64_u32 v[24:25], null, s16, v18, s[12:13]
	v_mul_lo_u32 v4, s17, v18
	v_add_co_u32 v2, s3, 0x80, v2
	v_add_co_ci_u32_e64 v3, null, 0, v3, s3
	v_mul_lo_u32 v5, s16, v19
	v_mul_lo_u32 v6, s21, v2
	v_mad_u64_u32 v[26:27], null, s20, v2, s[12:13]
	v_mul_lo_u32 v3, s20, v3
	v_add_co_ci_u32_e64 v31, null, v44, v19, s4
	v_add_co_u32 v32, s5, v30, 16
	v_cmp_le_i64_e64 s4, s[14:15], v[28:29]
	v_add_co_ci_u32_e64 v33, null, 0, v31, s5
	v_add_co_u32 v34, s5, v30, -16
	v_mov_b32_e32 v37, v15
	v_cmp_le_i32_e64 s3, s14, v22
	v_add3_u32 v25, v4, v25, v5
	v_add3_u32 v27, v6, v27, v3
	v_add_co_ci_u32_e64 v35, null, -1, v31, s5
	v_mov_b32_e32 v19, 0
	v_mov_b32_e32 v36, v14
	;; [unrolled: 1-line block ×9, first 2 shown]
	s_mov_b64 s[18:19], 0
	s_branch .LBB86_7
.LBB86_6:                               ;   in Loop: Header=BB86_7 Depth=2
	s_or_b32 exec_lo, exec_lo, s5
	s_waitcnt lgkmcnt(0)
	s_barrier
	buffer_gl0_inv
	ds_read_b128 v[57:60], v38
	ds_read2_b64 v[61:64], v41 offset1:16
	ds_read_b128 v[65:68], v38 offset:4096
	ds_read_b128 v[69:72], v38 offset:16
	;; [unrolled: 1-line block ×4, first 2 shown]
	ds_read2_b64 v[73:76], v41 offset0:32 offset1:48
	ds_read_b128 v[77:80], v38 offset:4112
	v_add_co_u32 v26, s5, 0x100, v26
	v_add_co_ci_u32_e64 v27, null, 0, v27, s5
	v_add_co_u32 v36, s5, v36, s24
	v_add_co_ci_u32_e64 v37, null, s25, v37, s5
	v_add_co_u32 v24, s5, 0x100, v24
	s_add_u32 s18, s18, 32
	v_add_co_ci_u32_e64 v25, null, 0, v25, s5
	s_waitcnt lgkmcnt(6)
	v_mul_f32_e32 v81, v58, v62
	v_mul_f32_e32 v82, v57, v62
	;; [unrolled: 1-line block ×4, first 2 shown]
	s_waitcnt lgkmcnt(5)
	v_mul_f32_e32 v85, v66, v62
	v_mul_f32_e32 v62, v65, v62
	;; [unrolled: 1-line block ×3, first 2 shown]
	v_fma_f32 v81, v57, v61, -v81
	v_fmac_f32_e32 v82, v58, v61
	v_fma_f32 v57, v57, v63, -v83
	v_fmac_f32_e32 v84, v58, v63
	;; [unrolled: 2-line block ×3, first 2 shown]
	v_fma_f32 v61, v65, v63, -v86
	v_mul_f32_e32 v64, v65, v64
	v_add_f32_e32 v57, v53, v57
	v_add_f32_e32 v58, v51, v58
	;; [unrolled: 1-line block ×3, first 2 shown]
	s_waitcnt lgkmcnt(1)
	v_mul_f32_e32 v65, v60, v74
	v_add_f32_e32 v61, v50, v61
	ds_read2_b64 v[50:53], v41 offset0:64 offset1:80
	v_add_f32_e32 v55, v55, v81
	v_fmac_f32_e32 v64, v66, v63
	v_mul_f32_e32 v63, v59, v74
	v_fma_f32 v65, v59, v73, -v65
	v_mul_f32_e32 v66, v60, v76
	v_add_f32_e32 v56, v56, v82
	v_add_f32_e32 v19, v19, v64
	v_fmac_f32_e32 v63, v60, v73
	v_mul_f32_e32 v64, v59, v76
	v_add_f32_e32 v65, v55, v65
	v_fma_f32 v55, v59, v75, -v66
	v_mul_f32_e32 v59, v68, v74
	v_add_f32_e32 v54, v54, v84
	v_add_f32_e32 v63, v56, v63
	v_fmac_f32_e32 v64, v60, v75
	v_mul_f32_e32 v56, v67, v74
	v_add_f32_e32 v60, v57, v55
	v_fma_f32 v55, v67, v73, -v59
	v_mul_f32_e32 v57, v68, v76
	v_add_f32_e32 v59, v54, v64
	v_fmac_f32_e32 v56, v68, v73
	v_mul_f32_e32 v64, v67, v76
	v_add_f32_e32 v58, v58, v55
	v_fma_f32 v54, v67, v75, -v57
	s_waitcnt lgkmcnt(0)
	v_mul_f32_e32 v55, v70, v51
	v_add_f32_e32 v62, v62, v56
	v_fmac_f32_e32 v64, v68, v75
	v_mul_f32_e32 v66, v69, v51
	v_add_f32_e32 v61, v61, v54
	v_fma_f32 v67, v69, v50, -v55
	v_mul_f32_e32 v68, v70, v53
	ds_read2_b64 v[54:57], v41 offset0:96 offset1:112
	v_fmac_f32_e32 v66, v70, v50
	v_add_f32_e32 v19, v19, v64
	v_add_f32_e32 v64, v65, v67
	v_fma_f32 v67, v69, v52, -v68
	v_mul_f32_e32 v65, v69, v53
	v_add_f32_e32 v63, v63, v66
	v_mul_f32_e32 v66, v78, v51
	v_mul_f32_e32 v51, v77, v51
	v_add_f32_e32 v60, v60, v67
	v_mul_f32_e32 v67, v78, v53
	v_fmac_f32_e32 v65, v70, v52
	v_fma_f32 v66, v77, v50, -v66
	v_fmac_f32_e32 v51, v78, v50
	v_mul_f32_e32 v68, v77, v53
	v_fma_f32 v50, v77, v52, -v67
	v_add_f32_e32 v59, v59, v65
	v_add_f32_e32 v65, v58, v66
	v_add_f32_e32 v62, v62, v51
	v_fmac_f32_e32 v68, v78, v52
	s_waitcnt lgkmcnt(0)
	v_mul_f32_e32 v58, v72, v55
	v_add_f32_e32 v66, v61, v50
	ds_read2_b64 v[50:53], v41 offset0:128 offset1:144
	v_mul_f32_e32 v61, v71, v55
	v_mul_f32_e32 v67, v72, v57
	v_fma_f32 v58, v71, v54, -v58
	v_add_f32_e32 v19, v19, v68
	v_mul_f32_e32 v68, v71, v57
	v_fmac_f32_e32 v61, v72, v54
	v_fma_f32 v67, v71, v56, -v67
	v_add_f32_e32 v64, v64, v58
	v_mul_f32_e32 v58, v80, v55
	v_fmac_f32_e32 v68, v72, v56
	v_mul_f32_e32 v55, v79, v55
	v_mul_f32_e32 v70, v80, v57
	v_add_f32_e32 v63, v63, v61
	v_fma_f32 v69, v79, v54, -v58
	v_add_f32_e32 v67, v60, v67
	v_add_f32_e32 v68, v59, v68
	ds_read_b128 v[58:61], v38 offset:4128
	v_fmac_f32_e32 v55, v80, v54
	v_add_f32_e32 v69, v65, v69
	v_mul_f32_e32 v65, v79, v57
	v_fma_f32 v54, v79, v56, -v70
	s_waitcnt lgkmcnt(1)
	v_mul_f32_e32 v57, v7, v51
	v_add_f32_e32 v70, v62, v55
	v_mul_f32_e32 v62, v6, v51
	v_fmac_f32_e32 v65, v80, v56
	v_add_f32_e32 v66, v66, v54
	v_fma_f32 v71, v6, v50, -v57
	ds_read2_b64 v[54:57], v41 offset0:160 offset1:176
	v_fmac_f32_e32 v62, v7, v50
	v_mul_f32_e32 v72, v7, v53
	v_mul_f32_e32 v73, v6, v53
	v_add_f32_e32 v19, v19, v65
	v_add_f32_e32 v71, v64, v71
	;; [unrolled: 1-line block ×3, first 2 shown]
	v_fma_f32 v6, v6, v52, -v72
	ds_read_b128 v[62:65], v38 offset:4144
	s_waitcnt lgkmcnt(2)
	v_mul_f32_e32 v72, v59, v51
	v_fmac_f32_e32 v73, v7, v52
	v_mul_f32_e32 v7, v58, v51
	v_mul_f32_e32 v51, v59, v53
	v_add_f32_e32 v6, v67, v6
	v_fma_f32 v67, v58, v50, -v72
	v_mul_f32_e32 v72, v58, v53
	v_fmac_f32_e32 v7, v59, v50
	v_fma_f32 v50, v58, v52, -v51
	v_add_f32_e32 v68, v68, v73
	v_add_f32_e32 v58, v69, v67
	s_waitcnt lgkmcnt(1)
	v_mul_f32_e32 v51, v9, v55
	v_fmac_f32_e32 v72, v59, v52
	v_add_f32_e32 v59, v66, v50
	v_mul_f32_e32 v69, v9, v57
	v_add_f32_e32 v7, v70, v7
	v_fma_f32 v67, v8, v54, -v51
	ds_read2_b64 v[50:53], v41 offset0:192 offset1:208
	v_mul_f32_e32 v66, v8, v55
	v_mul_f32_e32 v70, v8, v57
	v_fma_f32 v8, v8, v56, -v69
	v_mul_f32_e32 v69, v61, v55
	v_mul_f32_e32 v55, v60, v55
	v_add_f32_e32 v67, v71, v67
	v_fmac_f32_e32 v66, v9, v54
	v_add_f32_e32 v71, v6, v8
	v_fma_f32 v6, v60, v54, -v69
	v_fmac_f32_e32 v55, v61, v54
	v_mul_f32_e32 v8, v61, v57
	v_fmac_f32_e32 v70, v9, v56
	v_mul_f32_e32 v57, v60, v57
	v_add_f32_e32 v58, v58, v6
	v_add_f32_e32 v55, v7, v55
	v_fma_f32 v60, v60, v56, -v8
	ds_read2_b64 v[6:9], v41 offset0:224 offset1:240
	v_add_f32_e32 v54, v68, v70
	v_fmac_f32_e32 v57, v61, v56
	s_waitcnt lgkmcnt(1)
	v_mul_f32_e32 v68, v3, v51
	v_mul_f32_e32 v56, v2, v51
	v_add_f32_e32 v66, v74, v66
	v_add_f32_e32 v59, v59, v60
	v_mul_f32_e32 v61, v3, v53
	v_fma_f32 v60, v2, v50, -v68
	v_fmac_f32_e32 v56, v3, v50
	v_mul_f32_e32 v68, v2, v53
	v_add_f32_e32 v19, v19, v72
	v_fma_f32 v2, v2, v52, -v61
	v_add_f32_e32 v60, v67, v60
	v_add_f32_e32 v61, v66, v56
	v_fmac_f32_e32 v68, v3, v52
	v_mul_f32_e32 v3, v63, v51
	v_mul_f32_e32 v51, v62, v51
	;; [unrolled: 1-line block ×4, first 2 shown]
	s_waitcnt lgkmcnt(0)
	v_mul_f32_e32 v53, v5, v7
	v_fma_f32 v3, v62, v50, -v3
	v_fmac_f32_e32 v51, v63, v50
	v_fma_f32 v50, v62, v52, -v56
	v_add_f32_e32 v19, v19, v57
	v_add_f32_e32 v66, v54, v68
	;; [unrolled: 1-line block ×4, first 2 shown]
	v_fmac_f32_e32 v67, v63, v52
	v_add_f32_e32 v63, v59, v50
	v_fma_f32 v3, v4, v6, -v53
	ds_read_b128 v[50:53], v38 offset:64
	ds_read2_b64 v[54:57], v47 offset1:16
	v_mul_f32_e32 v59, v4, v7
	v_mul_f32_e32 v68, v5, v9
	v_add_f32_e32 v2, v71, v2
	v_add_f32_e32 v19, v19, v67
	v_mul_f32_e32 v67, v4, v9
	v_fmac_f32_e32 v59, v5, v6
	v_add_f32_e32 v69, v60, v3
	v_fma_f32 v3, v4, v8, -v68
	v_mul_f32_e32 v4, v65, v7
	v_mul_f32_e32 v7, v64, v7
	;; [unrolled: 1-line block ×3, first 2 shown]
	v_add_f32_e32 v68, v61, v59
	v_fmac_f32_e32 v67, v5, v8
	v_add_f32_e32 v70, v2, v3
	v_fma_f32 v59, v64, v6, -v4
	v_fmac_f32_e32 v7, v65, v6
	ds_read_b128 v[2:5], v38 offset:4160
	v_fma_f32 v6, v64, v8, -v60
	v_mul_f32_e32 v64, v64, v9
	s_waitcnt lgkmcnt(1)
	v_mul_f32_e32 v9, v51, v55
	v_add_f32_e32 v71, v62, v7
	v_mul_f32_e32 v62, v50, v55
	v_add_f32_e32 v72, v63, v6
	v_fmac_f32_e32 v64, v65, v8
	v_fma_f32 v63, v50, v54, -v9
	ds_read2_b64 v[6:9], v47 offset0:32 offset1:48
	v_mul_f32_e32 v65, v51, v57
	v_mul_f32_e32 v73, v50, v57
	v_add_f32_e32 v66, v66, v67
	v_add_f32_e32 v67, v58, v59
	ds_read_b128 v[58:61], v38 offset:80
	v_fmac_f32_e32 v62, v51, v54
	v_fma_f32 v50, v50, v56, -v65
	v_fmac_f32_e32 v73, v51, v56
	v_add_f32_e32 v69, v69, v63
	v_add_f32_e32 v19, v19, v64
	s_waitcnt lgkmcnt(2)
	v_mul_f32_e32 v74, v3, v55
	v_mul_f32_e32 v51, v2, v55
	;; [unrolled: 1-line block ×3, first 2 shown]
	v_add_f32_e32 v50, v70, v50
	v_add_f32_e32 v66, v66, v73
	v_fma_f32 v70, v2, v54, -v74
	v_fmac_f32_e32 v51, v3, v54
	v_mul_f32_e32 v73, v2, v57
	v_fma_f32 v2, v2, v56, -v55
	s_waitcnt lgkmcnt(1)
	v_mul_f32_e32 v54, v53, v7
	v_add_f32_e32 v67, v67, v70
	v_add_f32_e32 v51, v71, v51
	v_fmac_f32_e32 v73, v3, v56
	v_add_f32_e32 v70, v72, v2
	v_mul_f32_e32 v2, v52, v7
	v_fma_f32 v3, v52, v6, -v54
	ds_read2_b64 v[54:57], v47 offset0:64 offset1:80
	v_mul_f32_e32 v71, v53, v9
	v_add_f32_e32 v68, v68, v62
	v_fmac_f32_e32 v2, v53, v6
	v_add_f32_e32 v69, v69, v3
	v_mul_f32_e32 v3, v52, v9
	v_fma_f32 v52, v52, v8, -v71
	v_mul_f32_e32 v71, v5, v7
	v_mul_f32_e32 v7, v4, v7
	ds_read_b128 v[62:65], v38 offset:4176
	v_add_f32_e32 v68, v68, v2
	v_fmac_f32_e32 v3, v53, v8
	v_fma_f32 v2, v4, v6, -v71
	v_fmac_f32_e32 v7, v5, v6
	v_mul_f32_e32 v6, v5, v9
	v_mul_f32_e32 v9, v4, v9
	v_add_f32_e32 v50, v50, v52
	v_add_f32_e32 v52, v66, v3
	;; [unrolled: 1-line block ×3, first 2 shown]
	v_fma_f32 v6, v4, v8, -v6
	v_fmac_f32_e32 v9, v5, v8
	ds_read2_b64 v[2:5], v47 offset0:96 offset1:112
	v_add_f32_e32 v19, v19, v73
	v_add_f32_e32 v7, v51, v7
	s_waitcnt lgkmcnt(2)
	v_mul_f32_e32 v51, v59, v55
	v_mul_f32_e32 v8, v58, v55
	;; [unrolled: 1-line block ×3, first 2 shown]
	v_add_f32_e32 v19, v19, v9
	v_mul_f32_e32 v67, v58, v57
	v_fma_f32 v51, v58, v54, -v51
	v_fmac_f32_e32 v8, v59, v54
	v_fma_f32 v9, v58, v56, -v66
	v_add_f32_e32 v6, v70, v6
	v_fmac_f32_e32 v67, v59, v56
	v_add_f32_e32 v69, v69, v51
	v_add_f32_e32 v58, v68, v8
	s_waitcnt lgkmcnt(1)
	v_mul_f32_e32 v8, v63, v55
	v_mul_f32_e32 v51, v62, v55
	v_add_f32_e32 v55, v50, v9
	v_mul_f32_e32 v9, v63, v57
	v_add_f32_e32 v59, v52, v67
	v_fma_f32 v8, v62, v54, -v8
	v_fmac_f32_e32 v51, v63, v54
	v_mul_f32_e32 v54, v62, v57
	v_fma_f32 v9, v62, v56, -v9
	s_waitcnt lgkmcnt(0)
	v_mul_f32_e32 v50, v61, v3
	v_add_f32_e32 v62, v53, v8
	v_add_f32_e32 v66, v7, v51
	v_fmac_f32_e32 v54, v63, v56
	v_add_f32_e32 v63, v6, v9
	v_fma_f32 v56, v60, v2, -v50
	ds_read_b128 v[6:9], v38 offset:96
	ds_read2_b64 v[50:53], v47 offset0:128 offset1:144
	v_mul_f32_e32 v57, v60, v3
	v_mul_f32_e32 v67, v61, v5
	v_add_f32_e32 v19, v19, v54
	v_mul_f32_e32 v54, v60, v5
	v_add_f32_e32 v68, v69, v56
	v_fmac_f32_e32 v57, v61, v2
	v_fma_f32 v56, v60, v4, -v67
	v_mul_f32_e32 v60, v65, v3
	v_fmac_f32_e32 v54, v61, v4
	v_mul_f32_e32 v3, v64, v3
	v_add_f32_e32 v67, v58, v57
	v_add_f32_e32 v69, v55, v56
	v_fma_f32 v58, v64, v2, -v60
	v_mul_f32_e32 v60, v65, v5
	v_add_f32_e32 v70, v59, v54
	v_fmac_f32_e32 v3, v65, v2
	ds_read_b128 v[54:57], v38 offset:4192
	v_add_f32_e32 v71, v62, v58
	v_fma_f32 v2, v64, v4, -v60
	v_mul_f32_e32 v62, v64, v5
	s_waitcnt lgkmcnt(1)
	v_mul_f32_e32 v5, v7, v51
	v_add_f32_e32 v66, v66, v3
	v_mul_f32_e32 v64, v6, v51
	v_add_f32_e32 v72, v63, v2
	v_fmac_f32_e32 v62, v65, v4
	v_fma_f32 v63, v6, v50, -v5
	ds_read2_b64 v[2:5], v47 offset0:160 offset1:176
	v_mul_f32_e32 v65, v7, v53
	v_mul_f32_e32 v73, v6, v53
	ds_read_b128 v[58:61], v38 offset:112
	v_fmac_f32_e32 v64, v7, v50
	v_add_f32_e32 v68, v68, v63
	v_fma_f32 v6, v6, v52, -v65
	v_fmac_f32_e32 v73, v7, v52
	v_add_f32_e32 v19, v19, v62
	v_add_f32_e32 v67, v67, v64
	s_waitcnt lgkmcnt(2)
	v_mul_f32_e32 v74, v55, v51
	v_mul_f32_e32 v7, v54, v51
	;; [unrolled: 1-line block ×3, first 2 shown]
	v_add_f32_e32 v6, v69, v6
	v_add_f32_e32 v70, v70, v73
	v_fma_f32 v69, v54, v50, -v74
	v_fmac_f32_e32 v7, v55, v50
	v_mul_f32_e32 v73, v54, v53
	v_fma_f32 v50, v54, v52, -v51
	ds_read_b128 v[62:65], v38 offset:4208
	s_waitcnt lgkmcnt(2)
	v_mul_f32_e32 v51, v9, v3
	v_add_f32_e32 v54, v71, v69
	v_fmac_f32_e32 v73, v55, v52
	v_add_f32_e32 v55, v72, v50
	v_add_f32_e32 v7, v66, v7
	v_fma_f32 v69, v8, v2, -v51
	ds_read2_b64 v[50:53], v47 offset0:192 offset1:208
	v_mul_f32_e32 v66, v8, v3
	v_mul_f32_e32 v71, v9, v5
	v_add_f32_e32 v19, v19, v73
	v_add_f32_e32 v68, v68, v69
	v_mul_f32_e32 v69, v8, v5
	v_fmac_f32_e32 v66, v9, v2
	v_fma_f32 v8, v8, v4, -v71
	v_mul_f32_e32 v71, v57, v3
	v_mul_f32_e32 v3, v56, v3
	v_fmac_f32_e32 v69, v9, v4
	v_add_f32_e32 v66, v67, v66
	v_add_f32_e32 v6, v6, v8
	v_fma_f32 v8, v56, v2, -v71
	v_fmac_f32_e32 v3, v57, v2
	v_mul_f32_e32 v2, v57, v5
	v_mul_f32_e32 v67, v56, v5
	v_add_f32_e32 v9, v70, v69
	v_add_f32_e32 v8, v54, v8
	;; [unrolled: 1-line block ×3, first 2 shown]
	v_fma_f32 v54, v56, v4, -v2
	s_waitcnt lgkmcnt(0)
	v_mul_f32_e32 v56, v59, v51
	v_fmac_f32_e32 v67, v57, v4
	ds_read2_b64 v[2:5], v47 offset0:224 offset1:240
	v_mul_f32_e32 v69, v58, v53
	v_add_f32_e32 v54, v55, v54
	v_fma_f32 v55, v58, v50, -v56
	v_mul_f32_e32 v56, v59, v53
	v_mul_f32_e32 v57, v58, v51
	v_fmac_f32_e32 v69, v59, v52
	v_add_f32_e32 v19, v19, v67
	v_add_f32_e32 v55, v68, v55
	v_fma_f32 v56, v58, v52, -v56
	v_mul_f32_e32 v58, v63, v51
	v_mul_f32_e32 v51, v62, v51
	v_fmac_f32_e32 v57, v59, v50
	v_add_f32_e32 v59, v9, v69
	v_add_f32_e32 v56, v6, v56
	v_mul_f32_e32 v6, v63, v53
	v_fma_f32 v9, v62, v50, -v58
	v_fmac_f32_e32 v51, v63, v50
	v_mul_f32_e32 v58, v62, v53
	v_add_f32_e32 v57, v66, v57
	v_fma_f32 v6, v62, v52, -v6
	s_waitcnt lgkmcnt(0)
	v_mul_f32_e32 v50, v61, v3
	v_add_f32_e32 v62, v8, v9
	v_add_f32_e32 v66, v7, v51
	v_fmac_f32_e32 v58, v63, v52
	v_add_f32_e32 v63, v54, v6
	v_fma_f32 v54, v60, v2, -v50
	ds_read_b128 v[6:9], v38 offset:128
	ds_read2_b64 v[50:53], v48 offset1:16
	v_mul_f32_e32 v67, v60, v3
	v_mul_f32_e32 v68, v61, v5
	v_add_f32_e32 v19, v19, v58
	v_mul_f32_e32 v58, v60, v5
	v_add_f32_e32 v69, v55, v54
	v_mul_f32_e32 v55, v65, v3
	v_fmac_f32_e32 v67, v61, v2
	v_fma_f32 v54, v60, v4, -v68
	v_fmac_f32_e32 v58, v61, v4
	v_mul_f32_e32 v3, v64, v3
	v_fma_f32 v60, v64, v2, -v55
	v_mul_f32_e32 v61, v65, v5
	v_add_f32_e32 v67, v57, v67
	v_add_f32_e32 v68, v56, v54
	v_fmac_f32_e32 v3, v65, v2
	ds_read_b128 v[54:57], v38 offset:4224
	v_add_f32_e32 v71, v62, v60
	v_fma_f32 v2, v64, v4, -v61
	v_mul_f32_e32 v62, v64, v5
	s_waitcnt lgkmcnt(1)
	v_mul_f32_e32 v5, v7, v51
	v_add_f32_e32 v66, v66, v3
	v_mul_f32_e32 v64, v6, v51
	v_add_f32_e32 v72, v63, v2
	v_fmac_f32_e32 v62, v65, v4
	v_fma_f32 v63, v6, v50, -v5
	ds_read2_b64 v[2:5], v48 offset0:32 offset1:48
	v_mul_f32_e32 v65, v7, v53
	v_mul_f32_e32 v73, v6, v53
	v_add_f32_e32 v70, v59, v58
	ds_read_b128 v[58:61], v38 offset:144
	v_fmac_f32_e32 v64, v7, v50
	v_fma_f32 v6, v6, v52, -v65
	v_fmac_f32_e32 v73, v7, v52
	v_add_f32_e32 v69, v69, v63
	v_add_f32_e32 v19, v19, v62
	s_waitcnt lgkmcnt(2)
	v_mul_f32_e32 v74, v55, v51
	v_mul_f32_e32 v7, v54, v51
	;; [unrolled: 1-line block ×3, first 2 shown]
	v_add_f32_e32 v6, v68, v6
	v_add_f32_e32 v70, v70, v73
	v_fma_f32 v68, v54, v50, -v74
	v_fmac_f32_e32 v7, v55, v50
	v_mul_f32_e32 v73, v54, v53
	v_fma_f32 v50, v54, v52, -v51
	v_add_f32_e32 v67, v67, v64
	s_waitcnt lgkmcnt(1)
	v_mul_f32_e32 v51, v9, v3
	v_add_f32_e32 v54, v71, v68
	v_fmac_f32_e32 v73, v55, v52
	v_add_f32_e32 v55, v72, v50
	v_add_f32_e32 v7, v66, v7
	v_fma_f32 v68, v8, v2, -v51
	ds_read2_b64 v[50:53], v48 offset0:64 offset1:80
	v_mul_f32_e32 v66, v8, v3
	v_mul_f32_e32 v71, v9, v5
	ds_read_b128 v[62:65], v38 offset:4240
	v_add_f32_e32 v68, v69, v68
	v_mul_f32_e32 v69, v8, v5
	v_fmac_f32_e32 v66, v9, v2
	v_fma_f32 v8, v8, v4, -v71
	v_mul_f32_e32 v71, v57, v3
	v_mul_f32_e32 v3, v56, v3
	v_fmac_f32_e32 v69, v9, v4
	v_add_f32_e32 v66, v67, v66
	v_add_f32_e32 v6, v6, v8
	v_fma_f32 v8, v56, v2, -v71
	v_fmac_f32_e32 v3, v57, v2
	v_mul_f32_e32 v2, v57, v5
	v_mul_f32_e32 v67, v56, v5
	v_add_f32_e32 v9, v70, v69
	v_add_f32_e32 v8, v54, v8
	v_add_f32_e32 v7, v7, v3
	v_fma_f32 v54, v56, v4, -v2
	s_waitcnt lgkmcnt(1)
	v_mul_f32_e32 v56, v59, v51
	v_fmac_f32_e32 v67, v57, v4
	ds_read2_b64 v[2:5], v48 offset0:96 offset1:112
	v_mul_f32_e32 v69, v58, v53
	v_add_f32_e32 v54, v55, v54
	v_fma_f32 v55, v58, v50, -v56
	v_mul_f32_e32 v56, v59, v53
	v_mul_f32_e32 v57, v58, v51
	v_fmac_f32_e32 v69, v59, v52
	v_add_f32_e32 v19, v19, v73
	v_add_f32_e32 v55, v68, v55
	v_fma_f32 v56, v58, v52, -v56
	s_waitcnt lgkmcnt(1)
	v_mul_f32_e32 v58, v63, v51
	v_mul_f32_e32 v51, v62, v51
	v_fmac_f32_e32 v57, v59, v50
	v_add_f32_e32 v59, v9, v69
	v_add_f32_e32 v56, v6, v56
	v_mul_f32_e32 v6, v63, v53
	v_fma_f32 v9, v62, v50, -v58
	v_fmac_f32_e32 v51, v63, v50
	v_mul_f32_e32 v58, v62, v53
	v_add_f32_e32 v57, v66, v57
	v_fma_f32 v6, v62, v52, -v6
	s_waitcnt lgkmcnt(0)
	v_mul_f32_e32 v50, v61, v3
	v_add_f32_e32 v62, v8, v9
	v_add_f32_e32 v66, v7, v51
	v_fmac_f32_e32 v58, v63, v52
	v_add_f32_e32 v63, v54, v6
	v_fma_f32 v54, v60, v2, -v50
	ds_read_b128 v[6:9], v38 offset:160
	ds_read2_b64 v[50:53], v48 offset0:128 offset1:144
	v_add_f32_e32 v19, v19, v67
	v_mul_f32_e32 v67, v60, v3
	v_mul_f32_e32 v68, v61, v5
	v_add_f32_e32 v69, v55, v54
	v_mul_f32_e32 v55, v65, v3
	v_add_f32_e32 v19, v19, v58
	v_mul_f32_e32 v58, v60, v5
	v_fmac_f32_e32 v67, v61, v2
	v_fma_f32 v54, v60, v4, -v68
	v_mul_f32_e32 v3, v64, v3
	v_fma_f32 v60, v64, v2, -v55
	v_fmac_f32_e32 v58, v61, v4
	v_mul_f32_e32 v61, v65, v5
	v_add_f32_e32 v67, v57, v67
	v_add_f32_e32 v68, v56, v54
	v_fmac_f32_e32 v3, v65, v2
	ds_read_b128 v[54:57], v38 offset:4256
	v_add_f32_e32 v71, v62, v60
	v_fma_f32 v2, v64, v4, -v61
	v_mul_f32_e32 v62, v64, v5
	s_waitcnt lgkmcnt(1)
	v_mul_f32_e32 v5, v7, v51
	v_add_f32_e32 v66, v66, v3
	v_mul_f32_e32 v64, v6, v51
	v_add_f32_e32 v72, v63, v2
	v_fmac_f32_e32 v62, v65, v4
	v_fma_f32 v63, v6, v50, -v5
	ds_read2_b64 v[2:5], v48 offset0:160 offset1:176
	v_mul_f32_e32 v65, v7, v53
	v_mul_f32_e32 v73, v6, v53
	v_add_f32_e32 v70, v59, v58
	ds_read_b128 v[58:61], v38 offset:176
	v_fmac_f32_e32 v64, v7, v50
	v_fma_f32 v6, v6, v52, -v65
	v_fmac_f32_e32 v73, v7, v52
	v_add_f32_e32 v69, v69, v63
	v_add_f32_e32 v19, v19, v62
	s_waitcnt lgkmcnt(2)
	v_mul_f32_e32 v74, v55, v51
	v_mul_f32_e32 v7, v54, v51
	;; [unrolled: 1-line block ×3, first 2 shown]
	v_add_f32_e32 v6, v68, v6
	v_add_f32_e32 v70, v70, v73
	v_fma_f32 v68, v54, v50, -v74
	v_fmac_f32_e32 v7, v55, v50
	v_mul_f32_e32 v73, v54, v53
	v_fma_f32 v50, v54, v52, -v51
	v_add_f32_e32 v67, v67, v64
	s_waitcnt lgkmcnt(1)
	v_mul_f32_e32 v51, v9, v3
	v_add_f32_e32 v54, v71, v68
	v_fmac_f32_e32 v73, v55, v52
	v_add_f32_e32 v55, v72, v50
	v_add_f32_e32 v7, v66, v7
	v_fma_f32 v68, v8, v2, -v51
	ds_read2_b64 v[50:53], v48 offset0:192 offset1:208
	v_mul_f32_e32 v66, v8, v3
	v_mul_f32_e32 v71, v9, v5
	ds_read_b128 v[62:65], v38 offset:4272
	v_add_f32_e32 v68, v69, v68
	v_mul_f32_e32 v69, v8, v5
	v_fmac_f32_e32 v66, v9, v2
	v_fma_f32 v8, v8, v4, -v71
	v_mul_f32_e32 v71, v57, v3
	v_mul_f32_e32 v3, v56, v3
	v_fmac_f32_e32 v69, v9, v4
	v_add_f32_e32 v66, v67, v66
	v_add_f32_e32 v6, v6, v8
	v_fma_f32 v8, v56, v2, -v71
	v_fmac_f32_e32 v3, v57, v2
	v_mul_f32_e32 v2, v57, v5
	v_mul_f32_e32 v67, v56, v5
	v_add_f32_e32 v9, v70, v69
	v_add_f32_e32 v8, v54, v8
	;; [unrolled: 1-line block ×3, first 2 shown]
	v_fma_f32 v54, v56, v4, -v2
	s_waitcnt lgkmcnt(1)
	v_mul_f32_e32 v56, v59, v51
	v_fmac_f32_e32 v67, v57, v4
	ds_read2_b64 v[2:5], v48 offset0:224 offset1:240
	v_mul_f32_e32 v69, v58, v53
	v_add_f32_e32 v54, v55, v54
	v_fma_f32 v55, v58, v50, -v56
	v_mul_f32_e32 v56, v59, v53
	v_mul_f32_e32 v57, v58, v51
	v_fmac_f32_e32 v69, v59, v52
	v_add_f32_e32 v19, v19, v73
	v_add_f32_e32 v55, v68, v55
	v_fma_f32 v56, v58, v52, -v56
	s_waitcnt lgkmcnt(1)
	v_mul_f32_e32 v58, v63, v51
	v_mul_f32_e32 v51, v62, v51
	v_fmac_f32_e32 v57, v59, v50
	v_add_f32_e32 v59, v9, v69
	v_add_f32_e32 v56, v6, v56
	v_mul_f32_e32 v6, v63, v53
	v_fma_f32 v9, v62, v50, -v58
	v_fmac_f32_e32 v51, v63, v50
	v_mul_f32_e32 v58, v62, v53
	v_add_f32_e32 v57, v66, v57
	v_fma_f32 v6, v62, v52, -v6
	s_waitcnt lgkmcnt(0)
	v_mul_f32_e32 v50, v61, v3
	v_add_f32_e32 v62, v8, v9
	v_add_f32_e32 v66, v7, v51
	v_fmac_f32_e32 v58, v63, v52
	v_add_f32_e32 v63, v54, v6
	v_fma_f32 v54, v60, v2, -v50
	ds_read_b128 v[6:9], v38 offset:192
	ds_read2_b64 v[50:53], v49 offset1:16
	v_add_f32_e32 v19, v19, v67
	v_mul_f32_e32 v67, v60, v3
	v_mul_f32_e32 v68, v61, v5
	v_add_f32_e32 v69, v55, v54
	v_mul_f32_e32 v55, v65, v3
	v_add_f32_e32 v19, v19, v58
	v_mul_f32_e32 v58, v60, v5
	v_fmac_f32_e32 v67, v61, v2
	v_fma_f32 v54, v60, v4, -v68
	v_mul_f32_e32 v3, v64, v3
	v_fma_f32 v60, v64, v2, -v55
	v_fmac_f32_e32 v58, v61, v4
	v_mul_f32_e32 v61, v65, v5
	v_add_f32_e32 v67, v57, v67
	v_add_f32_e32 v68, v56, v54
	v_fmac_f32_e32 v3, v65, v2
	ds_read_b128 v[54:57], v38 offset:4288
	v_add_f32_e32 v71, v62, v60
	v_fma_f32 v2, v64, v4, -v61
	v_mul_f32_e32 v62, v64, v5
	s_waitcnt lgkmcnt(1)
	v_mul_f32_e32 v5, v7, v51
	v_add_f32_e32 v66, v66, v3
	v_mul_f32_e32 v64, v6, v51
	v_add_f32_e32 v72, v63, v2
	v_fmac_f32_e32 v62, v65, v4
	v_fma_f32 v63, v6, v50, -v5
	ds_read2_b64 v[2:5], v49 offset0:32 offset1:48
	v_mul_f32_e32 v65, v7, v53
	v_mul_f32_e32 v73, v6, v53
	v_add_f32_e32 v70, v59, v58
	ds_read_b128 v[58:61], v38 offset:208
	v_fmac_f32_e32 v64, v7, v50
	v_fma_f32 v6, v6, v52, -v65
	v_fmac_f32_e32 v73, v7, v52
	v_add_f32_e32 v69, v69, v63
	v_add_f32_e32 v19, v19, v62
	s_waitcnt lgkmcnt(2)
	v_mul_f32_e32 v74, v55, v51
	v_mul_f32_e32 v7, v54, v51
	;; [unrolled: 1-line block ×3, first 2 shown]
	v_add_f32_e32 v6, v68, v6
	v_add_f32_e32 v70, v70, v73
	v_fma_f32 v68, v54, v50, -v74
	v_fmac_f32_e32 v7, v55, v50
	v_mul_f32_e32 v73, v54, v53
	v_fma_f32 v50, v54, v52, -v51
	v_add_f32_e32 v67, v67, v64
	s_waitcnt lgkmcnt(1)
	v_mul_f32_e32 v51, v9, v3
	v_add_f32_e32 v54, v71, v68
	v_fmac_f32_e32 v73, v55, v52
	v_add_f32_e32 v55, v72, v50
	v_add_f32_e32 v7, v66, v7
	v_fma_f32 v68, v8, v2, -v51
	ds_read2_b64 v[50:53], v49 offset0:64 offset1:80
	v_mul_f32_e32 v66, v8, v3
	v_mul_f32_e32 v71, v9, v5
	ds_read_b128 v[62:65], v38 offset:4304
	v_add_f32_e32 v68, v69, v68
	v_mul_f32_e32 v69, v8, v5
	v_fmac_f32_e32 v66, v9, v2
	v_fma_f32 v8, v8, v4, -v71
	v_mul_f32_e32 v71, v57, v3
	v_mul_f32_e32 v3, v56, v3
	v_fmac_f32_e32 v69, v9, v4
	v_add_f32_e32 v66, v67, v66
	v_add_f32_e32 v6, v6, v8
	v_fma_f32 v8, v56, v2, -v71
	v_fmac_f32_e32 v3, v57, v2
	v_mul_f32_e32 v2, v57, v5
	v_mul_f32_e32 v67, v56, v5
	v_add_f32_e32 v9, v70, v69
	v_add_f32_e32 v8, v54, v8
	;; [unrolled: 1-line block ×3, first 2 shown]
	v_fma_f32 v54, v56, v4, -v2
	s_waitcnt lgkmcnt(1)
	v_mul_f32_e32 v56, v59, v51
	v_fmac_f32_e32 v67, v57, v4
	ds_read2_b64 v[2:5], v49 offset0:96 offset1:112
	v_mul_f32_e32 v69, v58, v53
	v_add_f32_e32 v54, v55, v54
	v_fma_f32 v55, v58, v50, -v56
	v_mul_f32_e32 v56, v59, v53
	v_mul_f32_e32 v57, v58, v51
	v_fmac_f32_e32 v69, v59, v52
	v_add_f32_e32 v19, v19, v73
	v_add_f32_e32 v55, v68, v55
	v_fma_f32 v56, v58, v52, -v56
	s_waitcnt lgkmcnt(1)
	v_mul_f32_e32 v58, v63, v51
	v_mul_f32_e32 v51, v62, v51
	v_fmac_f32_e32 v57, v59, v50
	v_add_f32_e32 v59, v9, v69
	v_add_f32_e32 v56, v6, v56
	v_mul_f32_e32 v6, v63, v53
	v_fma_f32 v9, v62, v50, -v58
	v_fmac_f32_e32 v51, v63, v50
	v_mul_f32_e32 v58, v62, v53
	v_add_f32_e32 v19, v19, v67
	v_fma_f32 v6, v62, v52, -v6
	s_waitcnt lgkmcnt(0)
	v_mul_f32_e32 v50, v61, v3
	v_add_f32_e32 v57, v66, v57
	v_add_f32_e32 v62, v8, v9
	v_add_f32_e32 v66, v7, v51
	v_fmac_f32_e32 v58, v63, v52
	v_add_f32_e32 v63, v54, v6
	v_fma_f32 v54, v60, v2, -v50
	ds_read_b128 v[6:9], v38 offset:224
	ds_read2_b64 v[50:53], v49 offset0:128 offset1:144
	v_mul_f32_e32 v67, v60, v3
	v_mul_f32_e32 v68, v61, v5
	v_add_f32_e32 v19, v19, v58
	v_mul_f32_e32 v58, v60, v5
	s_addc_u32 s19, s19, 0
	v_fmac_f32_e32 v67, v61, v2
	v_fma_f32 v60, v60, v4, -v68
	v_add_f32_e32 v68, v55, v54
	v_mul_f32_e32 v54, v65, v3
	v_fmac_f32_e32 v58, v61, v4
	v_add_f32_e32 v67, v57, v67
	v_add_f32_e32 v69, v56, v60
	v_mul_f32_e32 v3, v64, v3
	v_fma_f32 v60, v64, v2, -v54
	v_add_f32_e32 v70, v59, v58
	v_mul_f32_e32 v58, v65, v5
	ds_read_b128 v[54:57], v38 offset:4320
	v_fmac_f32_e32 v3, v65, v2
	v_add_f32_e32 v71, v62, v60
	v_mul_f32_e32 v62, v64, v5
	v_fma_f32 v2, v64, v4, -v58
	s_waitcnt lgkmcnt(1)
	v_mul_f32_e32 v5, v7, v51
	v_add_f32_e32 v66, v66, v3
	v_mul_f32_e32 v64, v7, v53
	v_fmac_f32_e32 v62, v65, v4
	v_add_f32_e32 v72, v63, v2
	v_fma_f32 v63, v6, v50, -v5
	ds_read2_b64 v[2:5], v49 offset0:160 offset1:176
	ds_read_b128 v[58:61], v38 offset:240
	v_mul_f32_e32 v73, v6, v51
	v_mul_f32_e32 v74, v6, v53
	v_fma_f32 v6, v6, v52, -v64
	v_add_f32_e32 v68, v68, v63
	v_add_f32_e32 v19, v19, v62
	v_fmac_f32_e32 v73, v7, v50
	v_fmac_f32_e32 v74, v7, v52
	s_waitcnt lgkmcnt(2)
	v_mul_f32_e32 v75, v55, v51
	v_mul_f32_e32 v7, v54, v51
	v_add_f32_e32 v6, v69, v6
	v_mul_f32_e32 v69, v55, v53
	v_add_f32_e32 v67, v67, v73
	v_fma_f32 v51, v54, v50, -v75
	v_fmac_f32_e32 v7, v55, v50
	v_mul_f32_e32 v73, v54, v53
	v_fma_f32 v50, v54, v52, -v69
	ds_read_b128 v[62:65], v38 offset:4336
	v_add_f32_e32 v71, v71, v51
	s_waitcnt lgkmcnt(2)
	v_mul_f32_e32 v51, v9, v3
	v_add_f32_e32 v7, v66, v7
	v_fmac_f32_e32 v73, v55, v52
	v_mul_f32_e32 v54, v8, v3
	v_add_f32_e32 v55, v72, v50
	v_fma_f32 v66, v8, v2, -v51
	ds_read2_b64 v[50:53], v49 offset0:192 offset1:208
	v_mul_f32_e32 v69, v9, v5
	v_fmac_f32_e32 v54, v9, v2
	v_add_f32_e32 v70, v70, v74
	v_add_f32_e32 v66, v68, v66
	v_mul_f32_e32 v68, v8, v5
	v_fma_f32 v8, v8, v4, -v69
	v_add_f32_e32 v54, v67, v54
	v_mul_f32_e32 v67, v57, v3
	v_mul_f32_e32 v3, v56, v3
	v_fmac_f32_e32 v68, v9, v4
	v_add_f32_e32 v6, v6, v8
	v_mul_f32_e32 v8, v57, v5
	v_fma_f32 v9, v56, v2, -v67
	v_fmac_f32_e32 v3, v57, v2
	v_add_f32_e32 v67, v70, v68
	v_mul_f32_e32 v68, v56, v5
	v_fma_f32 v2, v56, v4, -v8
	v_add_f32_e32 v8, v71, v9
	v_add_f32_e32 v7, v7, v3
	s_waitcnt lgkmcnt(0)
	v_mul_f32_e32 v9, v59, v51
	v_fmac_f32_e32 v68, v57, v4
	v_add_f32_e32 v55, v55, v2
	ds_read2_b64 v[2:5], v49 offset0:224 offset1:240
	v_mul_f32_e32 v56, v58, v51
	v_fma_f32 v9, v58, v50, -v9
	v_mul_f32_e32 v57, v59, v53
	v_add_f32_e32 v19, v19, v73
	s_sub_i32 s6, s18, 32
	v_fmac_f32_e32 v56, v59, v50
	v_add_f32_e32 v9, v66, v9
	v_mul_f32_e32 v66, v63, v51
	v_fma_f32 v57, v58, v52, -v57
	v_mul_f32_e32 v51, v62, v51
	v_add_f32_e32 v54, v54, v56
	v_add_f32_e32 v19, v19, v68
	v_fma_f32 v56, v62, v50, -v66
	v_mul_f32_e32 v68, v58, v53
	v_add_f32_e32 v6, v6, v57
	v_mul_f32_e32 v57, v63, v53
	v_fmac_f32_e32 v51, v63, v50
	v_add_f32_e32 v8, v8, v56
	v_mul_f32_e32 v50, v62, v53
	s_waitcnt lgkmcnt(0)
	v_mul_f32_e32 v56, v61, v3
	v_fmac_f32_e32 v68, v59, v52
	v_fma_f32 v53, v62, v52, -v57
	v_add_f32_e32 v7, v7, v51
	v_fmac_f32_e32 v50, v63, v52
	v_fma_f32 v51, v60, v2, -v56
	v_mul_f32_e32 v52, v61, v5
	v_mul_f32_e32 v57, v60, v3
	v_add_f32_e32 v59, v55, v53
	v_mul_f32_e32 v62, v60, v5
	v_add_f32_e32 v19, v19, v50
	v_add_f32_e32 v55, v9, v51
	v_fma_f32 v9, v60, v4, -v52
	v_mul_f32_e32 v50, v65, v3
	v_mul_f32_e32 v3, v64, v3
	;; [unrolled: 1-line block ×4, first 2 shown]
	v_add_f32_e32 v58, v67, v68
	v_fmac_f32_e32 v57, v61, v2
	v_fmac_f32_e32 v62, v61, v4
	v_add_f32_e32 v53, v6, v9
	v_fma_f32 v6, v64, v2, -v50
	v_fmac_f32_e32 v3, v65, v2
	v_fma_f32 v2, v64, v4, -v51
	v_fmac_f32_e32 v5, v65, v4
	v_add_f32_e32 v56, v54, v57
	v_add_f32_e32 v54, v58, v62
	;; [unrolled: 1-line block ×6, first 2 shown]
	s_cmp_ge_i32 s6, s23
	s_barrier
	buffer_gl0_inv
	s_cbranch_scc1 .LBB86_55
.LBB86_7:                               ;   Parent Loop BB86_4 Depth=1
                                        ; =>  This Inner Loop Header: Depth=2
	v_add_co_u32 v2, s5, v0, s18
	v_add_co_ci_u32_e64 v3, null, 0, s19, s5
	v_cmp_eq_u64_e64 s8, s[18:19], v[30:31]
	v_cmp_gt_i64_e64 s5, v[2:3], v[22:23]
	v_cmp_le_i64_e64 s6, s[14:15], v[2:3]
	s_and_b32 s37, s38, s8
	v_add_co_u32 v4, s8, v24, v39
	s_or_b32 s9, s3, s5
	v_add_co_ci_u32_e64 v5, null, 0, v25, s8
	s_or_b32 s8, s9, s37
	s_nor_b32 s8, s6, s8
	s_and_saveexec_b32 s9, s8
	s_xor_b32 s8, exec_lo, s9
	s_cbranch_execz .LBB86_9
; %bb.8:                                ;   in Loop: Header=BB86_7 Depth=2
	global_load_dwordx2 v[6:7], v[4:5], off
	s_waitcnt vmcnt(0)
	ds_write_b64 v40, v[6:7]
.LBB86_9:                               ;   in Loop: Header=BB86_7 Depth=2
	s_or_saveexec_b32 s8, s8
	s_xor_b32 s36, s37, -1
	s_xor_b32 exec_lo, exec_lo, s8
	s_cbranch_execz .LBB86_15
; %bb.10:                               ;   in Loop: Header=BB86_7 Depth=2
	s_and_saveexec_b32 s9, s36
	s_xor_b32 s9, exec_lo, s9
; %bb.11:                               ;   in Loop: Header=BB86_7 Depth=2
	v_mov_b32_e32 v6, v11
	v_mov_b32_e32 v7, v11
	ds_write_b64 v40, v[6:7]
; %bb.12:                               ;   in Loop: Header=BB86_7 Depth=2
	s_andn2_saveexec_b32 s9, s9
; %bb.13:                               ;   in Loop: Header=BB86_7 Depth=2
	ds_write_b64 v40, v[10:11]
; %bb.14:                               ;   in Loop: Header=BB86_7 Depth=2
	s_or_b32 exec_lo, exec_lo, s9
.LBB86_15:                              ;   in Loop: Header=BB86_7 Depth=2
	s_or_b32 exec_lo, exec_lo, s8
	v_add_co_u32 v6, s8, v2, 16
	v_add_co_ci_u32_e64 v7, null, 0, v3, s8
	v_cmp_eq_u64_e64 s9, s[18:19], v[34:35]
	v_cmp_gt_i64_e64 s10, v[6:7], v[22:23]
	v_cmp_le_i64_e64 s8, s[14:15], v[6:7]
	s_and_b32 s39, s38, s9
	s_or_b32 s9, s3, s10
	s_or_b32 s9, s9, s39
	s_nor_b32 s9, s8, s9
	s_and_saveexec_b32 s10, s9
	s_xor_b32 s9, exec_lo, s10
	s_cbranch_execz .LBB86_17
; %bb.16:                               ;   in Loop: Header=BB86_7 Depth=2
	global_load_dwordx2 v[4:5], v[4:5], off offset:128
	s_waitcnt vmcnt(0)
	ds_write_b64 v40, v[4:5] offset:128
.LBB86_17:                              ;   in Loop: Header=BB86_7 Depth=2
	s_andn2_saveexec_b32 s9, s9
	s_cbranch_execz .LBB86_23
; %bb.18:                               ;   in Loop: Header=BB86_7 Depth=2
	s_xor_b32 s10, s39, -1
	s_and_saveexec_b32 s39, s10
	s_xor_b32 s10, exec_lo, s39
; %bb.19:                               ;   in Loop: Header=BB86_7 Depth=2
	v_mov_b32_e32 v4, v11
	v_mov_b32_e32 v5, v11
	ds_write_b64 v40, v[4:5] offset:128
; %bb.20:                               ;   in Loop: Header=BB86_7 Depth=2
	s_andn2_saveexec_b32 s10, s10
; %bb.21:                               ;   in Loop: Header=BB86_7 Depth=2
	ds_write_b64 v40, v[10:11] offset:128
; %bb.22:                               ;   in Loop: Header=BB86_7 Depth=2
	s_or_b32 exec_lo, exec_lo, s10
.LBB86_23:                              ;   in Loop: Header=BB86_7 Depth=2
	s_or_b32 exec_lo, exec_lo, s9
	v_cmp_eq_u64_e64 s9, s[18:19], v[32:33]
	v_cmp_gt_i64_e64 s10, v[2:3], v[28:29]
	s_and_b32 s39, s38, s9
	v_add_co_u32 v2, s9, v26, v39
	s_or_b32 s10, s4, s10
	v_add_co_ci_u32_e64 v3, null, 0, v27, s9
	s_or_b32 s9, s10, s39
	s_nor_b32 s6, s6, s9
	s_and_saveexec_b32 s9, s6
	s_xor_b32 s6, exec_lo, s9
	s_cbranch_execz .LBB86_25
; %bb.24:                               ;   in Loop: Header=BB86_7 Depth=2
	global_load_dwordx2 v[4:5], v[2:3], off
	s_waitcnt vmcnt(0)
	ds_write_b64 v40, v[4:5] offset:4096
.LBB86_25:                              ;   in Loop: Header=BB86_7 Depth=2
	s_andn2_saveexec_b32 s6, s6
	s_cbranch_execz .LBB86_31
; %bb.26:                               ;   in Loop: Header=BB86_7 Depth=2
	s_xor_b32 s9, s39, -1
	s_and_saveexec_b32 s10, s9
	s_xor_b32 s9, exec_lo, s10
; %bb.27:                               ;   in Loop: Header=BB86_7 Depth=2
	v_mov_b32_e32 v4, v11
	v_mov_b32_e32 v5, v11
	ds_write_b64 v40, v[4:5] offset:4096
; %bb.28:                               ;   in Loop: Header=BB86_7 Depth=2
	s_andn2_saveexec_b32 s9, s9
; %bb.29:                               ;   in Loop: Header=BB86_7 Depth=2
	ds_write_b64 v40, v[10:11] offset:4096
; %bb.30:                               ;   in Loop: Header=BB86_7 Depth=2
	s_or_b32 exec_lo, exec_lo, s9
.LBB86_31:                              ;   in Loop: Header=BB86_7 Depth=2
	s_or_b32 exec_lo, exec_lo, s6
	s_or_b32 s5, s4, s5
	s_or_b32 s5, s5, s37
	s_nor_b32 s5, s8, s5
	s_and_saveexec_b32 s6, s5
	s_xor_b32 s5, exec_lo, s6
	s_cbranch_execz .LBB86_33
; %bb.32:                               ;   in Loop: Header=BB86_7 Depth=2
	global_load_dwordx2 v[2:3], v[2:3], off offset:128
	s_waitcnt vmcnt(0)
	ds_write_b64 v40, v[2:3] offset:4224
.LBB86_33:                              ;   in Loop: Header=BB86_7 Depth=2
	s_andn2_saveexec_b32 s5, s5
	s_cbranch_execz .LBB86_39
; %bb.34:                               ;   in Loop: Header=BB86_7 Depth=2
	s_and_saveexec_b32 s6, s36
	s_xor_b32 s6, exec_lo, s6
; %bb.35:                               ;   in Loop: Header=BB86_7 Depth=2
	v_mov_b32_e32 v2, v11
	v_mov_b32_e32 v3, v11
	ds_write_b64 v40, v[2:3] offset:4224
; %bb.36:                               ;   in Loop: Header=BB86_7 Depth=2
	s_andn2_saveexec_b32 s6, s6
; %bb.37:                               ;   in Loop: Header=BB86_7 Depth=2
	ds_write_b64 v40, v[10:11] offset:4224
; %bb.38:                               ;   in Loop: Header=BB86_7 Depth=2
	s_or_b32 exec_lo, exec_lo, s6
.LBB86_39:                              ;   in Loop: Header=BB86_7 Depth=2
	s_or_b32 exec_lo, exec_lo, s5
	v_add_co_u32 v2, s5, v1, s18
	v_add_co_ci_u32_e64 v3, null, 0, s19, s5
	v_add_co_u32 v4, s6, v36, v17
	v_add_co_ci_u32_e64 v5, null, v37, v45, s6
	v_cmp_le_i64_e64 s5, s[14:15], v[2:3]
	s_nor_b32 s6, s5, vcc_lo
	s_and_saveexec_b32 s8, s6
	s_xor_b32 s6, exec_lo, s8
	s_cbranch_execz .LBB86_41
; %bb.40:                               ;   in Loop: Header=BB86_7 Depth=2
	global_load_dwordx2 v[6:7], v[4:5], off offset:-128
	s_waitcnt vmcnt(0)
	ds_write_b64 v42, v[6:7]
.LBB86_41:                              ;   in Loop: Header=BB86_7 Depth=2
	s_andn2_saveexec_b32 s6, s6
; %bb.42:                               ;   in Loop: Header=BB86_7 Depth=2
	v_mov_b32_e32 v6, v11
	v_mov_b32_e32 v7, v11
	ds_write_b64 v42, v[6:7]
; %bb.43:                               ;   in Loop: Header=BB86_7 Depth=2
	s_or_b32 exec_lo, exec_lo, s6
	s_nor_b32 s5, s5, s0
	s_and_saveexec_b32 s6, s5
	s_xor_b32 s5, exec_lo, s6
	s_cbranch_execz .LBB86_45
; %bb.44:                               ;   in Loop: Header=BB86_7 Depth=2
	global_load_dwordx2 v[4:5], v[4:5], off
	s_waitcnt vmcnt(0)
	ds_write_b64 v42, v[4:5] offset:128
.LBB86_45:                              ;   in Loop: Header=BB86_7 Depth=2
	s_andn2_saveexec_b32 s5, s5
; %bb.46:                               ;   in Loop: Header=BB86_7 Depth=2
	v_mov_b32_e32 v4, v11
	v_mov_b32_e32 v5, v11
	ds_write_b64 v42, v[4:5] offset:128
; %bb.47:                               ;   in Loop: Header=BB86_7 Depth=2
	s_or_b32 exec_lo, exec_lo, s5
	v_cmp_le_i64_e64 s5, s[26:27], v[2:3]
	v_add_co_u32 v2, s6, v36, v16
	v_add_co_ci_u32_e64 v3, null, v37, v46, s6
	s_nor_b32 s6, s5, vcc_lo
	s_and_saveexec_b32 s8, s6
	s_xor_b32 s6, exec_lo, s8
	s_cbranch_execz .LBB86_49
; %bb.48:                               ;   in Loop: Header=BB86_7 Depth=2
	global_load_dwordx2 v[4:5], v[2:3], off
	s_waitcnt vmcnt(0)
	ds_write_b64 v42, v[4:5] offset:4096
.LBB86_49:                              ;   in Loop: Header=BB86_7 Depth=2
	s_andn2_saveexec_b32 s6, s6
; %bb.50:                               ;   in Loop: Header=BB86_7 Depth=2
	v_mov_b32_e32 v4, v11
	v_mov_b32_e32 v5, v11
	ds_write_b64 v42, v[4:5] offset:4096
; %bb.51:                               ;   in Loop: Header=BB86_7 Depth=2
	s_or_b32 exec_lo, exec_lo, s6
	s_nor_b32 s5, s5, s0
	s_and_saveexec_b32 s6, s5
	s_xor_b32 s5, exec_lo, s6
	s_cbranch_execz .LBB86_53
; %bb.52:                               ;   in Loop: Header=BB86_7 Depth=2
	global_load_dwordx2 v[2:3], v[2:3], off offset:128
	s_waitcnt vmcnt(0)
	ds_write_b64 v42, v[2:3] offset:4224
.LBB86_53:                              ;   in Loop: Header=BB86_7 Depth=2
	s_andn2_saveexec_b32 s5, s5
	s_cbranch_execz .LBB86_6
; %bb.54:                               ;   in Loop: Header=BB86_7 Depth=2
	v_mov_b32_e32 v2, v11
	v_mov_b32_e32 v3, v11
	ds_write_b64 v42, v[2:3] offset:4224
	s_branch .LBB86_6
.LBB86_55:                              ;   in Loop: Header=BB86_4 Depth=1
	v_mul_lo_u32 v4, s29, v22
	v_mul_lo_u32 v5, s28, v23
	v_mad_u64_u32 v[2:3], null, s28, v22, 0
	v_cmp_gt_i32_e64 s3, s14, v22
	v_add3_u32 v3, v3, v5, v4
	v_lshlrev_b64 v[2:3], 3, v[2:3]
	v_add_co_u32 v2, s4, s30, v2
	v_add_co_ci_u32_e64 v3, null, s31, v3, s4
	s_and_b32 s4, s1, s3
	s_and_saveexec_b32 s5, s4
	s_cbranch_execz .LBB86_57
; %bb.56:                               ;   in Loop: Header=BB86_4 Depth=1
	v_add_co_u32 v4, s4, v2, v12
	v_add_co_ci_u32_e64 v5, null, v3, v13, s4
	v_mul_f32_e32 v8, s35, v56
	v_mul_f32_e32 v9, s34, v56
	global_load_dwordx2 v[6:7], v[4:5], off
	v_fma_f32 v8, v55, s34, -v8
	v_fmac_f32_e32 v9, s35, v55
	s_waitcnt vmcnt(0)
	v_add_f32_e32 v6, v6, v8
	v_add_f32_e32 v7, v9, v7
	global_store_dwordx2 v[4:5], v[6:7], off
.LBB86_57:                              ;   in Loop: Header=BB86_4 Depth=1
	s_or_b32 exec_lo, exec_lo, s5
	s_and_b32 s3, s2, s3
	s_and_saveexec_b32 s4, s3
	s_cbranch_execz .LBB86_59
; %bb.58:                               ;   in Loop: Header=BB86_4 Depth=1
	v_add_co_u32 v2, s3, v2, v20
	v_add_co_ci_u32_e64 v3, null, v3, v21, s3
	v_mul_f32_e32 v6, s35, v54
	v_mul_f32_e32 v7, s34, v54
	global_load_dwordx2 v[4:5], v[2:3], off
	v_fma_f32 v6, v53, s34, -v6
	v_fmac_f32_e32 v7, s35, v53
	s_waitcnt vmcnt(0)
	v_add_f32_e32 v4, v4, v6
	v_add_f32_e32 v5, v7, v5
	global_store_dwordx2 v[2:3], v[4:5], off
.LBB86_59:                              ;   in Loop: Header=BB86_4 Depth=1
	s_or_b32 exec_lo, exec_lo, s4
	v_add_nc_u32_e32 v4, 16, v22
	v_ashrrev_i32_e32 v5, 31, v4
	v_mul_lo_u32 v6, s29, v4
	v_mad_u64_u32 v[2:3], null, s28, v4, 0
	v_cmp_gt_i32_e64 s3, s14, v4
	v_mul_lo_u32 v5, s28, v5
	v_add3_u32 v3, v3, v5, v6
	v_lshlrev_b64 v[2:3], 3, v[2:3]
	v_add_co_u32 v2, s4, s30, v2
	v_add_co_ci_u32_e64 v3, null, s31, v3, s4
	s_and_b32 s4, s1, s3
	s_and_saveexec_b32 s5, s4
	s_cbranch_execz .LBB86_61
; %bb.60:                               ;   in Loop: Header=BB86_4 Depth=1
	v_add_co_u32 v4, s4, v2, v12
	v_add_co_ci_u32_e64 v5, null, v3, v13, s4
	v_mul_f32_e32 v8, s35, v52
	v_mul_f32_e32 v9, s34, v52
	global_load_dwordx2 v[6:7], v[4:5], off
	v_fma_f32 v8, v51, s34, -v8
	v_fmac_f32_e32 v9, s35, v51
	s_waitcnt vmcnt(0)
	v_add_f32_e32 v6, v6, v8
	v_add_f32_e32 v7, v9, v7
	global_store_dwordx2 v[4:5], v[6:7], off
.LBB86_61:                              ;   in Loop: Header=BB86_4 Depth=1
	s_or_b32 exec_lo, exec_lo, s5
	s_and_b32 s3, s2, s3
	s_and_saveexec_b32 s4, s3
	s_cbranch_execz .LBB86_3
; %bb.62:                               ;   in Loop: Header=BB86_4 Depth=1
	v_add_co_u32 v2, s3, v2, v20
	v_add_co_ci_u32_e64 v3, null, v3, v21, s3
	v_mul_f32_e32 v6, s35, v19
	v_mul_f32_e32 v7, s34, v19
	global_load_dwordx2 v[4:5], v[2:3], off
	v_fma_f32 v6, v50, s34, -v6
	v_fmac_f32_e32 v7, s35, v50
	s_waitcnt vmcnt(0)
	v_add_f32_e32 v4, v4, v6
	v_add_f32_e32 v5, v7, v5
	global_store_dwordx2 v[2:3], v[4:5], off
	s_branch .LBB86_3
.LBB86_63:
	s_endpgm
	.section	.rodata,"a",@progbits
	.p2align	6, 0x0
	.amdhsa_kernel _ZL30rocblas_trmm_outofplace_kernelI19rocblas_complex_numIfELi32ELi2ELb0ELb1ELb0ELb0EPKS1_S2_S1_Ev17rocblas_diagonal_iiT6_lPT7_lllS7_lllPT8_llli
		.amdhsa_group_segment_fixed_size 16384
		.amdhsa_private_segment_fixed_size 0
		.amdhsa_kernarg_size 392
		.amdhsa_user_sgpr_count 6
		.amdhsa_user_sgpr_private_segment_buffer 1
		.amdhsa_user_sgpr_dispatch_ptr 0
		.amdhsa_user_sgpr_queue_ptr 0
		.amdhsa_user_sgpr_kernarg_segment_ptr 1
		.amdhsa_user_sgpr_dispatch_id 0
		.amdhsa_user_sgpr_flat_scratch_init 0
		.amdhsa_user_sgpr_private_segment_size 0
		.amdhsa_wavefront_size32 1
		.amdhsa_uses_dynamic_stack 0
		.amdhsa_system_sgpr_private_segment_wavefront_offset 0
		.amdhsa_system_sgpr_workgroup_id_x 1
		.amdhsa_system_sgpr_workgroup_id_y 1
		.amdhsa_system_sgpr_workgroup_id_z 1
		.amdhsa_system_sgpr_workgroup_info 0
		.amdhsa_system_vgpr_workitem_id 1
		.amdhsa_next_free_vgpr 87
		.amdhsa_next_free_sgpr 44
		.amdhsa_reserve_vcc 1
		.amdhsa_reserve_flat_scratch 0
		.amdhsa_float_round_mode_32 0
		.amdhsa_float_round_mode_16_64 0
		.amdhsa_float_denorm_mode_32 3
		.amdhsa_float_denorm_mode_16_64 3
		.amdhsa_dx10_clamp 1
		.amdhsa_ieee_mode 1
		.amdhsa_fp16_overflow 0
		.amdhsa_workgroup_processor_mode 1
		.amdhsa_memory_ordered 1
		.amdhsa_forward_progress 1
		.amdhsa_shared_vgpr_count 0
		.amdhsa_exception_fp_ieee_invalid_op 0
		.amdhsa_exception_fp_denorm_src 0
		.amdhsa_exception_fp_ieee_div_zero 0
		.amdhsa_exception_fp_ieee_overflow 0
		.amdhsa_exception_fp_ieee_underflow 0
		.amdhsa_exception_fp_ieee_inexact 0
		.amdhsa_exception_int_div_zero 0
	.end_amdhsa_kernel
	.section	.text._ZL30rocblas_trmm_outofplace_kernelI19rocblas_complex_numIfELi32ELi2ELb0ELb1ELb0ELb0EPKS1_S2_S1_Ev17rocblas_diagonal_iiT6_lPT7_lllS7_lllPT8_llli,"axG",@progbits,_ZL30rocblas_trmm_outofplace_kernelI19rocblas_complex_numIfELi32ELi2ELb0ELb1ELb0ELb0EPKS1_S2_S1_Ev17rocblas_diagonal_iiT6_lPT7_lllS7_lllPT8_llli,comdat
.Lfunc_end86:
	.size	_ZL30rocblas_trmm_outofplace_kernelI19rocblas_complex_numIfELi32ELi2ELb0ELb1ELb0ELb0EPKS1_S2_S1_Ev17rocblas_diagonal_iiT6_lPT7_lllS7_lllPT8_llli, .Lfunc_end86-_ZL30rocblas_trmm_outofplace_kernelI19rocblas_complex_numIfELi32ELi2ELb0ELb1ELb0ELb0EPKS1_S2_S1_Ev17rocblas_diagonal_iiT6_lPT7_lllS7_lllPT8_llli
                                        ; -- End function
	.set _ZL30rocblas_trmm_outofplace_kernelI19rocblas_complex_numIfELi32ELi2ELb0ELb1ELb0ELb0EPKS1_S2_S1_Ev17rocblas_diagonal_iiT6_lPT7_lllS7_lllPT8_llli.num_vgpr, 87
	.set _ZL30rocblas_trmm_outofplace_kernelI19rocblas_complex_numIfELi32ELi2ELb0ELb1ELb0ELb0EPKS1_S2_S1_Ev17rocblas_diagonal_iiT6_lPT7_lllS7_lllPT8_llli.num_agpr, 0
	.set _ZL30rocblas_trmm_outofplace_kernelI19rocblas_complex_numIfELi32ELi2ELb0ELb1ELb0ELb0EPKS1_S2_S1_Ev17rocblas_diagonal_iiT6_lPT7_lllS7_lllPT8_llli.numbered_sgpr, 44
	.set _ZL30rocblas_trmm_outofplace_kernelI19rocblas_complex_numIfELi32ELi2ELb0ELb1ELb0ELb0EPKS1_S2_S1_Ev17rocblas_diagonal_iiT6_lPT7_lllS7_lllPT8_llli.num_named_barrier, 0
	.set _ZL30rocblas_trmm_outofplace_kernelI19rocblas_complex_numIfELi32ELi2ELb0ELb1ELb0ELb0EPKS1_S2_S1_Ev17rocblas_diagonal_iiT6_lPT7_lllS7_lllPT8_llli.private_seg_size, 0
	.set _ZL30rocblas_trmm_outofplace_kernelI19rocblas_complex_numIfELi32ELi2ELb0ELb1ELb0ELb0EPKS1_S2_S1_Ev17rocblas_diagonal_iiT6_lPT7_lllS7_lllPT8_llli.uses_vcc, 1
	.set _ZL30rocblas_trmm_outofplace_kernelI19rocblas_complex_numIfELi32ELi2ELb0ELb1ELb0ELb0EPKS1_S2_S1_Ev17rocblas_diagonal_iiT6_lPT7_lllS7_lllPT8_llli.uses_flat_scratch, 0
	.set _ZL30rocblas_trmm_outofplace_kernelI19rocblas_complex_numIfELi32ELi2ELb0ELb1ELb0ELb0EPKS1_S2_S1_Ev17rocblas_diagonal_iiT6_lPT7_lllS7_lllPT8_llli.has_dyn_sized_stack, 0
	.set _ZL30rocblas_trmm_outofplace_kernelI19rocblas_complex_numIfELi32ELi2ELb0ELb1ELb0ELb0EPKS1_S2_S1_Ev17rocblas_diagonal_iiT6_lPT7_lllS7_lllPT8_llli.has_recursion, 0
	.set _ZL30rocblas_trmm_outofplace_kernelI19rocblas_complex_numIfELi32ELi2ELb0ELb1ELb0ELb0EPKS1_S2_S1_Ev17rocblas_diagonal_iiT6_lPT7_lllS7_lllPT8_llli.has_indirect_call, 0
	.section	.AMDGPU.csdata,"",@progbits
; Kernel info:
; codeLenInByte = 6548
; TotalNumSgprs: 46
; NumVgprs: 87
; ScratchSize: 0
; MemoryBound: 1
; FloatMode: 240
; IeeeMode: 1
; LDSByteSize: 16384 bytes/workgroup (compile time only)
; SGPRBlocks: 0
; VGPRBlocks: 10
; NumSGPRsForWavesPerEU: 46
; NumVGPRsForWavesPerEU: 87
; Occupancy: 10
; WaveLimiterHint : 0
; COMPUTE_PGM_RSRC2:SCRATCH_EN: 0
; COMPUTE_PGM_RSRC2:USER_SGPR: 6
; COMPUTE_PGM_RSRC2:TRAP_HANDLER: 0
; COMPUTE_PGM_RSRC2:TGID_X_EN: 1
; COMPUTE_PGM_RSRC2:TGID_Y_EN: 1
; COMPUTE_PGM_RSRC2:TGID_Z_EN: 1
; COMPUTE_PGM_RSRC2:TIDIG_COMP_CNT: 1
	.section	.text._ZL30rocblas_trmm_outofplace_kernelI19rocblas_complex_numIfELi32ELi2ELb0ELb1ELb0ELb0ES1_KS1_S1_Ev17rocblas_diagonal_iiT6_lPT7_lllS6_lllPT8_llli,"axG",@progbits,_ZL30rocblas_trmm_outofplace_kernelI19rocblas_complex_numIfELi32ELi2ELb0ELb1ELb0ELb0ES1_KS1_S1_Ev17rocblas_diagonal_iiT6_lPT7_lllS6_lllPT8_llli,comdat
	.globl	_ZL30rocblas_trmm_outofplace_kernelI19rocblas_complex_numIfELi32ELi2ELb0ELb1ELb0ELb0ES1_KS1_S1_Ev17rocblas_diagonal_iiT6_lPT7_lllS6_lllPT8_llli ; -- Begin function _ZL30rocblas_trmm_outofplace_kernelI19rocblas_complex_numIfELi32ELi2ELb0ELb1ELb0ELb0ES1_KS1_S1_Ev17rocblas_diagonal_iiT6_lPT7_lllS6_lllPT8_llli
	.p2align	8
	.type	_ZL30rocblas_trmm_outofplace_kernelI19rocblas_complex_numIfELi32ELi2ELb0ELb1ELb0ELb0ES1_KS1_S1_Ev17rocblas_diagonal_iiT6_lPT7_lllS6_lllPT8_llli,@function
_ZL30rocblas_trmm_outofplace_kernelI19rocblas_complex_numIfELi32ELi2ELb0ELb1ELb0ELb0ES1_KS1_S1_Ev17rocblas_diagonal_iiT6_lPT7_lllS6_lllPT8_llli: ; @_ZL30rocblas_trmm_outofplace_kernelI19rocblas_complex_numIfELi32ELi2ELb0ELb1ELb0ELb0ES1_KS1_S1_Ev17rocblas_diagonal_iiT6_lPT7_lllS6_lllPT8_llli
; %bb.0:
	s_clause 0x1
	s_load_dwordx4 s[28:31], s[4:5], 0x0
	s_load_dword s11, s[4:5], 0x10
	s_waitcnt lgkmcnt(0)
	s_or_b32 s0, s31, s11
	s_bitset0_b32 s0, 31
	s_cmp_eq_u32 s0, 0
	s_cbranch_scc1 .LBB87_63
; %bb.1:
	s_add_i32 s0, s30, -1
	s_ashr_i32 s1, s0, 31
	s_lshr_b32 s1, s1, 27
	s_add_i32 s0, s0, s1
	s_ashr_i32 s33, s0, 5
	s_cmp_gt_i32 s7, s33
	s_cbranch_scc1 .LBB87_63
; %bb.2:
	s_clause 0x2
	s_load_dwordx16 s[12:27], s[4:5], 0x20
	s_load_dwordx8 s[36:43], s[4:5], 0x60
	s_load_dword s44, s[4:5], 0x8c
	v_lshl_add_u32 v2, s6, 5, v0
	v_lshl_add_u32 v8, v1, 3, 0x80
	v_lshlrev_b32_e32 v39, 3, v0
	v_lshlrev_b32_e32 v38, 8, v1
	v_mov_b32_e32 v11, 0
	v_ashrrev_i32_e32 v3, 31, v2
	v_sub_co_u32 v6, vcc_lo, s29, v2
	v_or_b32_e32 v41, 0x2000, v39
	v_add_nc_u32_e32 v40, v38, v39
	v_lshlrev_b64 v[12:13], 3, v[2:3]
	v_lshl_add_u32 v18, s7, 5, v1
	v_mov_b32_e32 v10, 1.0
	v_add_nc_u32_e32 v42, v41, v38
	v_add_nc_u32_e32 v47, 0x800, v41
	;; [unrolled: 1-line block ×4, first 2 shown]
	s_waitcnt lgkmcnt(0)
	s_mul_i32 s1, s27, s8
	s_mul_hi_u32 s2, s26, s8
	s_mul_i32 s0, s26, s8
	s_add_i32 s1, s2, s1
	s_mul_i32 s3, s43, s8
	s_lshl_b64 s[0:1], s[0:1], 3
	s_mul_hi_u32 s4, s42, s8
	s_add_u32 s5, s20, s0
	s_addc_u32 s6, s21, s1
	s_lshl_b64 s[0:1], s[22:23], 3
	s_mul_i32 s2, s42, s8
	s_add_u32 s5, s5, s0
	s_addc_u32 s6, s6, s1
	s_add_i32 s3, s4, s3
	v_mad_u64_u32 v[4:5], null, s24, v1, 0
	s_lshl_b64 s[0:1], s[2:3], 3
	v_mad_u64_u32 v[16:17], null, s24, v8, 0
	s_add_u32 s2, s36, s0
	s_addc_u32 s3, s37, s1
	s_lshl_b64 s[0:1], s[38:39], 3
	s_mul_hi_u32 s4, s18, s8
	s_add_u32 s26, s2, s0
	s_addc_u32 s27, s3, s1
	s_cmpk_eq_i32 s28, 0x84
	v_cmp_gt_i32_e64 s1, s29, v2
	s_cselect_b32 s28, -1, 0
	s_ashr_i32 s0, s29, 31
	v_sub_co_u32 v43, s3, 0, v0
	v_sub_co_ci_u32_e64 v7, null, s0, v3, vcc_lo
	v_add_co_u32 v14, vcc_lo, s5, v12
	v_add_co_ci_u32_e64 v15, null, s6, v13, vcc_lo
	v_cmp_gt_i64_e32 vcc_lo, 1, v[6:7]
	v_cmp_gt_i64_e64 s0, 17, v[6:7]
	v_add_nc_u32_e32 v6, 16, v2
	v_mov_b32_e32 v2, v5
	s_ashr_i32 s35, s30, 31
	s_lshl_b64 s[20:21], s[24:25], 8
	v_sub_co_ci_u32_e64 v44, null, 0, 0, s3
	v_mad_u64_u32 v[2:3], null, s25, v1, v[2:3]
	v_ashrrev_i32_e32 v7, 31, v6
	s_mul_i32 s3, s19, s8
	s_add_u32 s22, s30, -16
	s_addc_u32 s23, s35, -1
	s_add_i32 s5, s4, s3
	s_mul_i32 s4, s18, s8
	v_mov_b32_e32 v5, v2
	v_mov_b32_e32 v2, v17
	s_lshl_b64 s[4:5], s[4:5], 3
	s_lshl_b64 s[8:9], s[14:15], 3
	s_lshl_b32 s24, s44, 5
	v_lshlrev_b64 v[3:4], 3, v[4:5]
	v_lshlrev_b64 v[20:21], 3, v[6:7]
	v_cmp_gt_i32_e64 s2, s29, v6
	s_add_u32 s4, s4, s8
	s_addc_u32 s5, s5, s9
	s_add_u32 s12, s12, s4
	v_mad_u64_u32 v[8:9], null, s25, v8, v[2:3]
	v_add_co_u32 v17, s3, 0x80, v3
	v_add_co_ci_u32_e64 v45, null, 0, v4, s3
	s_mov_b32 s34, s30
	s_addc_u32 s13, s13, s5
	v_mov_b32_e32 v46, v8
	s_lshl_b64 s[14:15], s[16:17], 3
	s_branch .LBB87_4
.LBB87_3:                               ;   in Loop: Header=BB87_4 Depth=1
	s_or_b32 exec_lo, exec_lo, s4
	v_add_nc_u32_e32 v18, s24, v18
	s_add_i32 s7, s44, s7
	s_cmp_le_i32 s7, s33
	s_cbranch_scc0 .LBB87_63
.LBB87_4:                               ; =>This Loop Header: Depth=1
                                        ;     Child Loop BB87_7 Depth 2
	s_lshl_b32 s25, s7, 5
	v_mov_b32_e32 v55, v11
	v_add_nc_u32_e32 v22, s25, v1
	v_mov_b32_e32 v56, v11
	v_mov_b32_e32 v53, v11
	v_mov_b32_e32 v54, v11
	v_mov_b32_e32 v51, v11
	v_ashrrev_i32_e32 v23, 31, v22
	v_mov_b32_e32 v52, v11
	v_mov_b32_e32 v50, v11
	;; [unrolled: 1-line block ×3, first 2 shown]
	s_cmp_lt_i32 s7, 0
	s_cbranch_scc1 .LBB87_55
; %bb.5:                                ;   in Loop: Header=BB87_4 Depth=1
	v_ashrrev_i32_e32 v19, 31, v18
	v_add_co_u32 v28, s4, v22, 16
	v_add_co_ci_u32_e64 v29, null, 0, v23, s4
	v_lshlrev_b64 v[2:3], 3, v[18:19]
	v_add_co_u32 v30, s4, v43, v18
	v_mad_u64_u32 v[24:25], null, s14, v18, s[12:13]
	v_mul_lo_u32 v4, s15, v18
	v_add_co_u32 v2, s3, 0x80, v2
	v_add_co_ci_u32_e64 v3, null, 0, v3, s3
	v_mul_lo_u32 v5, s14, v19
	v_mul_lo_u32 v6, s17, v2
	v_mad_u64_u32 v[26:27], null, s16, v2, s[12:13]
	v_mul_lo_u32 v3, s16, v3
	v_add_co_ci_u32_e64 v31, null, v44, v19, s4
	v_add_co_u32 v32, s5, v30, 16
	v_cmp_le_i64_e64 s4, s[34:35], v[28:29]
	v_add_co_ci_u32_e64 v33, null, 0, v31, s5
	v_add_co_u32 v34, s5, v30, -16
	v_mov_b32_e32 v37, v15
	v_cmp_le_i32_e64 s3, s30, v22
	v_add3_u32 v25, v4, v25, v5
	v_add3_u32 v27, v6, v27, v3
	v_add_co_ci_u32_e64 v35, null, -1, v31, s5
	v_mov_b32_e32 v19, 0
	v_mov_b32_e32 v36, v14
	;; [unrolled: 1-line block ×9, first 2 shown]
	s_mov_b64 s[18:19], 0
	s_branch .LBB87_7
.LBB87_6:                               ;   in Loop: Header=BB87_7 Depth=2
	s_or_b32 exec_lo, exec_lo, s5
	s_waitcnt lgkmcnt(0)
	s_barrier
	buffer_gl0_inv
	ds_read_b128 v[57:60], v38
	ds_read2_b64 v[61:64], v41 offset1:16
	ds_read_b128 v[65:68], v38 offset:4096
	ds_read_b128 v[69:72], v38 offset:16
	;; [unrolled: 1-line block ×4, first 2 shown]
	ds_read2_b64 v[73:76], v41 offset0:32 offset1:48
	ds_read_b128 v[77:80], v38 offset:4112
	v_add_co_u32 v26, s5, 0x100, v26
	v_add_co_ci_u32_e64 v27, null, 0, v27, s5
	v_add_co_u32 v36, s5, v36, s20
	v_add_co_ci_u32_e64 v37, null, s21, v37, s5
	v_add_co_u32 v24, s5, 0x100, v24
	s_add_u32 s18, s18, 32
	v_add_co_ci_u32_e64 v25, null, 0, v25, s5
	s_waitcnt lgkmcnt(6)
	v_mul_f32_e32 v81, v58, v62
	v_mul_f32_e32 v82, v57, v62
	v_mul_f32_e32 v83, v58, v64
	v_mul_f32_e32 v84, v57, v64
	s_waitcnt lgkmcnt(5)
	v_mul_f32_e32 v85, v66, v62
	v_mul_f32_e32 v62, v65, v62
	;; [unrolled: 1-line block ×3, first 2 shown]
	v_fma_f32 v81, v57, v61, -v81
	v_fmac_f32_e32 v82, v58, v61
	v_fma_f32 v57, v57, v63, -v83
	v_fmac_f32_e32 v84, v58, v63
	;; [unrolled: 2-line block ×3, first 2 shown]
	v_fma_f32 v61, v65, v63, -v86
	v_mul_f32_e32 v64, v65, v64
	v_add_f32_e32 v57, v53, v57
	v_add_f32_e32 v58, v51, v58
	;; [unrolled: 1-line block ×3, first 2 shown]
	s_waitcnt lgkmcnt(1)
	v_mul_f32_e32 v65, v60, v74
	v_add_f32_e32 v61, v50, v61
	ds_read2_b64 v[50:53], v41 offset0:64 offset1:80
	v_add_f32_e32 v55, v55, v81
	v_fmac_f32_e32 v64, v66, v63
	v_mul_f32_e32 v63, v59, v74
	v_fma_f32 v65, v59, v73, -v65
	v_mul_f32_e32 v66, v60, v76
	v_add_f32_e32 v56, v56, v82
	v_add_f32_e32 v19, v19, v64
	v_fmac_f32_e32 v63, v60, v73
	v_mul_f32_e32 v64, v59, v76
	v_add_f32_e32 v65, v55, v65
	v_fma_f32 v55, v59, v75, -v66
	v_mul_f32_e32 v59, v68, v74
	v_add_f32_e32 v54, v54, v84
	v_add_f32_e32 v63, v56, v63
	v_fmac_f32_e32 v64, v60, v75
	v_mul_f32_e32 v56, v67, v74
	v_add_f32_e32 v60, v57, v55
	v_fma_f32 v55, v67, v73, -v59
	v_mul_f32_e32 v57, v68, v76
	v_add_f32_e32 v59, v54, v64
	v_fmac_f32_e32 v56, v68, v73
	v_mul_f32_e32 v64, v67, v76
	v_add_f32_e32 v58, v58, v55
	v_fma_f32 v54, v67, v75, -v57
	s_waitcnt lgkmcnt(0)
	v_mul_f32_e32 v55, v70, v51
	v_add_f32_e32 v62, v62, v56
	v_fmac_f32_e32 v64, v68, v75
	v_mul_f32_e32 v66, v69, v51
	v_add_f32_e32 v61, v61, v54
	v_fma_f32 v67, v69, v50, -v55
	v_mul_f32_e32 v68, v70, v53
	ds_read2_b64 v[54:57], v41 offset0:96 offset1:112
	v_fmac_f32_e32 v66, v70, v50
	v_add_f32_e32 v19, v19, v64
	v_add_f32_e32 v64, v65, v67
	v_fma_f32 v67, v69, v52, -v68
	v_mul_f32_e32 v65, v69, v53
	v_add_f32_e32 v63, v63, v66
	v_mul_f32_e32 v66, v78, v51
	v_mul_f32_e32 v51, v77, v51
	v_add_f32_e32 v60, v60, v67
	v_mul_f32_e32 v67, v78, v53
	v_fmac_f32_e32 v65, v70, v52
	v_fma_f32 v66, v77, v50, -v66
	v_fmac_f32_e32 v51, v78, v50
	v_mul_f32_e32 v68, v77, v53
	v_fma_f32 v50, v77, v52, -v67
	v_add_f32_e32 v59, v59, v65
	v_add_f32_e32 v65, v58, v66
	v_add_f32_e32 v62, v62, v51
	v_fmac_f32_e32 v68, v78, v52
	s_waitcnt lgkmcnt(0)
	v_mul_f32_e32 v58, v72, v55
	v_add_f32_e32 v66, v61, v50
	ds_read2_b64 v[50:53], v41 offset0:128 offset1:144
	v_mul_f32_e32 v61, v71, v55
	v_mul_f32_e32 v67, v72, v57
	v_fma_f32 v58, v71, v54, -v58
	v_add_f32_e32 v19, v19, v68
	v_mul_f32_e32 v68, v71, v57
	v_fmac_f32_e32 v61, v72, v54
	v_fma_f32 v67, v71, v56, -v67
	v_add_f32_e32 v64, v64, v58
	v_mul_f32_e32 v58, v80, v55
	v_fmac_f32_e32 v68, v72, v56
	v_mul_f32_e32 v55, v79, v55
	v_mul_f32_e32 v70, v80, v57
	v_add_f32_e32 v63, v63, v61
	v_fma_f32 v69, v79, v54, -v58
	v_add_f32_e32 v67, v60, v67
	v_add_f32_e32 v68, v59, v68
	ds_read_b128 v[58:61], v38 offset:4128
	v_fmac_f32_e32 v55, v80, v54
	v_add_f32_e32 v69, v65, v69
	v_mul_f32_e32 v65, v79, v57
	v_fma_f32 v54, v79, v56, -v70
	s_waitcnt lgkmcnt(1)
	v_mul_f32_e32 v57, v7, v51
	v_add_f32_e32 v70, v62, v55
	v_mul_f32_e32 v62, v6, v51
	v_fmac_f32_e32 v65, v80, v56
	v_add_f32_e32 v66, v66, v54
	v_fma_f32 v71, v6, v50, -v57
	ds_read2_b64 v[54:57], v41 offset0:160 offset1:176
	v_fmac_f32_e32 v62, v7, v50
	v_mul_f32_e32 v72, v7, v53
	v_mul_f32_e32 v73, v6, v53
	v_add_f32_e32 v19, v19, v65
	v_add_f32_e32 v71, v64, v71
	;; [unrolled: 1-line block ×3, first 2 shown]
	v_fma_f32 v6, v6, v52, -v72
	ds_read_b128 v[62:65], v38 offset:4144
	s_waitcnt lgkmcnt(2)
	v_mul_f32_e32 v72, v59, v51
	v_fmac_f32_e32 v73, v7, v52
	v_mul_f32_e32 v7, v58, v51
	v_mul_f32_e32 v51, v59, v53
	v_add_f32_e32 v6, v67, v6
	v_fma_f32 v67, v58, v50, -v72
	v_mul_f32_e32 v72, v58, v53
	v_fmac_f32_e32 v7, v59, v50
	v_fma_f32 v50, v58, v52, -v51
	v_add_f32_e32 v68, v68, v73
	v_add_f32_e32 v58, v69, v67
	s_waitcnt lgkmcnt(1)
	v_mul_f32_e32 v51, v9, v55
	v_fmac_f32_e32 v72, v59, v52
	v_add_f32_e32 v59, v66, v50
	v_mul_f32_e32 v69, v9, v57
	v_add_f32_e32 v7, v70, v7
	v_fma_f32 v67, v8, v54, -v51
	ds_read2_b64 v[50:53], v41 offset0:192 offset1:208
	v_mul_f32_e32 v66, v8, v55
	v_mul_f32_e32 v70, v8, v57
	v_fma_f32 v8, v8, v56, -v69
	v_mul_f32_e32 v69, v61, v55
	v_mul_f32_e32 v55, v60, v55
	v_add_f32_e32 v67, v71, v67
	v_fmac_f32_e32 v66, v9, v54
	v_add_f32_e32 v71, v6, v8
	v_fma_f32 v6, v60, v54, -v69
	v_fmac_f32_e32 v55, v61, v54
	v_mul_f32_e32 v8, v61, v57
	v_fmac_f32_e32 v70, v9, v56
	v_mul_f32_e32 v57, v60, v57
	v_add_f32_e32 v58, v58, v6
	v_add_f32_e32 v55, v7, v55
	v_fma_f32 v60, v60, v56, -v8
	ds_read2_b64 v[6:9], v41 offset0:224 offset1:240
	v_add_f32_e32 v54, v68, v70
	v_fmac_f32_e32 v57, v61, v56
	s_waitcnt lgkmcnt(1)
	v_mul_f32_e32 v68, v3, v51
	v_mul_f32_e32 v56, v2, v51
	v_add_f32_e32 v66, v74, v66
	v_add_f32_e32 v59, v59, v60
	v_mul_f32_e32 v61, v3, v53
	v_fma_f32 v60, v2, v50, -v68
	v_fmac_f32_e32 v56, v3, v50
	v_mul_f32_e32 v68, v2, v53
	v_add_f32_e32 v19, v19, v72
	v_fma_f32 v2, v2, v52, -v61
	v_add_f32_e32 v60, v67, v60
	v_add_f32_e32 v61, v66, v56
	v_fmac_f32_e32 v68, v3, v52
	v_mul_f32_e32 v3, v63, v51
	v_mul_f32_e32 v51, v62, v51
	;; [unrolled: 1-line block ×4, first 2 shown]
	s_waitcnt lgkmcnt(0)
	v_mul_f32_e32 v53, v5, v7
	v_fma_f32 v3, v62, v50, -v3
	v_fmac_f32_e32 v51, v63, v50
	v_fma_f32 v50, v62, v52, -v56
	v_add_f32_e32 v19, v19, v57
	v_add_f32_e32 v66, v54, v68
	;; [unrolled: 1-line block ×4, first 2 shown]
	v_fmac_f32_e32 v67, v63, v52
	v_add_f32_e32 v63, v59, v50
	v_fma_f32 v3, v4, v6, -v53
	ds_read_b128 v[50:53], v38 offset:64
	ds_read2_b64 v[54:57], v47 offset1:16
	v_mul_f32_e32 v59, v4, v7
	v_mul_f32_e32 v68, v5, v9
	v_add_f32_e32 v2, v71, v2
	v_add_f32_e32 v19, v19, v67
	v_mul_f32_e32 v67, v4, v9
	v_fmac_f32_e32 v59, v5, v6
	v_add_f32_e32 v69, v60, v3
	v_fma_f32 v3, v4, v8, -v68
	v_mul_f32_e32 v4, v65, v7
	v_mul_f32_e32 v7, v64, v7
	;; [unrolled: 1-line block ×3, first 2 shown]
	v_add_f32_e32 v68, v61, v59
	v_fmac_f32_e32 v67, v5, v8
	v_add_f32_e32 v70, v2, v3
	v_fma_f32 v59, v64, v6, -v4
	v_fmac_f32_e32 v7, v65, v6
	ds_read_b128 v[2:5], v38 offset:4160
	v_fma_f32 v6, v64, v8, -v60
	v_mul_f32_e32 v64, v64, v9
	s_waitcnt lgkmcnt(1)
	v_mul_f32_e32 v9, v51, v55
	v_add_f32_e32 v71, v62, v7
	v_mul_f32_e32 v62, v50, v55
	v_add_f32_e32 v72, v63, v6
	v_fmac_f32_e32 v64, v65, v8
	v_fma_f32 v63, v50, v54, -v9
	ds_read2_b64 v[6:9], v47 offset0:32 offset1:48
	v_mul_f32_e32 v65, v51, v57
	v_mul_f32_e32 v73, v50, v57
	v_add_f32_e32 v66, v66, v67
	v_add_f32_e32 v67, v58, v59
	ds_read_b128 v[58:61], v38 offset:80
	v_fmac_f32_e32 v62, v51, v54
	v_fma_f32 v50, v50, v56, -v65
	v_fmac_f32_e32 v73, v51, v56
	v_add_f32_e32 v69, v69, v63
	v_add_f32_e32 v19, v19, v64
	s_waitcnt lgkmcnt(2)
	v_mul_f32_e32 v74, v3, v55
	v_mul_f32_e32 v51, v2, v55
	v_mul_f32_e32 v55, v3, v57
	v_add_f32_e32 v50, v70, v50
	v_add_f32_e32 v66, v66, v73
	v_fma_f32 v70, v2, v54, -v74
	v_fmac_f32_e32 v51, v3, v54
	v_mul_f32_e32 v73, v2, v57
	v_fma_f32 v2, v2, v56, -v55
	s_waitcnt lgkmcnt(1)
	v_mul_f32_e32 v54, v53, v7
	v_add_f32_e32 v67, v67, v70
	v_add_f32_e32 v51, v71, v51
	v_fmac_f32_e32 v73, v3, v56
	v_add_f32_e32 v70, v72, v2
	v_mul_f32_e32 v2, v52, v7
	v_fma_f32 v3, v52, v6, -v54
	ds_read2_b64 v[54:57], v47 offset0:64 offset1:80
	v_mul_f32_e32 v71, v53, v9
	v_add_f32_e32 v68, v68, v62
	v_fmac_f32_e32 v2, v53, v6
	v_add_f32_e32 v69, v69, v3
	v_mul_f32_e32 v3, v52, v9
	v_fma_f32 v52, v52, v8, -v71
	v_mul_f32_e32 v71, v5, v7
	v_mul_f32_e32 v7, v4, v7
	ds_read_b128 v[62:65], v38 offset:4176
	v_add_f32_e32 v68, v68, v2
	v_fmac_f32_e32 v3, v53, v8
	v_fma_f32 v2, v4, v6, -v71
	v_fmac_f32_e32 v7, v5, v6
	v_mul_f32_e32 v6, v5, v9
	v_mul_f32_e32 v9, v4, v9
	v_add_f32_e32 v50, v50, v52
	v_add_f32_e32 v52, v66, v3
	;; [unrolled: 1-line block ×3, first 2 shown]
	v_fma_f32 v6, v4, v8, -v6
	v_fmac_f32_e32 v9, v5, v8
	ds_read2_b64 v[2:5], v47 offset0:96 offset1:112
	v_add_f32_e32 v19, v19, v73
	v_add_f32_e32 v7, v51, v7
	s_waitcnt lgkmcnt(2)
	v_mul_f32_e32 v51, v59, v55
	v_mul_f32_e32 v8, v58, v55
	;; [unrolled: 1-line block ×3, first 2 shown]
	v_add_f32_e32 v19, v19, v9
	v_mul_f32_e32 v67, v58, v57
	v_fma_f32 v51, v58, v54, -v51
	v_fmac_f32_e32 v8, v59, v54
	v_fma_f32 v9, v58, v56, -v66
	v_add_f32_e32 v6, v70, v6
	v_fmac_f32_e32 v67, v59, v56
	v_add_f32_e32 v69, v69, v51
	v_add_f32_e32 v58, v68, v8
	s_waitcnt lgkmcnt(1)
	v_mul_f32_e32 v8, v63, v55
	v_mul_f32_e32 v51, v62, v55
	v_add_f32_e32 v55, v50, v9
	v_mul_f32_e32 v9, v63, v57
	v_add_f32_e32 v59, v52, v67
	v_fma_f32 v8, v62, v54, -v8
	v_fmac_f32_e32 v51, v63, v54
	v_mul_f32_e32 v54, v62, v57
	v_fma_f32 v9, v62, v56, -v9
	s_waitcnt lgkmcnt(0)
	v_mul_f32_e32 v50, v61, v3
	v_add_f32_e32 v62, v53, v8
	v_add_f32_e32 v66, v7, v51
	v_fmac_f32_e32 v54, v63, v56
	v_add_f32_e32 v63, v6, v9
	v_fma_f32 v56, v60, v2, -v50
	ds_read_b128 v[6:9], v38 offset:96
	ds_read2_b64 v[50:53], v47 offset0:128 offset1:144
	v_mul_f32_e32 v57, v60, v3
	v_mul_f32_e32 v67, v61, v5
	v_add_f32_e32 v19, v19, v54
	v_mul_f32_e32 v54, v60, v5
	v_add_f32_e32 v68, v69, v56
	v_fmac_f32_e32 v57, v61, v2
	v_fma_f32 v56, v60, v4, -v67
	v_mul_f32_e32 v60, v65, v3
	v_fmac_f32_e32 v54, v61, v4
	v_mul_f32_e32 v3, v64, v3
	v_add_f32_e32 v67, v58, v57
	v_add_f32_e32 v69, v55, v56
	v_fma_f32 v58, v64, v2, -v60
	v_mul_f32_e32 v60, v65, v5
	v_add_f32_e32 v70, v59, v54
	v_fmac_f32_e32 v3, v65, v2
	ds_read_b128 v[54:57], v38 offset:4192
	v_add_f32_e32 v71, v62, v58
	v_fma_f32 v2, v64, v4, -v60
	v_mul_f32_e32 v62, v64, v5
	s_waitcnt lgkmcnt(1)
	v_mul_f32_e32 v5, v7, v51
	v_add_f32_e32 v66, v66, v3
	v_mul_f32_e32 v64, v6, v51
	v_add_f32_e32 v72, v63, v2
	v_fmac_f32_e32 v62, v65, v4
	v_fma_f32 v63, v6, v50, -v5
	ds_read2_b64 v[2:5], v47 offset0:160 offset1:176
	v_mul_f32_e32 v65, v7, v53
	v_mul_f32_e32 v73, v6, v53
	ds_read_b128 v[58:61], v38 offset:112
	v_fmac_f32_e32 v64, v7, v50
	v_add_f32_e32 v68, v68, v63
	v_fma_f32 v6, v6, v52, -v65
	v_fmac_f32_e32 v73, v7, v52
	v_add_f32_e32 v19, v19, v62
	v_add_f32_e32 v67, v67, v64
	s_waitcnt lgkmcnt(2)
	v_mul_f32_e32 v74, v55, v51
	v_mul_f32_e32 v7, v54, v51
	;; [unrolled: 1-line block ×3, first 2 shown]
	v_add_f32_e32 v6, v69, v6
	v_add_f32_e32 v70, v70, v73
	v_fma_f32 v69, v54, v50, -v74
	v_fmac_f32_e32 v7, v55, v50
	v_mul_f32_e32 v73, v54, v53
	v_fma_f32 v50, v54, v52, -v51
	ds_read_b128 v[62:65], v38 offset:4208
	s_waitcnt lgkmcnt(2)
	v_mul_f32_e32 v51, v9, v3
	v_add_f32_e32 v54, v71, v69
	v_fmac_f32_e32 v73, v55, v52
	v_add_f32_e32 v55, v72, v50
	v_add_f32_e32 v7, v66, v7
	v_fma_f32 v69, v8, v2, -v51
	ds_read2_b64 v[50:53], v47 offset0:192 offset1:208
	v_mul_f32_e32 v66, v8, v3
	v_mul_f32_e32 v71, v9, v5
	v_add_f32_e32 v19, v19, v73
	v_add_f32_e32 v68, v68, v69
	v_mul_f32_e32 v69, v8, v5
	v_fmac_f32_e32 v66, v9, v2
	v_fma_f32 v8, v8, v4, -v71
	v_mul_f32_e32 v71, v57, v3
	v_mul_f32_e32 v3, v56, v3
	v_fmac_f32_e32 v69, v9, v4
	v_add_f32_e32 v66, v67, v66
	v_add_f32_e32 v6, v6, v8
	v_fma_f32 v8, v56, v2, -v71
	v_fmac_f32_e32 v3, v57, v2
	v_mul_f32_e32 v2, v57, v5
	v_mul_f32_e32 v67, v56, v5
	v_add_f32_e32 v9, v70, v69
	v_add_f32_e32 v8, v54, v8
	;; [unrolled: 1-line block ×3, first 2 shown]
	v_fma_f32 v54, v56, v4, -v2
	s_waitcnt lgkmcnt(0)
	v_mul_f32_e32 v56, v59, v51
	v_fmac_f32_e32 v67, v57, v4
	ds_read2_b64 v[2:5], v47 offset0:224 offset1:240
	v_mul_f32_e32 v69, v58, v53
	v_add_f32_e32 v54, v55, v54
	v_fma_f32 v55, v58, v50, -v56
	v_mul_f32_e32 v56, v59, v53
	v_mul_f32_e32 v57, v58, v51
	v_fmac_f32_e32 v69, v59, v52
	v_add_f32_e32 v19, v19, v67
	v_add_f32_e32 v55, v68, v55
	v_fma_f32 v56, v58, v52, -v56
	v_mul_f32_e32 v58, v63, v51
	v_mul_f32_e32 v51, v62, v51
	v_fmac_f32_e32 v57, v59, v50
	v_add_f32_e32 v59, v9, v69
	v_add_f32_e32 v56, v6, v56
	v_mul_f32_e32 v6, v63, v53
	v_fma_f32 v9, v62, v50, -v58
	v_fmac_f32_e32 v51, v63, v50
	v_mul_f32_e32 v58, v62, v53
	v_add_f32_e32 v57, v66, v57
	v_fma_f32 v6, v62, v52, -v6
	s_waitcnt lgkmcnt(0)
	v_mul_f32_e32 v50, v61, v3
	v_add_f32_e32 v62, v8, v9
	v_add_f32_e32 v66, v7, v51
	v_fmac_f32_e32 v58, v63, v52
	v_add_f32_e32 v63, v54, v6
	v_fma_f32 v54, v60, v2, -v50
	ds_read_b128 v[6:9], v38 offset:128
	ds_read2_b64 v[50:53], v48 offset1:16
	v_mul_f32_e32 v67, v60, v3
	v_mul_f32_e32 v68, v61, v5
	v_add_f32_e32 v19, v19, v58
	v_mul_f32_e32 v58, v60, v5
	v_add_f32_e32 v69, v55, v54
	v_mul_f32_e32 v55, v65, v3
	v_fmac_f32_e32 v67, v61, v2
	v_fma_f32 v54, v60, v4, -v68
	v_fmac_f32_e32 v58, v61, v4
	v_mul_f32_e32 v3, v64, v3
	v_fma_f32 v60, v64, v2, -v55
	v_mul_f32_e32 v61, v65, v5
	v_add_f32_e32 v67, v57, v67
	v_add_f32_e32 v68, v56, v54
	v_fmac_f32_e32 v3, v65, v2
	ds_read_b128 v[54:57], v38 offset:4224
	v_add_f32_e32 v71, v62, v60
	v_fma_f32 v2, v64, v4, -v61
	v_mul_f32_e32 v62, v64, v5
	s_waitcnt lgkmcnt(1)
	v_mul_f32_e32 v5, v7, v51
	v_add_f32_e32 v66, v66, v3
	v_mul_f32_e32 v64, v6, v51
	v_add_f32_e32 v72, v63, v2
	v_fmac_f32_e32 v62, v65, v4
	v_fma_f32 v63, v6, v50, -v5
	ds_read2_b64 v[2:5], v48 offset0:32 offset1:48
	v_mul_f32_e32 v65, v7, v53
	v_mul_f32_e32 v73, v6, v53
	v_add_f32_e32 v70, v59, v58
	ds_read_b128 v[58:61], v38 offset:144
	v_fmac_f32_e32 v64, v7, v50
	v_fma_f32 v6, v6, v52, -v65
	v_fmac_f32_e32 v73, v7, v52
	v_add_f32_e32 v69, v69, v63
	v_add_f32_e32 v19, v19, v62
	s_waitcnt lgkmcnt(2)
	v_mul_f32_e32 v74, v55, v51
	v_mul_f32_e32 v7, v54, v51
	;; [unrolled: 1-line block ×3, first 2 shown]
	v_add_f32_e32 v6, v68, v6
	v_add_f32_e32 v70, v70, v73
	v_fma_f32 v68, v54, v50, -v74
	v_fmac_f32_e32 v7, v55, v50
	v_mul_f32_e32 v73, v54, v53
	v_fma_f32 v50, v54, v52, -v51
	v_add_f32_e32 v67, v67, v64
	s_waitcnt lgkmcnt(1)
	v_mul_f32_e32 v51, v9, v3
	v_add_f32_e32 v54, v71, v68
	v_fmac_f32_e32 v73, v55, v52
	v_add_f32_e32 v55, v72, v50
	v_add_f32_e32 v7, v66, v7
	v_fma_f32 v68, v8, v2, -v51
	ds_read2_b64 v[50:53], v48 offset0:64 offset1:80
	v_mul_f32_e32 v66, v8, v3
	v_mul_f32_e32 v71, v9, v5
	ds_read_b128 v[62:65], v38 offset:4240
	v_add_f32_e32 v68, v69, v68
	v_mul_f32_e32 v69, v8, v5
	v_fmac_f32_e32 v66, v9, v2
	v_fma_f32 v8, v8, v4, -v71
	v_mul_f32_e32 v71, v57, v3
	v_mul_f32_e32 v3, v56, v3
	v_fmac_f32_e32 v69, v9, v4
	v_add_f32_e32 v66, v67, v66
	v_add_f32_e32 v6, v6, v8
	v_fma_f32 v8, v56, v2, -v71
	v_fmac_f32_e32 v3, v57, v2
	v_mul_f32_e32 v2, v57, v5
	v_mul_f32_e32 v67, v56, v5
	v_add_f32_e32 v9, v70, v69
	v_add_f32_e32 v8, v54, v8
	;; [unrolled: 1-line block ×3, first 2 shown]
	v_fma_f32 v54, v56, v4, -v2
	s_waitcnt lgkmcnt(1)
	v_mul_f32_e32 v56, v59, v51
	v_fmac_f32_e32 v67, v57, v4
	ds_read2_b64 v[2:5], v48 offset0:96 offset1:112
	v_mul_f32_e32 v69, v58, v53
	v_add_f32_e32 v54, v55, v54
	v_fma_f32 v55, v58, v50, -v56
	v_mul_f32_e32 v56, v59, v53
	v_mul_f32_e32 v57, v58, v51
	v_fmac_f32_e32 v69, v59, v52
	v_add_f32_e32 v19, v19, v73
	v_add_f32_e32 v55, v68, v55
	v_fma_f32 v56, v58, v52, -v56
	s_waitcnt lgkmcnt(1)
	v_mul_f32_e32 v58, v63, v51
	v_mul_f32_e32 v51, v62, v51
	v_fmac_f32_e32 v57, v59, v50
	v_add_f32_e32 v59, v9, v69
	v_add_f32_e32 v56, v6, v56
	v_mul_f32_e32 v6, v63, v53
	v_fma_f32 v9, v62, v50, -v58
	v_fmac_f32_e32 v51, v63, v50
	v_mul_f32_e32 v58, v62, v53
	v_add_f32_e32 v57, v66, v57
	v_fma_f32 v6, v62, v52, -v6
	s_waitcnt lgkmcnt(0)
	v_mul_f32_e32 v50, v61, v3
	v_add_f32_e32 v62, v8, v9
	v_add_f32_e32 v66, v7, v51
	v_fmac_f32_e32 v58, v63, v52
	v_add_f32_e32 v63, v54, v6
	v_fma_f32 v54, v60, v2, -v50
	ds_read_b128 v[6:9], v38 offset:160
	ds_read2_b64 v[50:53], v48 offset0:128 offset1:144
	v_add_f32_e32 v19, v19, v67
	v_mul_f32_e32 v67, v60, v3
	v_mul_f32_e32 v68, v61, v5
	v_add_f32_e32 v69, v55, v54
	v_mul_f32_e32 v55, v65, v3
	v_add_f32_e32 v19, v19, v58
	v_mul_f32_e32 v58, v60, v5
	v_fmac_f32_e32 v67, v61, v2
	v_fma_f32 v54, v60, v4, -v68
	v_mul_f32_e32 v3, v64, v3
	v_fma_f32 v60, v64, v2, -v55
	v_fmac_f32_e32 v58, v61, v4
	v_mul_f32_e32 v61, v65, v5
	v_add_f32_e32 v67, v57, v67
	v_add_f32_e32 v68, v56, v54
	v_fmac_f32_e32 v3, v65, v2
	ds_read_b128 v[54:57], v38 offset:4256
	v_add_f32_e32 v71, v62, v60
	v_fma_f32 v2, v64, v4, -v61
	v_mul_f32_e32 v62, v64, v5
	s_waitcnt lgkmcnt(1)
	v_mul_f32_e32 v5, v7, v51
	v_add_f32_e32 v66, v66, v3
	v_mul_f32_e32 v64, v6, v51
	v_add_f32_e32 v72, v63, v2
	v_fmac_f32_e32 v62, v65, v4
	v_fma_f32 v63, v6, v50, -v5
	ds_read2_b64 v[2:5], v48 offset0:160 offset1:176
	v_mul_f32_e32 v65, v7, v53
	v_mul_f32_e32 v73, v6, v53
	v_add_f32_e32 v70, v59, v58
	ds_read_b128 v[58:61], v38 offset:176
	v_fmac_f32_e32 v64, v7, v50
	v_fma_f32 v6, v6, v52, -v65
	v_fmac_f32_e32 v73, v7, v52
	v_add_f32_e32 v69, v69, v63
	v_add_f32_e32 v19, v19, v62
	s_waitcnt lgkmcnt(2)
	v_mul_f32_e32 v74, v55, v51
	v_mul_f32_e32 v7, v54, v51
	;; [unrolled: 1-line block ×3, first 2 shown]
	v_add_f32_e32 v6, v68, v6
	v_add_f32_e32 v70, v70, v73
	v_fma_f32 v68, v54, v50, -v74
	v_fmac_f32_e32 v7, v55, v50
	v_mul_f32_e32 v73, v54, v53
	v_fma_f32 v50, v54, v52, -v51
	v_add_f32_e32 v67, v67, v64
	s_waitcnt lgkmcnt(1)
	v_mul_f32_e32 v51, v9, v3
	v_add_f32_e32 v54, v71, v68
	v_fmac_f32_e32 v73, v55, v52
	v_add_f32_e32 v55, v72, v50
	v_add_f32_e32 v7, v66, v7
	v_fma_f32 v68, v8, v2, -v51
	ds_read2_b64 v[50:53], v48 offset0:192 offset1:208
	v_mul_f32_e32 v66, v8, v3
	v_mul_f32_e32 v71, v9, v5
	ds_read_b128 v[62:65], v38 offset:4272
	v_add_f32_e32 v68, v69, v68
	v_mul_f32_e32 v69, v8, v5
	v_fmac_f32_e32 v66, v9, v2
	v_fma_f32 v8, v8, v4, -v71
	v_mul_f32_e32 v71, v57, v3
	v_mul_f32_e32 v3, v56, v3
	v_fmac_f32_e32 v69, v9, v4
	v_add_f32_e32 v66, v67, v66
	v_add_f32_e32 v6, v6, v8
	v_fma_f32 v8, v56, v2, -v71
	v_fmac_f32_e32 v3, v57, v2
	v_mul_f32_e32 v2, v57, v5
	v_mul_f32_e32 v67, v56, v5
	v_add_f32_e32 v9, v70, v69
	v_add_f32_e32 v8, v54, v8
	;; [unrolled: 1-line block ×3, first 2 shown]
	v_fma_f32 v54, v56, v4, -v2
	s_waitcnt lgkmcnt(1)
	v_mul_f32_e32 v56, v59, v51
	v_fmac_f32_e32 v67, v57, v4
	ds_read2_b64 v[2:5], v48 offset0:224 offset1:240
	v_mul_f32_e32 v69, v58, v53
	v_add_f32_e32 v54, v55, v54
	v_fma_f32 v55, v58, v50, -v56
	v_mul_f32_e32 v56, v59, v53
	v_mul_f32_e32 v57, v58, v51
	v_fmac_f32_e32 v69, v59, v52
	v_add_f32_e32 v19, v19, v73
	v_add_f32_e32 v55, v68, v55
	v_fma_f32 v56, v58, v52, -v56
	s_waitcnt lgkmcnt(1)
	v_mul_f32_e32 v58, v63, v51
	v_mul_f32_e32 v51, v62, v51
	v_fmac_f32_e32 v57, v59, v50
	v_add_f32_e32 v59, v9, v69
	v_add_f32_e32 v56, v6, v56
	v_mul_f32_e32 v6, v63, v53
	v_fma_f32 v9, v62, v50, -v58
	v_fmac_f32_e32 v51, v63, v50
	v_mul_f32_e32 v58, v62, v53
	v_add_f32_e32 v57, v66, v57
	v_fma_f32 v6, v62, v52, -v6
	s_waitcnt lgkmcnt(0)
	v_mul_f32_e32 v50, v61, v3
	v_add_f32_e32 v62, v8, v9
	v_add_f32_e32 v66, v7, v51
	v_fmac_f32_e32 v58, v63, v52
	v_add_f32_e32 v63, v54, v6
	v_fma_f32 v54, v60, v2, -v50
	ds_read_b128 v[6:9], v38 offset:192
	ds_read2_b64 v[50:53], v49 offset1:16
	v_add_f32_e32 v19, v19, v67
	v_mul_f32_e32 v67, v60, v3
	v_mul_f32_e32 v68, v61, v5
	v_add_f32_e32 v69, v55, v54
	v_mul_f32_e32 v55, v65, v3
	v_add_f32_e32 v19, v19, v58
	v_mul_f32_e32 v58, v60, v5
	v_fmac_f32_e32 v67, v61, v2
	v_fma_f32 v54, v60, v4, -v68
	v_mul_f32_e32 v3, v64, v3
	v_fma_f32 v60, v64, v2, -v55
	v_fmac_f32_e32 v58, v61, v4
	v_mul_f32_e32 v61, v65, v5
	v_add_f32_e32 v67, v57, v67
	v_add_f32_e32 v68, v56, v54
	v_fmac_f32_e32 v3, v65, v2
	ds_read_b128 v[54:57], v38 offset:4288
	v_add_f32_e32 v71, v62, v60
	v_fma_f32 v2, v64, v4, -v61
	v_mul_f32_e32 v62, v64, v5
	s_waitcnt lgkmcnt(1)
	v_mul_f32_e32 v5, v7, v51
	v_add_f32_e32 v66, v66, v3
	v_mul_f32_e32 v64, v6, v51
	v_add_f32_e32 v72, v63, v2
	v_fmac_f32_e32 v62, v65, v4
	v_fma_f32 v63, v6, v50, -v5
	ds_read2_b64 v[2:5], v49 offset0:32 offset1:48
	v_mul_f32_e32 v65, v7, v53
	v_mul_f32_e32 v73, v6, v53
	v_add_f32_e32 v70, v59, v58
	ds_read_b128 v[58:61], v38 offset:208
	v_fmac_f32_e32 v64, v7, v50
	v_fma_f32 v6, v6, v52, -v65
	v_fmac_f32_e32 v73, v7, v52
	v_add_f32_e32 v69, v69, v63
	v_add_f32_e32 v19, v19, v62
	s_waitcnt lgkmcnt(2)
	v_mul_f32_e32 v74, v55, v51
	v_mul_f32_e32 v7, v54, v51
	;; [unrolled: 1-line block ×3, first 2 shown]
	v_add_f32_e32 v6, v68, v6
	v_add_f32_e32 v70, v70, v73
	v_fma_f32 v68, v54, v50, -v74
	v_fmac_f32_e32 v7, v55, v50
	v_mul_f32_e32 v73, v54, v53
	v_fma_f32 v50, v54, v52, -v51
	v_add_f32_e32 v67, v67, v64
	s_waitcnt lgkmcnt(1)
	v_mul_f32_e32 v51, v9, v3
	v_add_f32_e32 v54, v71, v68
	v_fmac_f32_e32 v73, v55, v52
	v_add_f32_e32 v55, v72, v50
	v_add_f32_e32 v7, v66, v7
	v_fma_f32 v68, v8, v2, -v51
	ds_read2_b64 v[50:53], v49 offset0:64 offset1:80
	v_mul_f32_e32 v66, v8, v3
	v_mul_f32_e32 v71, v9, v5
	ds_read_b128 v[62:65], v38 offset:4304
	v_add_f32_e32 v68, v69, v68
	v_mul_f32_e32 v69, v8, v5
	v_fmac_f32_e32 v66, v9, v2
	v_fma_f32 v8, v8, v4, -v71
	v_mul_f32_e32 v71, v57, v3
	v_mul_f32_e32 v3, v56, v3
	v_fmac_f32_e32 v69, v9, v4
	v_add_f32_e32 v66, v67, v66
	v_add_f32_e32 v6, v6, v8
	v_fma_f32 v8, v56, v2, -v71
	v_fmac_f32_e32 v3, v57, v2
	v_mul_f32_e32 v2, v57, v5
	v_mul_f32_e32 v67, v56, v5
	v_add_f32_e32 v9, v70, v69
	v_add_f32_e32 v8, v54, v8
	;; [unrolled: 1-line block ×3, first 2 shown]
	v_fma_f32 v54, v56, v4, -v2
	s_waitcnt lgkmcnt(1)
	v_mul_f32_e32 v56, v59, v51
	v_fmac_f32_e32 v67, v57, v4
	ds_read2_b64 v[2:5], v49 offset0:96 offset1:112
	v_mul_f32_e32 v69, v58, v53
	v_add_f32_e32 v54, v55, v54
	v_fma_f32 v55, v58, v50, -v56
	v_mul_f32_e32 v56, v59, v53
	v_mul_f32_e32 v57, v58, v51
	v_fmac_f32_e32 v69, v59, v52
	v_add_f32_e32 v19, v19, v73
	v_add_f32_e32 v55, v68, v55
	v_fma_f32 v56, v58, v52, -v56
	s_waitcnt lgkmcnt(1)
	v_mul_f32_e32 v58, v63, v51
	v_mul_f32_e32 v51, v62, v51
	v_fmac_f32_e32 v57, v59, v50
	v_add_f32_e32 v59, v9, v69
	v_add_f32_e32 v56, v6, v56
	v_mul_f32_e32 v6, v63, v53
	v_fma_f32 v9, v62, v50, -v58
	v_fmac_f32_e32 v51, v63, v50
	v_mul_f32_e32 v58, v62, v53
	v_add_f32_e32 v19, v19, v67
	v_fma_f32 v6, v62, v52, -v6
	s_waitcnt lgkmcnt(0)
	v_mul_f32_e32 v50, v61, v3
	v_add_f32_e32 v57, v66, v57
	v_add_f32_e32 v62, v8, v9
	v_add_f32_e32 v66, v7, v51
	v_fmac_f32_e32 v58, v63, v52
	v_add_f32_e32 v63, v54, v6
	v_fma_f32 v54, v60, v2, -v50
	ds_read_b128 v[6:9], v38 offset:224
	ds_read2_b64 v[50:53], v49 offset0:128 offset1:144
	v_mul_f32_e32 v67, v60, v3
	v_mul_f32_e32 v68, v61, v5
	v_add_f32_e32 v19, v19, v58
	v_mul_f32_e32 v58, v60, v5
	s_addc_u32 s19, s19, 0
	v_fmac_f32_e32 v67, v61, v2
	v_fma_f32 v60, v60, v4, -v68
	v_add_f32_e32 v68, v55, v54
	v_mul_f32_e32 v54, v65, v3
	v_fmac_f32_e32 v58, v61, v4
	v_add_f32_e32 v67, v57, v67
	v_add_f32_e32 v69, v56, v60
	v_mul_f32_e32 v3, v64, v3
	v_fma_f32 v60, v64, v2, -v54
	v_add_f32_e32 v70, v59, v58
	v_mul_f32_e32 v58, v65, v5
	ds_read_b128 v[54:57], v38 offset:4320
	v_fmac_f32_e32 v3, v65, v2
	v_add_f32_e32 v71, v62, v60
	v_mul_f32_e32 v62, v64, v5
	v_fma_f32 v2, v64, v4, -v58
	s_waitcnt lgkmcnt(1)
	v_mul_f32_e32 v5, v7, v51
	v_add_f32_e32 v66, v66, v3
	v_mul_f32_e32 v64, v7, v53
	v_fmac_f32_e32 v62, v65, v4
	v_add_f32_e32 v72, v63, v2
	v_fma_f32 v63, v6, v50, -v5
	ds_read2_b64 v[2:5], v49 offset0:160 offset1:176
	ds_read_b128 v[58:61], v38 offset:240
	v_mul_f32_e32 v73, v6, v51
	v_mul_f32_e32 v74, v6, v53
	v_fma_f32 v6, v6, v52, -v64
	v_add_f32_e32 v68, v68, v63
	v_add_f32_e32 v19, v19, v62
	v_fmac_f32_e32 v73, v7, v50
	v_fmac_f32_e32 v74, v7, v52
	s_waitcnt lgkmcnt(2)
	v_mul_f32_e32 v75, v55, v51
	v_mul_f32_e32 v7, v54, v51
	v_add_f32_e32 v6, v69, v6
	v_mul_f32_e32 v69, v55, v53
	v_add_f32_e32 v67, v67, v73
	v_fma_f32 v51, v54, v50, -v75
	v_fmac_f32_e32 v7, v55, v50
	v_mul_f32_e32 v73, v54, v53
	v_fma_f32 v50, v54, v52, -v69
	ds_read_b128 v[62:65], v38 offset:4336
	v_add_f32_e32 v71, v71, v51
	s_waitcnt lgkmcnt(2)
	v_mul_f32_e32 v51, v9, v3
	v_add_f32_e32 v7, v66, v7
	v_fmac_f32_e32 v73, v55, v52
	v_mul_f32_e32 v54, v8, v3
	v_add_f32_e32 v55, v72, v50
	v_fma_f32 v66, v8, v2, -v51
	ds_read2_b64 v[50:53], v49 offset0:192 offset1:208
	v_mul_f32_e32 v69, v9, v5
	v_fmac_f32_e32 v54, v9, v2
	v_add_f32_e32 v70, v70, v74
	v_add_f32_e32 v66, v68, v66
	v_mul_f32_e32 v68, v8, v5
	v_fma_f32 v8, v8, v4, -v69
	v_add_f32_e32 v54, v67, v54
	v_mul_f32_e32 v67, v57, v3
	v_mul_f32_e32 v3, v56, v3
	v_fmac_f32_e32 v68, v9, v4
	v_add_f32_e32 v6, v6, v8
	v_mul_f32_e32 v8, v57, v5
	v_fma_f32 v9, v56, v2, -v67
	v_fmac_f32_e32 v3, v57, v2
	v_add_f32_e32 v67, v70, v68
	v_mul_f32_e32 v68, v56, v5
	v_fma_f32 v2, v56, v4, -v8
	v_add_f32_e32 v8, v71, v9
	v_add_f32_e32 v7, v7, v3
	s_waitcnt lgkmcnt(0)
	v_mul_f32_e32 v9, v59, v51
	v_fmac_f32_e32 v68, v57, v4
	v_add_f32_e32 v55, v55, v2
	ds_read2_b64 v[2:5], v49 offset0:224 offset1:240
	v_mul_f32_e32 v56, v58, v51
	v_fma_f32 v9, v58, v50, -v9
	v_mul_f32_e32 v57, v59, v53
	v_add_f32_e32 v19, v19, v73
	s_sub_i32 s6, s18, 32
	v_fmac_f32_e32 v56, v59, v50
	v_add_f32_e32 v9, v66, v9
	v_mul_f32_e32 v66, v63, v51
	v_fma_f32 v57, v58, v52, -v57
	v_mul_f32_e32 v51, v62, v51
	v_add_f32_e32 v54, v54, v56
	v_add_f32_e32 v19, v19, v68
	v_fma_f32 v56, v62, v50, -v66
	v_mul_f32_e32 v68, v58, v53
	v_add_f32_e32 v6, v6, v57
	v_mul_f32_e32 v57, v63, v53
	v_fmac_f32_e32 v51, v63, v50
	v_add_f32_e32 v8, v8, v56
	v_mul_f32_e32 v50, v62, v53
	s_waitcnt lgkmcnt(0)
	v_mul_f32_e32 v56, v61, v3
	v_fmac_f32_e32 v68, v59, v52
	v_fma_f32 v53, v62, v52, -v57
	v_add_f32_e32 v7, v7, v51
	v_fmac_f32_e32 v50, v63, v52
	v_fma_f32 v51, v60, v2, -v56
	v_mul_f32_e32 v52, v61, v5
	v_mul_f32_e32 v57, v60, v3
	v_add_f32_e32 v59, v55, v53
	v_mul_f32_e32 v62, v60, v5
	v_add_f32_e32 v19, v19, v50
	v_add_f32_e32 v55, v9, v51
	v_fma_f32 v9, v60, v4, -v52
	v_mul_f32_e32 v50, v65, v3
	v_mul_f32_e32 v3, v64, v3
	v_mul_f32_e32 v51, v65, v5
	v_mul_f32_e32 v5, v64, v5
	v_add_f32_e32 v58, v67, v68
	v_fmac_f32_e32 v57, v61, v2
	v_fmac_f32_e32 v62, v61, v4
	v_add_f32_e32 v53, v6, v9
	v_fma_f32 v6, v64, v2, -v50
	v_fmac_f32_e32 v3, v65, v2
	v_fma_f32 v2, v64, v4, -v51
	v_fmac_f32_e32 v5, v65, v4
	v_add_f32_e32 v56, v54, v57
	v_add_f32_e32 v54, v58, v62
	;; [unrolled: 1-line block ×6, first 2 shown]
	s_cmp_ge_i32 s6, s25
	s_barrier
	buffer_gl0_inv
	s_cbranch_scc1 .LBB87_55
.LBB87_7:                               ;   Parent Loop BB87_4 Depth=1
                                        ; =>  This Inner Loop Header: Depth=2
	v_add_co_u32 v2, s5, v0, s18
	v_add_co_ci_u32_e64 v3, null, 0, s19, s5
	v_cmp_eq_u64_e64 s8, s[18:19], v[30:31]
	v_cmp_gt_i64_e64 s5, v[2:3], v[22:23]
	v_cmp_le_i64_e64 s6, s[34:35], v[2:3]
	s_and_b32 s36, s28, s8
	v_add_co_u32 v4, s8, v24, v39
	s_or_b32 s9, s3, s5
	v_add_co_ci_u32_e64 v5, null, 0, v25, s8
	s_or_b32 s8, s9, s36
	s_nor_b32 s8, s6, s8
	s_and_saveexec_b32 s9, s8
	s_xor_b32 s8, exec_lo, s9
	s_cbranch_execz .LBB87_9
; %bb.8:                                ;   in Loop: Header=BB87_7 Depth=2
	global_load_dwordx2 v[6:7], v[4:5], off
	s_waitcnt vmcnt(0)
	ds_write_b64 v40, v[6:7]
.LBB87_9:                               ;   in Loop: Header=BB87_7 Depth=2
	s_or_saveexec_b32 s8, s8
	s_xor_b32 s29, s36, -1
	s_xor_b32 exec_lo, exec_lo, s8
	s_cbranch_execz .LBB87_15
; %bb.10:                               ;   in Loop: Header=BB87_7 Depth=2
	s_and_saveexec_b32 s9, s29
	s_xor_b32 s9, exec_lo, s9
; %bb.11:                               ;   in Loop: Header=BB87_7 Depth=2
	v_mov_b32_e32 v6, v11
	v_mov_b32_e32 v7, v11
	ds_write_b64 v40, v[6:7]
; %bb.12:                               ;   in Loop: Header=BB87_7 Depth=2
	s_andn2_saveexec_b32 s9, s9
; %bb.13:                               ;   in Loop: Header=BB87_7 Depth=2
	ds_write_b64 v40, v[10:11]
; %bb.14:                               ;   in Loop: Header=BB87_7 Depth=2
	s_or_b32 exec_lo, exec_lo, s9
.LBB87_15:                              ;   in Loop: Header=BB87_7 Depth=2
	s_or_b32 exec_lo, exec_lo, s8
	v_add_co_u32 v6, s8, v2, 16
	v_add_co_ci_u32_e64 v7, null, 0, v3, s8
	v_cmp_eq_u64_e64 s9, s[18:19], v[34:35]
	v_cmp_gt_i64_e64 s10, v[6:7], v[22:23]
	v_cmp_le_i64_e64 s8, s[34:35], v[6:7]
	s_and_b32 s37, s28, s9
	s_or_b32 s9, s3, s10
	s_or_b32 s9, s9, s37
	s_nor_b32 s9, s8, s9
	s_and_saveexec_b32 s10, s9
	s_xor_b32 s9, exec_lo, s10
	s_cbranch_execz .LBB87_17
; %bb.16:                               ;   in Loop: Header=BB87_7 Depth=2
	global_load_dwordx2 v[4:5], v[4:5], off offset:128
	s_waitcnt vmcnt(0)
	ds_write_b64 v40, v[4:5] offset:128
.LBB87_17:                              ;   in Loop: Header=BB87_7 Depth=2
	s_andn2_saveexec_b32 s9, s9
	s_cbranch_execz .LBB87_23
; %bb.18:                               ;   in Loop: Header=BB87_7 Depth=2
	s_xor_b32 s10, s37, -1
	s_and_saveexec_b32 s37, s10
	s_xor_b32 s10, exec_lo, s37
; %bb.19:                               ;   in Loop: Header=BB87_7 Depth=2
	v_mov_b32_e32 v4, v11
	v_mov_b32_e32 v5, v11
	ds_write_b64 v40, v[4:5] offset:128
; %bb.20:                               ;   in Loop: Header=BB87_7 Depth=2
	s_andn2_saveexec_b32 s10, s10
; %bb.21:                               ;   in Loop: Header=BB87_7 Depth=2
	ds_write_b64 v40, v[10:11] offset:128
; %bb.22:                               ;   in Loop: Header=BB87_7 Depth=2
	s_or_b32 exec_lo, exec_lo, s10
.LBB87_23:                              ;   in Loop: Header=BB87_7 Depth=2
	s_or_b32 exec_lo, exec_lo, s9
	v_cmp_eq_u64_e64 s9, s[18:19], v[32:33]
	v_cmp_gt_i64_e64 s10, v[2:3], v[28:29]
	s_and_b32 s37, s28, s9
	v_add_co_u32 v2, s9, v26, v39
	s_or_b32 s10, s4, s10
	v_add_co_ci_u32_e64 v3, null, 0, v27, s9
	s_or_b32 s9, s10, s37
	s_nor_b32 s6, s6, s9
	s_and_saveexec_b32 s9, s6
	s_xor_b32 s6, exec_lo, s9
	s_cbranch_execz .LBB87_25
; %bb.24:                               ;   in Loop: Header=BB87_7 Depth=2
	global_load_dwordx2 v[4:5], v[2:3], off
	s_waitcnt vmcnt(0)
	ds_write_b64 v40, v[4:5] offset:4096
.LBB87_25:                              ;   in Loop: Header=BB87_7 Depth=2
	s_andn2_saveexec_b32 s6, s6
	s_cbranch_execz .LBB87_31
; %bb.26:                               ;   in Loop: Header=BB87_7 Depth=2
	s_xor_b32 s9, s37, -1
	s_and_saveexec_b32 s10, s9
	s_xor_b32 s9, exec_lo, s10
; %bb.27:                               ;   in Loop: Header=BB87_7 Depth=2
	v_mov_b32_e32 v4, v11
	v_mov_b32_e32 v5, v11
	ds_write_b64 v40, v[4:5] offset:4096
; %bb.28:                               ;   in Loop: Header=BB87_7 Depth=2
	s_andn2_saveexec_b32 s9, s9
; %bb.29:                               ;   in Loop: Header=BB87_7 Depth=2
	ds_write_b64 v40, v[10:11] offset:4096
; %bb.30:                               ;   in Loop: Header=BB87_7 Depth=2
	s_or_b32 exec_lo, exec_lo, s9
.LBB87_31:                              ;   in Loop: Header=BB87_7 Depth=2
	s_or_b32 exec_lo, exec_lo, s6
	s_or_b32 s5, s4, s5
	s_or_b32 s5, s5, s36
	s_nor_b32 s5, s8, s5
	s_and_saveexec_b32 s6, s5
	s_xor_b32 s5, exec_lo, s6
	s_cbranch_execz .LBB87_33
; %bb.32:                               ;   in Loop: Header=BB87_7 Depth=2
	global_load_dwordx2 v[2:3], v[2:3], off offset:128
	s_waitcnt vmcnt(0)
	ds_write_b64 v40, v[2:3] offset:4224
.LBB87_33:                              ;   in Loop: Header=BB87_7 Depth=2
	s_andn2_saveexec_b32 s5, s5
	s_cbranch_execz .LBB87_39
; %bb.34:                               ;   in Loop: Header=BB87_7 Depth=2
	s_and_saveexec_b32 s6, s29
	s_xor_b32 s6, exec_lo, s6
; %bb.35:                               ;   in Loop: Header=BB87_7 Depth=2
	v_mov_b32_e32 v2, v11
	v_mov_b32_e32 v3, v11
	ds_write_b64 v40, v[2:3] offset:4224
; %bb.36:                               ;   in Loop: Header=BB87_7 Depth=2
	s_andn2_saveexec_b32 s6, s6
; %bb.37:                               ;   in Loop: Header=BB87_7 Depth=2
	ds_write_b64 v40, v[10:11] offset:4224
; %bb.38:                               ;   in Loop: Header=BB87_7 Depth=2
	s_or_b32 exec_lo, exec_lo, s6
.LBB87_39:                              ;   in Loop: Header=BB87_7 Depth=2
	s_or_b32 exec_lo, exec_lo, s5
	v_add_co_u32 v2, s5, v1, s18
	v_add_co_ci_u32_e64 v3, null, 0, s19, s5
	v_add_co_u32 v4, s6, v36, v17
	v_add_co_ci_u32_e64 v5, null, v37, v45, s6
	v_cmp_le_i64_e64 s5, s[34:35], v[2:3]
	s_nor_b32 s6, s5, vcc_lo
	s_and_saveexec_b32 s8, s6
	s_xor_b32 s6, exec_lo, s8
	s_cbranch_execz .LBB87_41
; %bb.40:                               ;   in Loop: Header=BB87_7 Depth=2
	global_load_dwordx2 v[6:7], v[4:5], off offset:-128
	s_waitcnt vmcnt(0)
	ds_write_b64 v42, v[6:7]
.LBB87_41:                              ;   in Loop: Header=BB87_7 Depth=2
	s_andn2_saveexec_b32 s6, s6
; %bb.42:                               ;   in Loop: Header=BB87_7 Depth=2
	v_mov_b32_e32 v6, v11
	v_mov_b32_e32 v7, v11
	ds_write_b64 v42, v[6:7]
; %bb.43:                               ;   in Loop: Header=BB87_7 Depth=2
	s_or_b32 exec_lo, exec_lo, s6
	s_nor_b32 s5, s5, s0
	s_and_saveexec_b32 s6, s5
	s_xor_b32 s5, exec_lo, s6
	s_cbranch_execz .LBB87_45
; %bb.44:                               ;   in Loop: Header=BB87_7 Depth=2
	global_load_dwordx2 v[4:5], v[4:5], off
	s_waitcnt vmcnt(0)
	ds_write_b64 v42, v[4:5] offset:128
.LBB87_45:                              ;   in Loop: Header=BB87_7 Depth=2
	s_andn2_saveexec_b32 s5, s5
; %bb.46:                               ;   in Loop: Header=BB87_7 Depth=2
	v_mov_b32_e32 v4, v11
	v_mov_b32_e32 v5, v11
	ds_write_b64 v42, v[4:5] offset:128
; %bb.47:                               ;   in Loop: Header=BB87_7 Depth=2
	s_or_b32 exec_lo, exec_lo, s5
	v_cmp_le_i64_e64 s5, s[22:23], v[2:3]
	v_add_co_u32 v2, s6, v36, v16
	v_add_co_ci_u32_e64 v3, null, v37, v46, s6
	s_nor_b32 s6, s5, vcc_lo
	s_and_saveexec_b32 s8, s6
	s_xor_b32 s6, exec_lo, s8
	s_cbranch_execz .LBB87_49
; %bb.48:                               ;   in Loop: Header=BB87_7 Depth=2
	global_load_dwordx2 v[4:5], v[2:3], off
	s_waitcnt vmcnt(0)
	ds_write_b64 v42, v[4:5] offset:4096
.LBB87_49:                              ;   in Loop: Header=BB87_7 Depth=2
	s_andn2_saveexec_b32 s6, s6
; %bb.50:                               ;   in Loop: Header=BB87_7 Depth=2
	v_mov_b32_e32 v4, v11
	v_mov_b32_e32 v5, v11
	ds_write_b64 v42, v[4:5] offset:4096
; %bb.51:                               ;   in Loop: Header=BB87_7 Depth=2
	s_or_b32 exec_lo, exec_lo, s6
	s_nor_b32 s5, s5, s0
	s_and_saveexec_b32 s6, s5
	s_xor_b32 s5, exec_lo, s6
	s_cbranch_execz .LBB87_53
; %bb.52:                               ;   in Loop: Header=BB87_7 Depth=2
	global_load_dwordx2 v[2:3], v[2:3], off offset:128
	s_waitcnt vmcnt(0)
	ds_write_b64 v42, v[2:3] offset:4224
.LBB87_53:                              ;   in Loop: Header=BB87_7 Depth=2
	s_andn2_saveexec_b32 s5, s5
	s_cbranch_execz .LBB87_6
; %bb.54:                               ;   in Loop: Header=BB87_7 Depth=2
	v_mov_b32_e32 v2, v11
	v_mov_b32_e32 v3, v11
	ds_write_b64 v42, v[2:3] offset:4224
	s_branch .LBB87_6
.LBB87_55:                              ;   in Loop: Header=BB87_4 Depth=1
	v_mul_lo_u32 v4, s41, v22
	v_mul_lo_u32 v5, s40, v23
	v_mad_u64_u32 v[2:3], null, s40, v22, 0
	v_cmp_gt_i32_e64 s3, s30, v22
	v_add3_u32 v3, v3, v5, v4
	v_lshlrev_b64 v[2:3], 3, v[2:3]
	v_add_co_u32 v2, s4, s26, v2
	v_add_co_ci_u32_e64 v3, null, s27, v3, s4
	s_and_b32 s4, s1, s3
	s_and_saveexec_b32 s5, s4
	s_cbranch_execz .LBB87_57
; %bb.56:                               ;   in Loop: Header=BB87_4 Depth=1
	v_add_co_u32 v4, s4, v2, v12
	v_add_co_ci_u32_e64 v5, null, v3, v13, s4
	v_mul_f32_e32 v8, s11, v56
	v_mul_f32_e32 v9, s31, v56
	global_load_dwordx2 v[6:7], v[4:5], off
	v_fma_f32 v8, v55, s31, -v8
	v_fmac_f32_e32 v9, s11, v55
	s_waitcnt vmcnt(0)
	v_add_f32_e32 v6, v6, v8
	v_add_f32_e32 v7, v9, v7
	global_store_dwordx2 v[4:5], v[6:7], off
.LBB87_57:                              ;   in Loop: Header=BB87_4 Depth=1
	s_or_b32 exec_lo, exec_lo, s5
	s_and_b32 s3, s2, s3
	s_and_saveexec_b32 s4, s3
	s_cbranch_execz .LBB87_59
; %bb.58:                               ;   in Loop: Header=BB87_4 Depth=1
	v_add_co_u32 v2, s3, v2, v20
	v_add_co_ci_u32_e64 v3, null, v3, v21, s3
	v_mul_f32_e32 v6, s11, v54
	v_mul_f32_e32 v7, s31, v54
	global_load_dwordx2 v[4:5], v[2:3], off
	v_fma_f32 v6, v53, s31, -v6
	v_fmac_f32_e32 v7, s11, v53
	s_waitcnt vmcnt(0)
	v_add_f32_e32 v4, v4, v6
	v_add_f32_e32 v5, v7, v5
	global_store_dwordx2 v[2:3], v[4:5], off
.LBB87_59:                              ;   in Loop: Header=BB87_4 Depth=1
	s_or_b32 exec_lo, exec_lo, s4
	v_add_nc_u32_e32 v4, 16, v22
	v_ashrrev_i32_e32 v5, 31, v4
	v_mul_lo_u32 v6, s41, v4
	v_mad_u64_u32 v[2:3], null, s40, v4, 0
	v_cmp_gt_i32_e64 s3, s30, v4
	v_mul_lo_u32 v5, s40, v5
	v_add3_u32 v3, v3, v5, v6
	v_lshlrev_b64 v[2:3], 3, v[2:3]
	v_add_co_u32 v2, s4, s26, v2
	v_add_co_ci_u32_e64 v3, null, s27, v3, s4
	s_and_b32 s4, s1, s3
	s_and_saveexec_b32 s5, s4
	s_cbranch_execz .LBB87_61
; %bb.60:                               ;   in Loop: Header=BB87_4 Depth=1
	v_add_co_u32 v4, s4, v2, v12
	v_add_co_ci_u32_e64 v5, null, v3, v13, s4
	v_mul_f32_e32 v8, s11, v52
	v_mul_f32_e32 v9, s31, v52
	global_load_dwordx2 v[6:7], v[4:5], off
	v_fma_f32 v8, v51, s31, -v8
	v_fmac_f32_e32 v9, s11, v51
	s_waitcnt vmcnt(0)
	v_add_f32_e32 v6, v6, v8
	v_add_f32_e32 v7, v9, v7
	global_store_dwordx2 v[4:5], v[6:7], off
.LBB87_61:                              ;   in Loop: Header=BB87_4 Depth=1
	s_or_b32 exec_lo, exec_lo, s5
	s_and_b32 s3, s2, s3
	s_and_saveexec_b32 s4, s3
	s_cbranch_execz .LBB87_3
; %bb.62:                               ;   in Loop: Header=BB87_4 Depth=1
	v_add_co_u32 v2, s3, v2, v20
	v_add_co_ci_u32_e64 v3, null, v3, v21, s3
	v_mul_f32_e32 v6, s11, v19
	v_mul_f32_e32 v7, s31, v19
	global_load_dwordx2 v[4:5], v[2:3], off
	v_fma_f32 v6, v50, s31, -v6
	v_fmac_f32_e32 v7, s11, v50
	s_waitcnt vmcnt(0)
	v_add_f32_e32 v4, v4, v6
	v_add_f32_e32 v5, v7, v5
	global_store_dwordx2 v[2:3], v[4:5], off
	s_branch .LBB87_3
.LBB87_63:
	s_endpgm
	.section	.rodata,"a",@progbits
	.p2align	6, 0x0
	.amdhsa_kernel _ZL30rocblas_trmm_outofplace_kernelI19rocblas_complex_numIfELi32ELi2ELb0ELb1ELb0ELb0ES1_KS1_S1_Ev17rocblas_diagonal_iiT6_lPT7_lllS6_lllPT8_llli
		.amdhsa_group_segment_fixed_size 16384
		.amdhsa_private_segment_fixed_size 0
		.amdhsa_kernarg_size 392
		.amdhsa_user_sgpr_count 6
		.amdhsa_user_sgpr_private_segment_buffer 1
		.amdhsa_user_sgpr_dispatch_ptr 0
		.amdhsa_user_sgpr_queue_ptr 0
		.amdhsa_user_sgpr_kernarg_segment_ptr 1
		.amdhsa_user_sgpr_dispatch_id 0
		.amdhsa_user_sgpr_flat_scratch_init 0
		.amdhsa_user_sgpr_private_segment_size 0
		.amdhsa_wavefront_size32 1
		.amdhsa_uses_dynamic_stack 0
		.amdhsa_system_sgpr_private_segment_wavefront_offset 0
		.amdhsa_system_sgpr_workgroup_id_x 1
		.amdhsa_system_sgpr_workgroup_id_y 1
		.amdhsa_system_sgpr_workgroup_id_z 1
		.amdhsa_system_sgpr_workgroup_info 0
		.amdhsa_system_vgpr_workitem_id 1
		.amdhsa_next_free_vgpr 87
		.amdhsa_next_free_sgpr 45
		.amdhsa_reserve_vcc 1
		.amdhsa_reserve_flat_scratch 0
		.amdhsa_float_round_mode_32 0
		.amdhsa_float_round_mode_16_64 0
		.amdhsa_float_denorm_mode_32 3
		.amdhsa_float_denorm_mode_16_64 3
		.amdhsa_dx10_clamp 1
		.amdhsa_ieee_mode 1
		.amdhsa_fp16_overflow 0
		.amdhsa_workgroup_processor_mode 1
		.amdhsa_memory_ordered 1
		.amdhsa_forward_progress 1
		.amdhsa_shared_vgpr_count 0
		.amdhsa_exception_fp_ieee_invalid_op 0
		.amdhsa_exception_fp_denorm_src 0
		.amdhsa_exception_fp_ieee_div_zero 0
		.amdhsa_exception_fp_ieee_overflow 0
		.amdhsa_exception_fp_ieee_underflow 0
		.amdhsa_exception_fp_ieee_inexact 0
		.amdhsa_exception_int_div_zero 0
	.end_amdhsa_kernel
	.section	.text._ZL30rocblas_trmm_outofplace_kernelI19rocblas_complex_numIfELi32ELi2ELb0ELb1ELb0ELb0ES1_KS1_S1_Ev17rocblas_diagonal_iiT6_lPT7_lllS6_lllPT8_llli,"axG",@progbits,_ZL30rocblas_trmm_outofplace_kernelI19rocblas_complex_numIfELi32ELi2ELb0ELb1ELb0ELb0ES1_KS1_S1_Ev17rocblas_diagonal_iiT6_lPT7_lllS6_lllPT8_llli,comdat
.Lfunc_end87:
	.size	_ZL30rocblas_trmm_outofplace_kernelI19rocblas_complex_numIfELi32ELi2ELb0ELb1ELb0ELb0ES1_KS1_S1_Ev17rocblas_diagonal_iiT6_lPT7_lllS6_lllPT8_llli, .Lfunc_end87-_ZL30rocblas_trmm_outofplace_kernelI19rocblas_complex_numIfELi32ELi2ELb0ELb1ELb0ELb0ES1_KS1_S1_Ev17rocblas_diagonal_iiT6_lPT7_lllS6_lllPT8_llli
                                        ; -- End function
	.set _ZL30rocblas_trmm_outofplace_kernelI19rocblas_complex_numIfELi32ELi2ELb0ELb1ELb0ELb0ES1_KS1_S1_Ev17rocblas_diagonal_iiT6_lPT7_lllS6_lllPT8_llli.num_vgpr, 87
	.set _ZL30rocblas_trmm_outofplace_kernelI19rocblas_complex_numIfELi32ELi2ELb0ELb1ELb0ELb0ES1_KS1_S1_Ev17rocblas_diagonal_iiT6_lPT7_lllS6_lllPT8_llli.num_agpr, 0
	.set _ZL30rocblas_trmm_outofplace_kernelI19rocblas_complex_numIfELi32ELi2ELb0ELb1ELb0ELb0ES1_KS1_S1_Ev17rocblas_diagonal_iiT6_lPT7_lllS6_lllPT8_llli.numbered_sgpr, 45
	.set _ZL30rocblas_trmm_outofplace_kernelI19rocblas_complex_numIfELi32ELi2ELb0ELb1ELb0ELb0ES1_KS1_S1_Ev17rocblas_diagonal_iiT6_lPT7_lllS6_lllPT8_llli.num_named_barrier, 0
	.set _ZL30rocblas_trmm_outofplace_kernelI19rocblas_complex_numIfELi32ELi2ELb0ELb1ELb0ELb0ES1_KS1_S1_Ev17rocblas_diagonal_iiT6_lPT7_lllS6_lllPT8_llli.private_seg_size, 0
	.set _ZL30rocblas_trmm_outofplace_kernelI19rocblas_complex_numIfELi32ELi2ELb0ELb1ELb0ELb0ES1_KS1_S1_Ev17rocblas_diagonal_iiT6_lPT7_lllS6_lllPT8_llli.uses_vcc, 1
	.set _ZL30rocblas_trmm_outofplace_kernelI19rocblas_complex_numIfELi32ELi2ELb0ELb1ELb0ELb0ES1_KS1_S1_Ev17rocblas_diagonal_iiT6_lPT7_lllS6_lllPT8_llli.uses_flat_scratch, 0
	.set _ZL30rocblas_trmm_outofplace_kernelI19rocblas_complex_numIfELi32ELi2ELb0ELb1ELb0ELb0ES1_KS1_S1_Ev17rocblas_diagonal_iiT6_lPT7_lllS6_lllPT8_llli.has_dyn_sized_stack, 0
	.set _ZL30rocblas_trmm_outofplace_kernelI19rocblas_complex_numIfELi32ELi2ELb0ELb1ELb0ELb0ES1_KS1_S1_Ev17rocblas_diagonal_iiT6_lPT7_lllS6_lllPT8_llli.has_recursion, 0
	.set _ZL30rocblas_trmm_outofplace_kernelI19rocblas_complex_numIfELi32ELi2ELb0ELb1ELb0ELb0ES1_KS1_S1_Ev17rocblas_diagonal_iiT6_lPT7_lllS6_lllPT8_llli.has_indirect_call, 0
	.section	.AMDGPU.csdata,"",@progbits
; Kernel info:
; codeLenInByte = 6512
; TotalNumSgprs: 47
; NumVgprs: 87
; ScratchSize: 0
; MemoryBound: 1
; FloatMode: 240
; IeeeMode: 1
; LDSByteSize: 16384 bytes/workgroup (compile time only)
; SGPRBlocks: 0
; VGPRBlocks: 10
; NumSGPRsForWavesPerEU: 47
; NumVGPRsForWavesPerEU: 87
; Occupancy: 10
; WaveLimiterHint : 0
; COMPUTE_PGM_RSRC2:SCRATCH_EN: 0
; COMPUTE_PGM_RSRC2:USER_SGPR: 6
; COMPUTE_PGM_RSRC2:TRAP_HANDLER: 0
; COMPUTE_PGM_RSRC2:TGID_X_EN: 1
; COMPUTE_PGM_RSRC2:TGID_Y_EN: 1
; COMPUTE_PGM_RSRC2:TGID_Z_EN: 1
; COMPUTE_PGM_RSRC2:TIDIG_COMP_CNT: 1
	.section	.text._ZL30rocblas_trmm_outofplace_kernelI19rocblas_complex_numIfELi32ELi2ELb0ELb0ELb1ELb0EPKS1_S2_S1_Ev17rocblas_diagonal_iiT6_lPT7_lllS7_lllPT8_llli,"axG",@progbits,_ZL30rocblas_trmm_outofplace_kernelI19rocblas_complex_numIfELi32ELi2ELb0ELb0ELb1ELb0EPKS1_S2_S1_Ev17rocblas_diagonal_iiT6_lPT7_lllS7_lllPT8_llli,comdat
	.globl	_ZL30rocblas_trmm_outofplace_kernelI19rocblas_complex_numIfELi32ELi2ELb0ELb0ELb1ELb0EPKS1_S2_S1_Ev17rocblas_diagonal_iiT6_lPT7_lllS7_lllPT8_llli ; -- Begin function _ZL30rocblas_trmm_outofplace_kernelI19rocblas_complex_numIfELi32ELi2ELb0ELb0ELb1ELb0EPKS1_S2_S1_Ev17rocblas_diagonal_iiT6_lPT7_lllS7_lllPT8_llli
	.p2align	8
	.type	_ZL30rocblas_trmm_outofplace_kernelI19rocblas_complex_numIfELi32ELi2ELb0ELb0ELb1ELb0EPKS1_S2_S1_Ev17rocblas_diagonal_iiT6_lPT7_lllS7_lllPT8_llli,@function
_ZL30rocblas_trmm_outofplace_kernelI19rocblas_complex_numIfELi32ELi2ELb0ELb0ELb1ELb0EPKS1_S2_S1_Ev17rocblas_diagonal_iiT6_lPT7_lllS7_lllPT8_llli: ; @_ZL30rocblas_trmm_outofplace_kernelI19rocblas_complex_numIfELi32ELi2ELb0ELb0ELb1ELb0EPKS1_S2_S1_Ev17rocblas_diagonal_iiT6_lPT7_lllS7_lllPT8_llli
; %bb.0:
	s_load_dwordx16 s[12:27], s[4:5], 0x10
	s_waitcnt lgkmcnt(0)
	s_mul_i32 s0, s15, s8
	s_mul_hi_u32 s1, s14, s8
	s_add_i32 s1, s1, s0
	s_mul_i32 s0, s14, s8
	s_lshl_b64 s[0:1], s[0:1], 3
	s_add_u32 s0, s12, s0
	s_addc_u32 s1, s13, s1
	s_load_dwordx2 s[34:35], s[0:1], 0x0
	s_waitcnt lgkmcnt(0)
	s_or_b32 s0, s34, s35
	s_bitset0_b32 s0, 31
	s_cmp_eq_u32 s0, 0
	s_cbranch_scc1 .LBB88_63
; %bb.1:
	s_load_dwordx4 s[12:15], s[4:5], 0x0
	s_waitcnt lgkmcnt(0)
	s_add_i32 s0, s14, -1
	s_ashr_i32 s1, s0, 31
	s_lshr_b32 s1, s1, 27
	s_add_i32 s0, s0, s1
	s_ashr_i32 s11, s0, 5
	s_cmp_gt_i32 s7, s11
	s_cbranch_scc1 .LBB88_63
; %bb.2:
	s_clause 0x1
	s_load_dwordx8 s[36:43], s[4:5], 0x50
	s_load_dwordx4 s[28:31], s[4:5], 0x70
	s_mul_i32 s1, s23, s8
	s_mul_hi_u32 s2, s22, s8
	v_mad_u64_u32 v[2:3], null, s20, v0, 0
	s_mul_i32 s0, s22, s8
	s_add_i32 s1, s2, s1
	s_load_dword s33, s[4:5], 0x8c
	s_lshl_b64 s[0:1], s[0:1], 3
	v_lshlrev_b32_e32 v10, 3, v0
	s_add_u32 s9, s16, s0
	s_addc_u32 s10, s17, s1
	s_lshl_b64 s[2:3], s[18:19], 3
	v_mad_u64_u32 v[3:4], null, s21, v0, v[3:4]
	s_add_u32 s15, s9, s2
	s_addc_u32 s10, s10, s3
	v_lshl_add_u32 v4, s6, 5, v0
	v_lshlrev_b32_e32 v43, 8, v1
	s_waitcnt lgkmcnt(0)
	s_mul_i32 s5, s39, s8
	s_mul_hi_u32 s9, s38, s8
	s_mul_i32 s4, s38, s8
	s_add_i32 s5, s9, s5
	v_lshlrev_b64 v[2:3], 3, v[2:3]
	s_lshl_b64 s[4:5], s[4:5], 3
	s_mul_i32 s9, s31, s8
	s_add_u32 s19, s24, s4
	s_addc_u32 s22, s25, s5
	s_lshl_b64 s[4:5], s[26:27], 3
	s_mul_hi_u32 s18, s30, s8
	v_ashrrev_i32_e32 v5, 31, v4
	s_add_u32 s19, s19, s4
	s_mul_i32 s8, s30, s8
	s_addc_u32 s22, s22, s5
	s_add_i32 s9, s18, s9
	v_lshlrev_b64 v[12:13], 3, v[4:5]
	s_lshl_b64 s[4:5], s[8:9], 3
	v_add_co_u32 v14, vcc_lo, s15, v2
	s_add_u32 s6, s40, s4
	s_addc_u32 s8, s41, s5
	s_lshl_b64 s[4:5], s[42:43], 3
	v_add_co_ci_u32_e64 v15, null, s10, v3, vcc_lo
	v_mad_u64_u32 v[2:3], null, s36, v1, 0
	s_add_u32 s26, s6, s4
	s_addc_u32 s27, s8, s5
	s_cmpk_eq_i32 s12, 0x84
	v_add_co_u32 v16, vcc_lo, s19, v12
	v_add_co_ci_u32_e64 v17, null, s22, v13, vcc_lo
	s_cselect_b32 s30, -1, 0
	s_ashr_i32 s15, s14, 31
	s_ashr_i32 s4, s13, 31
	s_lshl_b64 s[18:19], s[20:21], 8
	s_lshl_b64 s[22:23], s[36:37], 8
	s_add_u32 s24, s14, -16
	s_addc_u32 s25, s15, -1
	s_lshl_b32 s31, s33, 5
	v_mad_u64_u32 v[8:9], null, s37, v1, v[3:4]
	v_add_nc_u32_e32 v9, 0x80, v10
	s_add_u32 s2, s16, s2
	s_addc_u32 s3, s17, s3
	s_add_u32 s0, s2, s0
	s_addc_u32 s1, s3, s1
	v_add_nc_u32_e32 v44, v43, v10
	v_mad_u64_u32 v[18:19], null, s20, v9, s[0:1]
	v_or_b32_e32 v45, 0x2000, v10
	v_lshl_add_u32 v10, v1, 3, 0x80
	v_sub_co_u32 v6, vcc_lo, s13, v4
	v_sub_co_ci_u32_e64 v7, null, s4, v5, vcc_lo
	v_add_nc_u32_e32 v5, 16, v4
	v_mad_u64_u32 v[20:21], null, s36, v10, 0
	v_cmp_gt_i32_e64 s1, s13, v4
	v_mov_b32_e32 v4, v19
	v_mov_b32_e32 v3, v8
	v_cmp_gt_i64_e32 vcc_lo, 1, v[6:7]
	v_cmp_gt_i64_e64 s0, 17, v[6:7]
	v_ashrrev_i32_e32 v6, 31, v5
	v_mad_u64_u32 v[8:9], null, s21, v9, v[4:5]
	v_mov_b32_e32 v7, v21
	v_lshlrev_b64 v[2:3], 3, v[2:3]
	v_sub_co_u32 v47, s3, 0, v0
	v_sub_co_ci_u32_e64 v48, null, 0, 0, s3
	v_mad_u64_u32 v[9:10], null, s37, v10, v[7:8]
	v_add_co_u32 v49, s3, 0x80, v2
	v_lshlrev_b64 v[23:24], 3, v[5:6]
	v_mov_b32_e32 v11, 0
	v_add_nc_u32_e32 v46, v45, v43
	v_cmp_gt_i32_e64 s2, s13, v5
	v_lshl_add_u32 v21, s7, 5, v1
	v_add_co_ci_u32_e64 v50, null, 0, v3, s3
	v_mov_b32_e32 v19, v8
	v_mov_b32_e32 v51, v9
	v_mov_b32_e32 v10, 1.0
	v_add_nc_u32_e32 v52, 0x800, v45
	v_add_nc_u32_e32 v53, 0x1000, v45
	;; [unrolled: 1-line block ×3, first 2 shown]
	s_branch .LBB88_4
.LBB88_3:                               ;   in Loop: Header=BB88_4 Depth=1
	s_or_b32 exec_lo, exec_lo, s4
	v_add_nc_u32_e32 v21, s31, v21
	s_add_i32 s7, s33, s7
	s_cmp_le_i32 s7, s11
	s_cbranch_scc0 .LBB88_63
.LBB88_4:                               ; =>This Loop Header: Depth=1
                                        ;     Child Loop BB88_7 Depth 2
	s_lshl_b32 s16, s7, 5
	v_mov_b32_e32 v60, v11
	v_add_nc_u32_e32 v25, s16, v1
	v_mov_b32_e32 v61, v11
	v_mov_b32_e32 v58, v11
	;; [unrolled: 1-line block ×4, first 2 shown]
	v_ashrrev_i32_e32 v26, 31, v25
	v_mov_b32_e32 v57, v11
	v_mov_b32_e32 v55, v11
	;; [unrolled: 1-line block ×3, first 2 shown]
	s_cmp_lt_i32 s7, 0
	s_cbranch_scc1 .LBB88_55
; %bb.5:                                ;   in Loop: Header=BB88_4 Depth=1
	v_ashrrev_i32_e32 v22, 31, v21
	v_add_co_u32 v27, s3, v25, 16
	v_add_co_ci_u32_e64 v28, null, 0, v26, s3
	v_add_co_u32 v29, s3, v47, v21
	v_add_co_ci_u32_e64 v30, null, v48, v22, s3
	v_lshlrev_b64 v[31:32], 3, v[21:22]
	v_add_co_u32 v33, s5, v29, 16
	v_add_co_ci_u32_e64 v34, null, 0, v30, s5
	v_add_co_u32 v35, s5, v29, -16
	v_cmp_le_i64_e64 s4, s[14:15], v[27:28]
	v_mov_b32_e32 v38, v15
	v_mov_b32_e32 v40, v19
	;; [unrolled: 1-line block ×3, first 2 shown]
	v_cmp_le_i32_e64 s3, s14, v25
	v_add_co_ci_u32_e64 v36, null, -1, v30, s5
	v_mov_b32_e32 v22, 0
	v_mov_b32_e32 v37, v14
	;; [unrolled: 1-line block ×11, first 2 shown]
	s_mov_b64 s[12:13], 0
	s_branch .LBB88_7
.LBB88_6:                               ;   in Loop: Header=BB88_7 Depth=2
	s_or_b32 exec_lo, exec_lo, s5
	s_waitcnt lgkmcnt(0)
	s_barrier
	buffer_gl0_inv
	ds_read_b128 v[62:65], v43
	ds_read2_b64 v[66:69], v45 offset1:16
	ds_read_b128 v[70:73], v43 offset:4096
	ds_read_b128 v[74:77], v43 offset:16
	;; [unrolled: 1-line block ×4, first 2 shown]
	ds_read2_b64 v[78:81], v45 offset0:32 offset1:48
	ds_read_b128 v[82:85], v43 offset:4112
	v_add_co_u32 v41, s5, v41, s22
	v_add_co_ci_u32_e64 v42, null, s23, v42, s5
	v_add_co_u32 v39, s5, v39, s18
	v_add_co_ci_u32_e64 v40, null, s19, v40, s5
	v_add_co_u32 v37, s5, v37, s18
	s_add_u32 s12, s12, 32
	v_add_co_ci_u32_e64 v38, null, s19, v38, s5
	s_waitcnt lgkmcnt(6)
	v_mul_f32_e32 v86, v63, v67
	v_mul_f32_e32 v87, v62, v67
	;; [unrolled: 1-line block ×4, first 2 shown]
	s_waitcnt lgkmcnt(5)
	v_mul_f32_e32 v90, v71, v67
	v_mul_f32_e32 v67, v70, v67
	;; [unrolled: 1-line block ×3, first 2 shown]
	v_fma_f32 v86, v62, v66, -v86
	v_fmac_f32_e32 v87, v63, v66
	v_fma_f32 v62, v62, v68, -v88
	v_fmac_f32_e32 v89, v63, v68
	;; [unrolled: 2-line block ×3, first 2 shown]
	v_fma_f32 v66, v70, v68, -v91
	v_mul_f32_e32 v69, v70, v69
	v_add_f32_e32 v62, v58, v62
	v_add_f32_e32 v63, v56, v63
	;; [unrolled: 1-line block ×3, first 2 shown]
	s_waitcnt lgkmcnt(1)
	v_mul_f32_e32 v70, v65, v79
	v_add_f32_e32 v66, v55, v66
	ds_read2_b64 v[55:58], v45 offset0:64 offset1:80
	v_add_f32_e32 v60, v60, v86
	v_fmac_f32_e32 v69, v71, v68
	v_mul_f32_e32 v68, v64, v79
	v_fma_f32 v70, v64, v78, -v70
	v_mul_f32_e32 v71, v65, v81
	v_add_f32_e32 v61, v61, v87
	v_add_f32_e32 v22, v22, v69
	v_fmac_f32_e32 v68, v65, v78
	v_mul_f32_e32 v69, v64, v81
	v_add_f32_e32 v70, v60, v70
	v_fma_f32 v60, v64, v80, -v71
	v_mul_f32_e32 v64, v73, v79
	v_add_f32_e32 v59, v59, v89
	v_add_f32_e32 v68, v61, v68
	v_fmac_f32_e32 v69, v65, v80
	v_mul_f32_e32 v61, v72, v79
	v_add_f32_e32 v65, v62, v60
	v_fma_f32 v60, v72, v78, -v64
	v_mul_f32_e32 v62, v73, v81
	v_add_f32_e32 v64, v59, v69
	v_fmac_f32_e32 v61, v73, v78
	v_mul_f32_e32 v69, v72, v81
	v_add_f32_e32 v63, v63, v60
	v_fma_f32 v59, v72, v80, -v62
	s_waitcnt lgkmcnt(0)
	v_mul_f32_e32 v60, v75, v56
	v_add_f32_e32 v67, v67, v61
	v_fmac_f32_e32 v69, v73, v80
	v_mul_f32_e32 v71, v74, v56
	v_add_f32_e32 v66, v66, v59
	v_fma_f32 v72, v74, v55, -v60
	v_mul_f32_e32 v73, v75, v58
	ds_read2_b64 v[59:62], v45 offset0:96 offset1:112
	v_fmac_f32_e32 v71, v75, v55
	v_add_f32_e32 v22, v22, v69
	v_add_f32_e32 v69, v70, v72
	v_fma_f32 v72, v74, v57, -v73
	v_mul_f32_e32 v70, v74, v58
	v_add_f32_e32 v68, v68, v71
	v_mul_f32_e32 v71, v83, v56
	v_mul_f32_e32 v56, v82, v56
	v_add_f32_e32 v65, v65, v72
	v_mul_f32_e32 v72, v83, v58
	v_fmac_f32_e32 v70, v75, v57
	v_fma_f32 v71, v82, v55, -v71
	v_fmac_f32_e32 v56, v83, v55
	v_mul_f32_e32 v73, v82, v58
	v_fma_f32 v55, v82, v57, -v72
	v_add_f32_e32 v64, v64, v70
	v_add_f32_e32 v70, v63, v71
	;; [unrolled: 1-line block ×3, first 2 shown]
	v_fmac_f32_e32 v73, v83, v57
	s_waitcnt lgkmcnt(0)
	v_mul_f32_e32 v63, v77, v60
	v_add_f32_e32 v71, v66, v55
	ds_read2_b64 v[55:58], v45 offset0:128 offset1:144
	v_mul_f32_e32 v66, v76, v60
	v_mul_f32_e32 v72, v77, v62
	v_fma_f32 v63, v76, v59, -v63
	v_add_f32_e32 v22, v22, v73
	v_mul_f32_e32 v73, v76, v62
	v_fmac_f32_e32 v66, v77, v59
	v_fma_f32 v72, v76, v61, -v72
	v_add_f32_e32 v69, v69, v63
	v_mul_f32_e32 v63, v85, v60
	v_fmac_f32_e32 v73, v77, v61
	v_mul_f32_e32 v60, v84, v60
	v_mul_f32_e32 v75, v85, v62
	v_add_f32_e32 v68, v68, v66
	v_fma_f32 v74, v84, v59, -v63
	v_add_f32_e32 v72, v65, v72
	v_add_f32_e32 v73, v64, v73
	ds_read_b128 v[63:66], v43 offset:4128
	v_fmac_f32_e32 v60, v85, v59
	v_add_f32_e32 v74, v70, v74
	v_mul_f32_e32 v70, v84, v62
	v_fma_f32 v59, v84, v61, -v75
	s_waitcnt lgkmcnt(1)
	v_mul_f32_e32 v62, v7, v56
	v_add_f32_e32 v75, v67, v60
	v_mul_f32_e32 v67, v6, v56
	v_fmac_f32_e32 v70, v85, v61
	v_add_f32_e32 v71, v71, v59
	v_fma_f32 v76, v6, v55, -v62
	ds_read2_b64 v[59:62], v45 offset0:160 offset1:176
	v_fmac_f32_e32 v67, v7, v55
	v_mul_f32_e32 v77, v7, v58
	v_mul_f32_e32 v78, v6, v58
	v_add_f32_e32 v22, v22, v70
	v_add_f32_e32 v76, v69, v76
	;; [unrolled: 1-line block ×3, first 2 shown]
	v_fma_f32 v6, v6, v57, -v77
	ds_read_b128 v[67:70], v43 offset:4144
	s_waitcnt lgkmcnt(2)
	v_mul_f32_e32 v77, v64, v56
	v_fmac_f32_e32 v78, v7, v57
	v_mul_f32_e32 v7, v63, v56
	v_mul_f32_e32 v56, v64, v58
	v_add_f32_e32 v6, v72, v6
	v_fma_f32 v72, v63, v55, -v77
	v_mul_f32_e32 v77, v63, v58
	v_fmac_f32_e32 v7, v64, v55
	v_fma_f32 v55, v63, v57, -v56
	v_add_f32_e32 v73, v73, v78
	v_add_f32_e32 v63, v74, v72
	s_waitcnt lgkmcnt(1)
	v_mul_f32_e32 v56, v9, v60
	v_fmac_f32_e32 v77, v64, v57
	v_add_f32_e32 v64, v71, v55
	v_mul_f32_e32 v74, v9, v62
	v_add_f32_e32 v7, v75, v7
	v_fma_f32 v72, v8, v59, -v56
	ds_read2_b64 v[55:58], v45 offset0:192 offset1:208
	v_mul_f32_e32 v71, v8, v60
	v_mul_f32_e32 v75, v8, v62
	v_fma_f32 v8, v8, v61, -v74
	v_mul_f32_e32 v74, v66, v60
	v_mul_f32_e32 v60, v65, v60
	v_add_f32_e32 v72, v76, v72
	v_fmac_f32_e32 v71, v9, v59
	v_add_f32_e32 v76, v6, v8
	v_fma_f32 v6, v65, v59, -v74
	v_fmac_f32_e32 v60, v66, v59
	v_mul_f32_e32 v8, v66, v62
	v_fmac_f32_e32 v75, v9, v61
	v_mul_f32_e32 v62, v65, v62
	v_add_f32_e32 v63, v63, v6
	v_add_f32_e32 v60, v7, v60
	v_fma_f32 v65, v65, v61, -v8
	ds_read2_b64 v[6:9], v45 offset0:224 offset1:240
	v_add_f32_e32 v59, v73, v75
	v_fmac_f32_e32 v62, v66, v61
	s_waitcnt lgkmcnt(1)
	v_mul_f32_e32 v73, v3, v56
	v_mul_f32_e32 v61, v2, v56
	v_add_f32_e32 v71, v79, v71
	v_add_f32_e32 v64, v64, v65
	v_mul_f32_e32 v66, v3, v58
	v_fma_f32 v65, v2, v55, -v73
	v_fmac_f32_e32 v61, v3, v55
	v_mul_f32_e32 v73, v2, v58
	v_add_f32_e32 v22, v22, v77
	v_fma_f32 v2, v2, v57, -v66
	v_add_f32_e32 v65, v72, v65
	v_add_f32_e32 v66, v71, v61
	v_fmac_f32_e32 v73, v3, v57
	v_mul_f32_e32 v3, v68, v56
	v_mul_f32_e32 v56, v67, v56
	;; [unrolled: 1-line block ×4, first 2 shown]
	s_waitcnt lgkmcnt(0)
	v_mul_f32_e32 v58, v5, v7
	v_fma_f32 v3, v67, v55, -v3
	v_fmac_f32_e32 v56, v68, v55
	v_fma_f32 v55, v67, v57, -v61
	v_add_f32_e32 v22, v22, v62
	v_add_f32_e32 v71, v59, v73
	;; [unrolled: 1-line block ×4, first 2 shown]
	v_fmac_f32_e32 v72, v68, v57
	v_add_f32_e32 v68, v64, v55
	v_fma_f32 v3, v4, v6, -v58
	ds_read_b128 v[55:58], v43 offset:64
	ds_read2_b64 v[59:62], v52 offset1:16
	v_mul_f32_e32 v64, v4, v7
	v_mul_f32_e32 v73, v5, v9
	v_add_f32_e32 v2, v76, v2
	v_add_f32_e32 v22, v22, v72
	v_mul_f32_e32 v72, v4, v9
	v_fmac_f32_e32 v64, v5, v6
	v_add_f32_e32 v74, v65, v3
	v_fma_f32 v3, v4, v8, -v73
	v_mul_f32_e32 v4, v70, v7
	v_mul_f32_e32 v7, v69, v7
	;; [unrolled: 1-line block ×3, first 2 shown]
	v_add_f32_e32 v73, v66, v64
	v_fmac_f32_e32 v72, v5, v8
	v_add_f32_e32 v75, v2, v3
	v_fma_f32 v64, v69, v6, -v4
	v_fmac_f32_e32 v7, v70, v6
	ds_read_b128 v[2:5], v43 offset:4160
	v_fma_f32 v6, v69, v8, -v65
	v_mul_f32_e32 v69, v69, v9
	s_waitcnt lgkmcnt(1)
	v_mul_f32_e32 v9, v56, v60
	v_add_f32_e32 v76, v67, v7
	v_mul_f32_e32 v67, v55, v60
	v_add_f32_e32 v77, v68, v6
	v_fmac_f32_e32 v69, v70, v8
	v_fma_f32 v68, v55, v59, -v9
	ds_read2_b64 v[6:9], v52 offset0:32 offset1:48
	v_mul_f32_e32 v70, v56, v62
	v_mul_f32_e32 v78, v55, v62
	v_add_f32_e32 v71, v71, v72
	v_add_f32_e32 v72, v63, v64
	ds_read_b128 v[63:66], v43 offset:80
	v_fmac_f32_e32 v67, v56, v59
	v_fma_f32 v55, v55, v61, -v70
	v_fmac_f32_e32 v78, v56, v61
	v_add_f32_e32 v74, v74, v68
	v_add_f32_e32 v22, v22, v69
	s_waitcnt lgkmcnt(2)
	v_mul_f32_e32 v79, v3, v60
	v_mul_f32_e32 v56, v2, v60
	;; [unrolled: 1-line block ×3, first 2 shown]
	v_add_f32_e32 v55, v75, v55
	v_add_f32_e32 v71, v71, v78
	v_fma_f32 v75, v2, v59, -v79
	v_fmac_f32_e32 v56, v3, v59
	v_mul_f32_e32 v78, v2, v62
	v_fma_f32 v2, v2, v61, -v60
	s_waitcnt lgkmcnt(1)
	v_mul_f32_e32 v59, v58, v7
	v_add_f32_e32 v72, v72, v75
	v_add_f32_e32 v56, v76, v56
	v_fmac_f32_e32 v78, v3, v61
	v_add_f32_e32 v75, v77, v2
	v_mul_f32_e32 v2, v57, v7
	v_fma_f32 v3, v57, v6, -v59
	ds_read2_b64 v[59:62], v52 offset0:64 offset1:80
	v_mul_f32_e32 v76, v58, v9
	v_add_f32_e32 v73, v73, v67
	v_fmac_f32_e32 v2, v58, v6
	v_add_f32_e32 v74, v74, v3
	v_mul_f32_e32 v3, v57, v9
	v_fma_f32 v57, v57, v8, -v76
	v_mul_f32_e32 v76, v5, v7
	v_mul_f32_e32 v7, v4, v7
	ds_read_b128 v[67:70], v43 offset:4176
	v_add_f32_e32 v73, v73, v2
	v_fmac_f32_e32 v3, v58, v8
	v_fma_f32 v2, v4, v6, -v76
	v_fmac_f32_e32 v7, v5, v6
	v_mul_f32_e32 v6, v5, v9
	v_mul_f32_e32 v9, v4, v9
	v_add_f32_e32 v55, v55, v57
	v_add_f32_e32 v57, v71, v3
	;; [unrolled: 1-line block ×3, first 2 shown]
	v_fma_f32 v6, v4, v8, -v6
	v_fmac_f32_e32 v9, v5, v8
	ds_read2_b64 v[2:5], v52 offset0:96 offset1:112
	v_add_f32_e32 v22, v22, v78
	v_add_f32_e32 v7, v56, v7
	s_waitcnt lgkmcnt(2)
	v_mul_f32_e32 v56, v64, v60
	v_mul_f32_e32 v8, v63, v60
	;; [unrolled: 1-line block ×3, first 2 shown]
	v_add_f32_e32 v22, v22, v9
	v_mul_f32_e32 v72, v63, v62
	v_fma_f32 v56, v63, v59, -v56
	v_fmac_f32_e32 v8, v64, v59
	v_fma_f32 v9, v63, v61, -v71
	v_add_f32_e32 v6, v75, v6
	v_fmac_f32_e32 v72, v64, v61
	v_add_f32_e32 v74, v74, v56
	v_add_f32_e32 v63, v73, v8
	s_waitcnt lgkmcnt(1)
	v_mul_f32_e32 v8, v68, v60
	v_mul_f32_e32 v56, v67, v60
	v_add_f32_e32 v60, v55, v9
	v_mul_f32_e32 v9, v68, v62
	v_add_f32_e32 v64, v57, v72
	v_fma_f32 v8, v67, v59, -v8
	v_fmac_f32_e32 v56, v68, v59
	v_mul_f32_e32 v59, v67, v62
	v_fma_f32 v9, v67, v61, -v9
	s_waitcnt lgkmcnt(0)
	v_mul_f32_e32 v55, v66, v3
	v_add_f32_e32 v67, v58, v8
	v_add_f32_e32 v71, v7, v56
	v_fmac_f32_e32 v59, v68, v61
	v_add_f32_e32 v68, v6, v9
	v_fma_f32 v61, v65, v2, -v55
	ds_read_b128 v[6:9], v43 offset:96
	ds_read2_b64 v[55:58], v52 offset0:128 offset1:144
	v_mul_f32_e32 v62, v65, v3
	v_mul_f32_e32 v72, v66, v5
	v_add_f32_e32 v22, v22, v59
	v_mul_f32_e32 v59, v65, v5
	v_add_f32_e32 v73, v74, v61
	v_fmac_f32_e32 v62, v66, v2
	v_fma_f32 v61, v65, v4, -v72
	v_mul_f32_e32 v65, v70, v3
	v_fmac_f32_e32 v59, v66, v4
	v_mul_f32_e32 v3, v69, v3
	v_add_f32_e32 v72, v63, v62
	v_add_f32_e32 v74, v60, v61
	v_fma_f32 v63, v69, v2, -v65
	v_mul_f32_e32 v65, v70, v5
	v_add_f32_e32 v75, v64, v59
	v_fmac_f32_e32 v3, v70, v2
	ds_read_b128 v[59:62], v43 offset:4192
	v_add_f32_e32 v76, v67, v63
	v_fma_f32 v2, v69, v4, -v65
	v_mul_f32_e32 v67, v69, v5
	s_waitcnt lgkmcnt(1)
	v_mul_f32_e32 v5, v7, v56
	v_add_f32_e32 v71, v71, v3
	v_mul_f32_e32 v69, v6, v56
	v_add_f32_e32 v77, v68, v2
	v_fmac_f32_e32 v67, v70, v4
	v_fma_f32 v68, v6, v55, -v5
	ds_read2_b64 v[2:5], v52 offset0:160 offset1:176
	v_mul_f32_e32 v70, v7, v58
	v_mul_f32_e32 v78, v6, v58
	ds_read_b128 v[63:66], v43 offset:112
	v_fmac_f32_e32 v69, v7, v55
	v_add_f32_e32 v73, v73, v68
	v_fma_f32 v6, v6, v57, -v70
	v_fmac_f32_e32 v78, v7, v57
	v_add_f32_e32 v22, v22, v67
	v_add_f32_e32 v72, v72, v69
	s_waitcnt lgkmcnt(2)
	v_mul_f32_e32 v79, v60, v56
	v_mul_f32_e32 v7, v59, v56
	;; [unrolled: 1-line block ×3, first 2 shown]
	v_add_f32_e32 v6, v74, v6
	v_add_f32_e32 v75, v75, v78
	v_fma_f32 v74, v59, v55, -v79
	v_fmac_f32_e32 v7, v60, v55
	v_mul_f32_e32 v78, v59, v58
	v_fma_f32 v55, v59, v57, -v56
	ds_read_b128 v[67:70], v43 offset:4208
	s_waitcnt lgkmcnt(2)
	v_mul_f32_e32 v56, v9, v3
	v_add_f32_e32 v59, v76, v74
	v_fmac_f32_e32 v78, v60, v57
	v_add_f32_e32 v60, v77, v55
	v_add_f32_e32 v7, v71, v7
	v_fma_f32 v74, v8, v2, -v56
	ds_read2_b64 v[55:58], v52 offset0:192 offset1:208
	v_mul_f32_e32 v71, v8, v3
	v_mul_f32_e32 v76, v9, v5
	v_add_f32_e32 v22, v22, v78
	v_add_f32_e32 v73, v73, v74
	v_mul_f32_e32 v74, v8, v5
	v_fmac_f32_e32 v71, v9, v2
	v_fma_f32 v8, v8, v4, -v76
	v_mul_f32_e32 v76, v62, v3
	v_mul_f32_e32 v3, v61, v3
	v_fmac_f32_e32 v74, v9, v4
	v_add_f32_e32 v71, v72, v71
	v_add_f32_e32 v6, v6, v8
	v_fma_f32 v8, v61, v2, -v76
	v_fmac_f32_e32 v3, v62, v2
	v_mul_f32_e32 v2, v62, v5
	v_mul_f32_e32 v72, v61, v5
	v_add_f32_e32 v9, v75, v74
	v_add_f32_e32 v8, v59, v8
	;; [unrolled: 1-line block ×3, first 2 shown]
	v_fma_f32 v59, v61, v4, -v2
	s_waitcnt lgkmcnt(0)
	v_mul_f32_e32 v61, v64, v56
	v_fmac_f32_e32 v72, v62, v4
	ds_read2_b64 v[2:5], v52 offset0:224 offset1:240
	v_mul_f32_e32 v74, v63, v58
	v_add_f32_e32 v59, v60, v59
	v_fma_f32 v60, v63, v55, -v61
	v_mul_f32_e32 v61, v64, v58
	v_mul_f32_e32 v62, v63, v56
	v_fmac_f32_e32 v74, v64, v57
	v_add_f32_e32 v22, v22, v72
	v_add_f32_e32 v60, v73, v60
	v_fma_f32 v61, v63, v57, -v61
	v_mul_f32_e32 v63, v68, v56
	v_mul_f32_e32 v56, v67, v56
	v_fmac_f32_e32 v62, v64, v55
	v_add_f32_e32 v64, v9, v74
	v_add_f32_e32 v61, v6, v61
	v_mul_f32_e32 v6, v68, v58
	v_fma_f32 v9, v67, v55, -v63
	v_fmac_f32_e32 v56, v68, v55
	v_mul_f32_e32 v63, v67, v58
	v_add_f32_e32 v62, v71, v62
	v_fma_f32 v6, v67, v57, -v6
	s_waitcnt lgkmcnt(0)
	v_mul_f32_e32 v55, v66, v3
	v_add_f32_e32 v67, v8, v9
	v_add_f32_e32 v71, v7, v56
	v_fmac_f32_e32 v63, v68, v57
	v_add_f32_e32 v68, v59, v6
	v_fma_f32 v59, v65, v2, -v55
	ds_read_b128 v[6:9], v43 offset:128
	ds_read2_b64 v[55:58], v53 offset1:16
	v_mul_f32_e32 v72, v65, v3
	v_mul_f32_e32 v73, v66, v5
	v_add_f32_e32 v22, v22, v63
	v_mul_f32_e32 v63, v65, v5
	v_add_f32_e32 v74, v60, v59
	v_mul_f32_e32 v60, v70, v3
	v_fmac_f32_e32 v72, v66, v2
	v_fma_f32 v59, v65, v4, -v73
	v_fmac_f32_e32 v63, v66, v4
	v_mul_f32_e32 v3, v69, v3
	v_fma_f32 v65, v69, v2, -v60
	v_mul_f32_e32 v66, v70, v5
	v_add_f32_e32 v72, v62, v72
	v_add_f32_e32 v73, v61, v59
	v_fmac_f32_e32 v3, v70, v2
	ds_read_b128 v[59:62], v43 offset:4224
	v_add_f32_e32 v76, v67, v65
	v_fma_f32 v2, v69, v4, -v66
	v_mul_f32_e32 v67, v69, v5
	s_waitcnt lgkmcnt(1)
	v_mul_f32_e32 v5, v7, v56
	v_add_f32_e32 v71, v71, v3
	v_mul_f32_e32 v69, v6, v56
	v_add_f32_e32 v77, v68, v2
	v_fmac_f32_e32 v67, v70, v4
	v_fma_f32 v68, v6, v55, -v5
	ds_read2_b64 v[2:5], v53 offset0:32 offset1:48
	v_mul_f32_e32 v70, v7, v58
	v_mul_f32_e32 v78, v6, v58
	v_add_f32_e32 v75, v64, v63
	ds_read_b128 v[63:66], v43 offset:144
	v_fmac_f32_e32 v69, v7, v55
	v_fma_f32 v6, v6, v57, -v70
	v_fmac_f32_e32 v78, v7, v57
	v_add_f32_e32 v74, v74, v68
	v_add_f32_e32 v22, v22, v67
	s_waitcnt lgkmcnt(2)
	v_mul_f32_e32 v79, v60, v56
	v_mul_f32_e32 v7, v59, v56
	;; [unrolled: 1-line block ×3, first 2 shown]
	v_add_f32_e32 v6, v73, v6
	v_add_f32_e32 v75, v75, v78
	v_fma_f32 v73, v59, v55, -v79
	v_fmac_f32_e32 v7, v60, v55
	v_mul_f32_e32 v78, v59, v58
	v_fma_f32 v55, v59, v57, -v56
	v_add_f32_e32 v72, v72, v69
	s_waitcnt lgkmcnt(1)
	v_mul_f32_e32 v56, v9, v3
	v_add_f32_e32 v59, v76, v73
	v_fmac_f32_e32 v78, v60, v57
	v_add_f32_e32 v60, v77, v55
	v_add_f32_e32 v7, v71, v7
	v_fma_f32 v73, v8, v2, -v56
	ds_read2_b64 v[55:58], v53 offset0:64 offset1:80
	v_mul_f32_e32 v71, v8, v3
	v_mul_f32_e32 v76, v9, v5
	ds_read_b128 v[67:70], v43 offset:4240
	v_add_f32_e32 v73, v74, v73
	v_mul_f32_e32 v74, v8, v5
	v_fmac_f32_e32 v71, v9, v2
	v_fma_f32 v8, v8, v4, -v76
	v_mul_f32_e32 v76, v62, v3
	v_mul_f32_e32 v3, v61, v3
	v_fmac_f32_e32 v74, v9, v4
	v_add_f32_e32 v71, v72, v71
	v_add_f32_e32 v6, v6, v8
	v_fma_f32 v8, v61, v2, -v76
	v_fmac_f32_e32 v3, v62, v2
	v_mul_f32_e32 v2, v62, v5
	v_mul_f32_e32 v72, v61, v5
	v_add_f32_e32 v9, v75, v74
	v_add_f32_e32 v8, v59, v8
	;; [unrolled: 1-line block ×3, first 2 shown]
	v_fma_f32 v59, v61, v4, -v2
	s_waitcnt lgkmcnt(1)
	v_mul_f32_e32 v61, v64, v56
	v_fmac_f32_e32 v72, v62, v4
	ds_read2_b64 v[2:5], v53 offset0:96 offset1:112
	v_mul_f32_e32 v74, v63, v58
	v_add_f32_e32 v59, v60, v59
	v_fma_f32 v60, v63, v55, -v61
	v_mul_f32_e32 v61, v64, v58
	v_mul_f32_e32 v62, v63, v56
	v_fmac_f32_e32 v74, v64, v57
	v_add_f32_e32 v22, v22, v78
	v_add_f32_e32 v60, v73, v60
	v_fma_f32 v61, v63, v57, -v61
	s_waitcnt lgkmcnt(1)
	v_mul_f32_e32 v63, v68, v56
	v_mul_f32_e32 v56, v67, v56
	v_fmac_f32_e32 v62, v64, v55
	v_add_f32_e32 v64, v9, v74
	v_add_f32_e32 v61, v6, v61
	v_mul_f32_e32 v6, v68, v58
	v_fma_f32 v9, v67, v55, -v63
	v_fmac_f32_e32 v56, v68, v55
	v_mul_f32_e32 v63, v67, v58
	v_add_f32_e32 v62, v71, v62
	v_fma_f32 v6, v67, v57, -v6
	s_waitcnt lgkmcnt(0)
	v_mul_f32_e32 v55, v66, v3
	v_add_f32_e32 v67, v8, v9
	v_add_f32_e32 v71, v7, v56
	v_fmac_f32_e32 v63, v68, v57
	v_add_f32_e32 v68, v59, v6
	v_fma_f32 v59, v65, v2, -v55
	ds_read_b128 v[6:9], v43 offset:160
	ds_read2_b64 v[55:58], v53 offset0:128 offset1:144
	v_add_f32_e32 v22, v22, v72
	v_mul_f32_e32 v72, v65, v3
	v_mul_f32_e32 v73, v66, v5
	v_add_f32_e32 v74, v60, v59
	v_mul_f32_e32 v60, v70, v3
	v_add_f32_e32 v22, v22, v63
	v_mul_f32_e32 v63, v65, v5
	v_fmac_f32_e32 v72, v66, v2
	v_fma_f32 v59, v65, v4, -v73
	v_mul_f32_e32 v3, v69, v3
	v_fma_f32 v65, v69, v2, -v60
	v_fmac_f32_e32 v63, v66, v4
	v_mul_f32_e32 v66, v70, v5
	v_add_f32_e32 v72, v62, v72
	v_add_f32_e32 v73, v61, v59
	v_fmac_f32_e32 v3, v70, v2
	ds_read_b128 v[59:62], v43 offset:4256
	v_add_f32_e32 v76, v67, v65
	v_fma_f32 v2, v69, v4, -v66
	v_mul_f32_e32 v67, v69, v5
	s_waitcnt lgkmcnt(1)
	v_mul_f32_e32 v5, v7, v56
	v_add_f32_e32 v71, v71, v3
	v_mul_f32_e32 v69, v6, v56
	v_add_f32_e32 v77, v68, v2
	v_fmac_f32_e32 v67, v70, v4
	v_fma_f32 v68, v6, v55, -v5
	ds_read2_b64 v[2:5], v53 offset0:160 offset1:176
	v_mul_f32_e32 v70, v7, v58
	v_mul_f32_e32 v78, v6, v58
	v_add_f32_e32 v75, v64, v63
	ds_read_b128 v[63:66], v43 offset:176
	v_fmac_f32_e32 v69, v7, v55
	v_fma_f32 v6, v6, v57, -v70
	v_fmac_f32_e32 v78, v7, v57
	v_add_f32_e32 v74, v74, v68
	v_add_f32_e32 v22, v22, v67
	s_waitcnt lgkmcnt(2)
	v_mul_f32_e32 v79, v60, v56
	v_mul_f32_e32 v7, v59, v56
	v_mul_f32_e32 v56, v60, v58
	v_add_f32_e32 v6, v73, v6
	v_add_f32_e32 v75, v75, v78
	v_fma_f32 v73, v59, v55, -v79
	v_fmac_f32_e32 v7, v60, v55
	v_mul_f32_e32 v78, v59, v58
	v_fma_f32 v55, v59, v57, -v56
	v_add_f32_e32 v72, v72, v69
	s_waitcnt lgkmcnt(1)
	v_mul_f32_e32 v56, v9, v3
	v_add_f32_e32 v59, v76, v73
	v_fmac_f32_e32 v78, v60, v57
	v_add_f32_e32 v60, v77, v55
	v_add_f32_e32 v7, v71, v7
	v_fma_f32 v73, v8, v2, -v56
	ds_read2_b64 v[55:58], v53 offset0:192 offset1:208
	v_mul_f32_e32 v71, v8, v3
	v_mul_f32_e32 v76, v9, v5
	ds_read_b128 v[67:70], v43 offset:4272
	v_add_f32_e32 v73, v74, v73
	v_mul_f32_e32 v74, v8, v5
	v_fmac_f32_e32 v71, v9, v2
	v_fma_f32 v8, v8, v4, -v76
	v_mul_f32_e32 v76, v62, v3
	v_mul_f32_e32 v3, v61, v3
	v_fmac_f32_e32 v74, v9, v4
	v_add_f32_e32 v71, v72, v71
	v_add_f32_e32 v6, v6, v8
	v_fma_f32 v8, v61, v2, -v76
	v_fmac_f32_e32 v3, v62, v2
	v_mul_f32_e32 v2, v62, v5
	v_mul_f32_e32 v72, v61, v5
	v_add_f32_e32 v9, v75, v74
	v_add_f32_e32 v8, v59, v8
	;; [unrolled: 1-line block ×3, first 2 shown]
	v_fma_f32 v59, v61, v4, -v2
	s_waitcnt lgkmcnt(1)
	v_mul_f32_e32 v61, v64, v56
	v_fmac_f32_e32 v72, v62, v4
	ds_read2_b64 v[2:5], v53 offset0:224 offset1:240
	v_mul_f32_e32 v74, v63, v58
	v_add_f32_e32 v59, v60, v59
	v_fma_f32 v60, v63, v55, -v61
	v_mul_f32_e32 v61, v64, v58
	v_mul_f32_e32 v62, v63, v56
	v_fmac_f32_e32 v74, v64, v57
	v_add_f32_e32 v22, v22, v78
	v_add_f32_e32 v60, v73, v60
	v_fma_f32 v61, v63, v57, -v61
	s_waitcnt lgkmcnt(1)
	v_mul_f32_e32 v63, v68, v56
	v_mul_f32_e32 v56, v67, v56
	v_fmac_f32_e32 v62, v64, v55
	v_add_f32_e32 v64, v9, v74
	v_add_f32_e32 v61, v6, v61
	v_mul_f32_e32 v6, v68, v58
	v_fma_f32 v9, v67, v55, -v63
	v_fmac_f32_e32 v56, v68, v55
	v_mul_f32_e32 v63, v67, v58
	v_add_f32_e32 v62, v71, v62
	v_fma_f32 v6, v67, v57, -v6
	s_waitcnt lgkmcnt(0)
	v_mul_f32_e32 v55, v66, v3
	v_add_f32_e32 v67, v8, v9
	v_add_f32_e32 v71, v7, v56
	v_fmac_f32_e32 v63, v68, v57
	v_add_f32_e32 v68, v59, v6
	v_fma_f32 v59, v65, v2, -v55
	ds_read_b128 v[6:9], v43 offset:192
	ds_read2_b64 v[55:58], v54 offset1:16
	v_add_f32_e32 v22, v22, v72
	v_mul_f32_e32 v72, v65, v3
	v_mul_f32_e32 v73, v66, v5
	v_add_f32_e32 v74, v60, v59
	v_mul_f32_e32 v60, v70, v3
	v_add_f32_e32 v22, v22, v63
	v_mul_f32_e32 v63, v65, v5
	v_fmac_f32_e32 v72, v66, v2
	v_fma_f32 v59, v65, v4, -v73
	v_mul_f32_e32 v3, v69, v3
	v_fma_f32 v65, v69, v2, -v60
	v_fmac_f32_e32 v63, v66, v4
	v_mul_f32_e32 v66, v70, v5
	v_add_f32_e32 v72, v62, v72
	v_add_f32_e32 v73, v61, v59
	v_fmac_f32_e32 v3, v70, v2
	ds_read_b128 v[59:62], v43 offset:4288
	v_add_f32_e32 v76, v67, v65
	v_fma_f32 v2, v69, v4, -v66
	v_mul_f32_e32 v67, v69, v5
	s_waitcnt lgkmcnt(1)
	v_mul_f32_e32 v5, v7, v56
	v_add_f32_e32 v71, v71, v3
	v_mul_f32_e32 v69, v6, v56
	v_add_f32_e32 v77, v68, v2
	v_fmac_f32_e32 v67, v70, v4
	v_fma_f32 v68, v6, v55, -v5
	ds_read2_b64 v[2:5], v54 offset0:32 offset1:48
	v_mul_f32_e32 v70, v7, v58
	v_mul_f32_e32 v78, v6, v58
	v_add_f32_e32 v75, v64, v63
	ds_read_b128 v[63:66], v43 offset:208
	v_fmac_f32_e32 v69, v7, v55
	v_fma_f32 v6, v6, v57, -v70
	v_fmac_f32_e32 v78, v7, v57
	v_add_f32_e32 v74, v74, v68
	v_add_f32_e32 v22, v22, v67
	s_waitcnt lgkmcnt(2)
	v_mul_f32_e32 v79, v60, v56
	v_mul_f32_e32 v7, v59, v56
	;; [unrolled: 1-line block ×3, first 2 shown]
	v_add_f32_e32 v6, v73, v6
	v_add_f32_e32 v75, v75, v78
	v_fma_f32 v73, v59, v55, -v79
	v_fmac_f32_e32 v7, v60, v55
	v_mul_f32_e32 v78, v59, v58
	v_fma_f32 v55, v59, v57, -v56
	v_add_f32_e32 v72, v72, v69
	s_waitcnt lgkmcnt(1)
	v_mul_f32_e32 v56, v9, v3
	v_add_f32_e32 v59, v76, v73
	v_fmac_f32_e32 v78, v60, v57
	v_add_f32_e32 v60, v77, v55
	v_add_f32_e32 v7, v71, v7
	v_fma_f32 v73, v8, v2, -v56
	ds_read2_b64 v[55:58], v54 offset0:64 offset1:80
	v_mul_f32_e32 v71, v8, v3
	v_mul_f32_e32 v76, v9, v5
	ds_read_b128 v[67:70], v43 offset:4304
	v_add_f32_e32 v73, v74, v73
	v_mul_f32_e32 v74, v8, v5
	v_fmac_f32_e32 v71, v9, v2
	v_fma_f32 v8, v8, v4, -v76
	v_mul_f32_e32 v76, v62, v3
	v_mul_f32_e32 v3, v61, v3
	v_fmac_f32_e32 v74, v9, v4
	v_add_f32_e32 v71, v72, v71
	v_add_f32_e32 v6, v6, v8
	v_fma_f32 v8, v61, v2, -v76
	v_fmac_f32_e32 v3, v62, v2
	v_mul_f32_e32 v2, v62, v5
	v_mul_f32_e32 v72, v61, v5
	v_add_f32_e32 v9, v75, v74
	v_add_f32_e32 v8, v59, v8
	;; [unrolled: 1-line block ×3, first 2 shown]
	v_fma_f32 v59, v61, v4, -v2
	s_waitcnt lgkmcnt(1)
	v_mul_f32_e32 v61, v64, v56
	v_fmac_f32_e32 v72, v62, v4
	ds_read2_b64 v[2:5], v54 offset0:96 offset1:112
	v_mul_f32_e32 v74, v63, v58
	v_add_f32_e32 v59, v60, v59
	v_fma_f32 v60, v63, v55, -v61
	v_mul_f32_e32 v61, v64, v58
	v_mul_f32_e32 v62, v63, v56
	v_fmac_f32_e32 v74, v64, v57
	v_add_f32_e32 v22, v22, v78
	v_add_f32_e32 v60, v73, v60
	v_fma_f32 v61, v63, v57, -v61
	s_waitcnt lgkmcnt(1)
	v_mul_f32_e32 v63, v68, v56
	v_mul_f32_e32 v56, v67, v56
	v_fmac_f32_e32 v62, v64, v55
	v_add_f32_e32 v64, v9, v74
	v_add_f32_e32 v61, v6, v61
	v_mul_f32_e32 v6, v68, v58
	v_fma_f32 v9, v67, v55, -v63
	v_fmac_f32_e32 v56, v68, v55
	v_mul_f32_e32 v63, v67, v58
	v_add_f32_e32 v22, v22, v72
	v_fma_f32 v6, v67, v57, -v6
	s_waitcnt lgkmcnt(0)
	v_mul_f32_e32 v55, v66, v3
	v_add_f32_e32 v62, v71, v62
	v_add_f32_e32 v67, v8, v9
	;; [unrolled: 1-line block ×3, first 2 shown]
	v_fmac_f32_e32 v63, v68, v57
	v_add_f32_e32 v68, v59, v6
	v_fma_f32 v59, v65, v2, -v55
	ds_read_b128 v[6:9], v43 offset:224
	ds_read2_b64 v[55:58], v54 offset0:128 offset1:144
	v_mul_f32_e32 v72, v65, v3
	v_mul_f32_e32 v73, v66, v5
	v_add_f32_e32 v22, v22, v63
	v_mul_f32_e32 v63, v65, v5
	s_addc_u32 s13, s13, 0
	v_fmac_f32_e32 v72, v66, v2
	v_fma_f32 v65, v65, v4, -v73
	v_add_f32_e32 v73, v60, v59
	v_mul_f32_e32 v59, v70, v3
	v_fmac_f32_e32 v63, v66, v4
	v_add_f32_e32 v72, v62, v72
	v_add_f32_e32 v74, v61, v65
	v_mul_f32_e32 v3, v69, v3
	v_fma_f32 v65, v69, v2, -v59
	v_add_f32_e32 v75, v64, v63
	v_mul_f32_e32 v63, v70, v5
	ds_read_b128 v[59:62], v43 offset:4320
	v_fmac_f32_e32 v3, v70, v2
	v_add_f32_e32 v76, v67, v65
	v_mul_f32_e32 v67, v69, v5
	v_fma_f32 v2, v69, v4, -v63
	s_waitcnt lgkmcnt(1)
	v_mul_f32_e32 v5, v7, v56
	v_add_f32_e32 v71, v71, v3
	v_mul_f32_e32 v69, v7, v58
	v_fmac_f32_e32 v67, v70, v4
	v_add_f32_e32 v77, v68, v2
	v_fma_f32 v68, v6, v55, -v5
	ds_read2_b64 v[2:5], v54 offset0:160 offset1:176
	ds_read_b128 v[63:66], v43 offset:240
	v_mul_f32_e32 v78, v6, v56
	v_mul_f32_e32 v79, v6, v58
	v_fma_f32 v6, v6, v57, -v69
	v_add_f32_e32 v73, v73, v68
	v_add_f32_e32 v22, v22, v67
	v_fmac_f32_e32 v78, v7, v55
	v_fmac_f32_e32 v79, v7, v57
	s_waitcnt lgkmcnt(2)
	v_mul_f32_e32 v80, v60, v56
	v_mul_f32_e32 v7, v59, v56
	v_add_f32_e32 v6, v74, v6
	v_mul_f32_e32 v74, v60, v58
	v_add_f32_e32 v72, v72, v78
	v_fma_f32 v56, v59, v55, -v80
	v_fmac_f32_e32 v7, v60, v55
	v_mul_f32_e32 v78, v59, v58
	v_fma_f32 v55, v59, v57, -v74
	ds_read_b128 v[67:70], v43 offset:4336
	v_add_f32_e32 v76, v76, v56
	s_waitcnt lgkmcnt(2)
	v_mul_f32_e32 v56, v9, v3
	v_add_f32_e32 v7, v71, v7
	v_fmac_f32_e32 v78, v60, v57
	v_mul_f32_e32 v59, v8, v3
	v_add_f32_e32 v60, v77, v55
	v_fma_f32 v71, v8, v2, -v56
	ds_read2_b64 v[55:58], v54 offset0:192 offset1:208
	v_mul_f32_e32 v74, v9, v5
	v_fmac_f32_e32 v59, v9, v2
	v_add_f32_e32 v75, v75, v79
	v_add_f32_e32 v71, v73, v71
	v_mul_f32_e32 v73, v8, v5
	v_fma_f32 v8, v8, v4, -v74
	v_add_f32_e32 v59, v72, v59
	v_mul_f32_e32 v72, v62, v3
	v_mul_f32_e32 v3, v61, v3
	v_fmac_f32_e32 v73, v9, v4
	v_add_f32_e32 v6, v6, v8
	v_mul_f32_e32 v8, v62, v5
	v_fma_f32 v9, v61, v2, -v72
	v_fmac_f32_e32 v3, v62, v2
	v_add_f32_e32 v72, v75, v73
	v_mul_f32_e32 v73, v61, v5
	v_fma_f32 v2, v61, v4, -v8
	v_add_f32_e32 v8, v76, v9
	v_add_f32_e32 v7, v7, v3
	s_waitcnt lgkmcnt(0)
	v_mul_f32_e32 v9, v64, v56
	v_fmac_f32_e32 v73, v62, v4
	v_add_f32_e32 v60, v60, v2
	ds_read2_b64 v[2:5], v54 offset0:224 offset1:240
	v_mul_f32_e32 v61, v63, v56
	v_fma_f32 v9, v63, v55, -v9
	v_mul_f32_e32 v62, v64, v58
	v_add_f32_e32 v22, v22, v78
	s_sub_i32 s6, s12, 32
	v_fmac_f32_e32 v61, v64, v55
	v_add_f32_e32 v9, v71, v9
	v_mul_f32_e32 v71, v68, v56
	v_fma_f32 v62, v63, v57, -v62
	v_mul_f32_e32 v56, v67, v56
	v_add_f32_e32 v59, v59, v61
	v_add_f32_e32 v22, v22, v73
	v_fma_f32 v61, v67, v55, -v71
	v_mul_f32_e32 v73, v63, v58
	v_add_f32_e32 v6, v6, v62
	v_mul_f32_e32 v62, v68, v58
	v_fmac_f32_e32 v56, v68, v55
	v_add_f32_e32 v8, v8, v61
	v_mul_f32_e32 v55, v67, v58
	s_waitcnt lgkmcnt(0)
	v_mul_f32_e32 v61, v66, v3
	v_fmac_f32_e32 v73, v64, v57
	v_fma_f32 v58, v67, v57, -v62
	v_add_f32_e32 v7, v7, v56
	v_fmac_f32_e32 v55, v68, v57
	v_fma_f32 v56, v65, v2, -v61
	v_mul_f32_e32 v57, v66, v5
	v_mul_f32_e32 v62, v65, v3
	v_add_f32_e32 v64, v60, v58
	v_mul_f32_e32 v67, v65, v5
	v_add_f32_e32 v22, v22, v55
	v_add_f32_e32 v60, v9, v56
	v_fma_f32 v9, v65, v4, -v57
	v_mul_f32_e32 v55, v70, v3
	v_mul_f32_e32 v3, v69, v3
	;; [unrolled: 1-line block ×4, first 2 shown]
	v_add_f32_e32 v63, v72, v73
	v_fmac_f32_e32 v62, v66, v2
	v_fmac_f32_e32 v67, v66, v4
	v_add_f32_e32 v58, v6, v9
	v_fma_f32 v6, v69, v2, -v55
	v_fmac_f32_e32 v3, v70, v2
	v_fma_f32 v2, v69, v4, -v56
	v_fmac_f32_e32 v5, v70, v4
	v_add_f32_e32 v61, v59, v62
	v_add_f32_e32 v59, v63, v67
	;; [unrolled: 1-line block ×6, first 2 shown]
	s_cmp_ge_i32 s6, s16
	s_barrier
	buffer_gl0_inv
	s_cbranch_scc1 .LBB88_55
.LBB88_7:                               ;   Parent Loop BB88_4 Depth=1
                                        ; =>  This Inner Loop Header: Depth=2
	v_add_co_u32 v2, s5, v0, s12
	v_add_co_ci_u32_e64 v3, null, 0, s13, s5
	v_cmp_eq_u64_e64 s8, s[12:13], v[29:30]
	v_cmp_gt_i64_e64 s5, v[2:3], v[25:26]
	v_cmp_le_i64_e64 s6, s[14:15], v[2:3]
	s_and_b32 s20, s30, s8
	v_add_co_u32 v4, s8, v37, v31
	s_or_b32 s9, s3, s5
	v_add_co_ci_u32_e64 v5, null, v38, v32, s8
	s_or_b32 s8, s9, s20
	s_nor_b32 s8, s6, s8
	s_and_saveexec_b32 s9, s8
	s_xor_b32 s8, exec_lo, s9
	s_cbranch_execz .LBB88_9
; %bb.8:                                ;   in Loop: Header=BB88_7 Depth=2
	global_load_dwordx2 v[6:7], v[4:5], off
	s_waitcnt vmcnt(0)
	ds_write_b64 v44, v[6:7]
.LBB88_9:                               ;   in Loop: Header=BB88_7 Depth=2
	s_or_saveexec_b32 s8, s8
	s_xor_b32 s17, s20, -1
	s_xor_b32 exec_lo, exec_lo, s8
	s_cbranch_execz .LBB88_15
; %bb.10:                               ;   in Loop: Header=BB88_7 Depth=2
	s_and_saveexec_b32 s9, s17
	s_xor_b32 s9, exec_lo, s9
; %bb.11:                               ;   in Loop: Header=BB88_7 Depth=2
	v_mov_b32_e32 v6, v11
	v_mov_b32_e32 v7, v11
	ds_write_b64 v44, v[6:7]
; %bb.12:                               ;   in Loop: Header=BB88_7 Depth=2
	s_andn2_saveexec_b32 s9, s9
; %bb.13:                               ;   in Loop: Header=BB88_7 Depth=2
	ds_write_b64 v44, v[10:11]
; %bb.14:                               ;   in Loop: Header=BB88_7 Depth=2
	s_or_b32 exec_lo, exec_lo, s9
.LBB88_15:                              ;   in Loop: Header=BB88_7 Depth=2
	s_or_b32 exec_lo, exec_lo, s8
	v_add_co_u32 v6, s8, v2, 16
	v_add_co_ci_u32_e64 v7, null, 0, v3, s8
	v_cmp_eq_u64_e64 s9, s[12:13], v[35:36]
	v_cmp_gt_i64_e64 s10, v[6:7], v[25:26]
	v_cmp_le_i64_e64 s8, s[14:15], v[6:7]
	s_and_b32 s21, s30, s9
	s_or_b32 s9, s3, s10
	s_or_b32 s9, s9, s21
	s_nor_b32 s9, s8, s9
	s_and_saveexec_b32 s10, s9
	s_xor_b32 s10, exec_lo, s10
	s_cbranch_execz .LBB88_17
; %bb.16:                               ;   in Loop: Header=BB88_7 Depth=2
	v_add_co_u32 v6, s9, v39, v31
	v_add_co_ci_u32_e64 v7, null, v40, v32, s9
	global_load_dwordx2 v[6:7], v[6:7], off
	s_waitcnt vmcnt(0)
	ds_write_b64 v44, v[6:7] offset:128
.LBB88_17:                              ;   in Loop: Header=BB88_7 Depth=2
	s_andn2_saveexec_b32 s9, s10
	s_cbranch_execz .LBB88_23
; %bb.18:                               ;   in Loop: Header=BB88_7 Depth=2
	s_xor_b32 s10, s21, -1
	s_and_saveexec_b32 s21, s10
	s_xor_b32 s10, exec_lo, s21
; %bb.19:                               ;   in Loop: Header=BB88_7 Depth=2
	v_mov_b32_e32 v6, v11
	v_mov_b32_e32 v7, v11
	ds_write_b64 v44, v[6:7] offset:128
; %bb.20:                               ;   in Loop: Header=BB88_7 Depth=2
	s_andn2_saveexec_b32 s10, s10
; %bb.21:                               ;   in Loop: Header=BB88_7 Depth=2
	ds_write_b64 v44, v[10:11] offset:128
; %bb.22:                               ;   in Loop: Header=BB88_7 Depth=2
	s_or_b32 exec_lo, exec_lo, s10
.LBB88_23:                              ;   in Loop: Header=BB88_7 Depth=2
	s_or_b32 exec_lo, exec_lo, s9
	v_cmp_eq_u64_e64 s9, s[12:13], v[33:34]
	v_cmp_gt_i64_e64 s10, v[2:3], v[27:28]
	s_and_b32 s9, s30, s9
	s_or_b32 s10, s4, s10
	s_or_b32 s10, s10, s9
	s_nor_b32 s6, s6, s10
	s_and_saveexec_b32 s10, s6
	s_xor_b32 s6, exec_lo, s10
	s_cbranch_execz .LBB88_25
; %bb.24:                               ;   in Loop: Header=BB88_7 Depth=2
	global_load_dwordx2 v[2:3], v[4:5], off offset:128
	s_waitcnt vmcnt(0)
	ds_write_b64 v44, v[2:3] offset:4096
.LBB88_25:                              ;   in Loop: Header=BB88_7 Depth=2
	s_andn2_saveexec_b32 s6, s6
	s_cbranch_execz .LBB88_31
; %bb.26:                               ;   in Loop: Header=BB88_7 Depth=2
	s_xor_b32 s9, s9, -1
	s_and_saveexec_b32 s10, s9
	s_xor_b32 s9, exec_lo, s10
; %bb.27:                               ;   in Loop: Header=BB88_7 Depth=2
	v_mov_b32_e32 v2, v11
	v_mov_b32_e32 v3, v11
	ds_write_b64 v44, v[2:3] offset:4096
; %bb.28:                               ;   in Loop: Header=BB88_7 Depth=2
	s_andn2_saveexec_b32 s9, s9
; %bb.29:                               ;   in Loop: Header=BB88_7 Depth=2
	ds_write_b64 v44, v[10:11] offset:4096
; %bb.30:                               ;   in Loop: Header=BB88_7 Depth=2
	s_or_b32 exec_lo, exec_lo, s9
.LBB88_31:                              ;   in Loop: Header=BB88_7 Depth=2
	s_or_b32 exec_lo, exec_lo, s6
	s_or_b32 s5, s4, s5
	s_or_b32 s5, s5, s20
	s_nor_b32 s5, s8, s5
	s_and_saveexec_b32 s6, s5
	s_xor_b32 s6, exec_lo, s6
	s_cbranch_execz .LBB88_33
; %bb.32:                               ;   in Loop: Header=BB88_7 Depth=2
	v_add_co_u32 v2, s5, v39, v31
	v_add_co_ci_u32_e64 v3, null, v40, v32, s5
	global_load_dwordx2 v[2:3], v[2:3], off offset:128
	s_waitcnt vmcnt(0)
	ds_write_b64 v44, v[2:3] offset:4224
.LBB88_33:                              ;   in Loop: Header=BB88_7 Depth=2
	s_andn2_saveexec_b32 s5, s6
	s_cbranch_execz .LBB88_39
; %bb.34:                               ;   in Loop: Header=BB88_7 Depth=2
	s_and_saveexec_b32 s6, s17
	s_xor_b32 s6, exec_lo, s6
; %bb.35:                               ;   in Loop: Header=BB88_7 Depth=2
	v_mov_b32_e32 v2, v11
	v_mov_b32_e32 v3, v11
	ds_write_b64 v44, v[2:3] offset:4224
; %bb.36:                               ;   in Loop: Header=BB88_7 Depth=2
	s_andn2_saveexec_b32 s6, s6
; %bb.37:                               ;   in Loop: Header=BB88_7 Depth=2
	ds_write_b64 v44, v[10:11] offset:4224
; %bb.38:                               ;   in Loop: Header=BB88_7 Depth=2
	s_or_b32 exec_lo, exec_lo, s6
.LBB88_39:                              ;   in Loop: Header=BB88_7 Depth=2
	s_or_b32 exec_lo, exec_lo, s5
	v_add_co_u32 v2, s5, v1, s12
	v_add_co_ci_u32_e64 v3, null, 0, s13, s5
	v_add_co_u32 v4, s6, v41, v49
	v_add_co_ci_u32_e64 v5, null, v42, v50, s6
	v_cmp_le_i64_e64 s5, s[14:15], v[2:3]
	s_nor_b32 s6, s5, vcc_lo
	s_and_saveexec_b32 s8, s6
	s_xor_b32 s6, exec_lo, s8
	s_cbranch_execz .LBB88_41
; %bb.40:                               ;   in Loop: Header=BB88_7 Depth=2
	global_load_dwordx2 v[6:7], v[4:5], off offset:-128
	s_waitcnt vmcnt(0)
	ds_write_b64 v46, v[6:7]
.LBB88_41:                              ;   in Loop: Header=BB88_7 Depth=2
	s_andn2_saveexec_b32 s6, s6
; %bb.42:                               ;   in Loop: Header=BB88_7 Depth=2
	v_mov_b32_e32 v6, v11
	v_mov_b32_e32 v7, v11
	ds_write_b64 v46, v[6:7]
; %bb.43:                               ;   in Loop: Header=BB88_7 Depth=2
	s_or_b32 exec_lo, exec_lo, s6
	s_nor_b32 s5, s5, s0
	s_and_saveexec_b32 s6, s5
	s_xor_b32 s5, exec_lo, s6
	s_cbranch_execz .LBB88_45
; %bb.44:                               ;   in Loop: Header=BB88_7 Depth=2
	global_load_dwordx2 v[4:5], v[4:5], off
	s_waitcnt vmcnt(0)
	ds_write_b64 v46, v[4:5] offset:128
.LBB88_45:                              ;   in Loop: Header=BB88_7 Depth=2
	s_andn2_saveexec_b32 s5, s5
; %bb.46:                               ;   in Loop: Header=BB88_7 Depth=2
	v_mov_b32_e32 v4, v11
	v_mov_b32_e32 v5, v11
	ds_write_b64 v46, v[4:5] offset:128
; %bb.47:                               ;   in Loop: Header=BB88_7 Depth=2
	s_or_b32 exec_lo, exec_lo, s5
	v_cmp_le_i64_e64 s5, s[24:25], v[2:3]
	v_add_co_u32 v2, s6, v41, v20
	v_add_co_ci_u32_e64 v3, null, v42, v51, s6
	s_nor_b32 s6, s5, vcc_lo
	s_and_saveexec_b32 s8, s6
	s_xor_b32 s6, exec_lo, s8
	s_cbranch_execz .LBB88_49
; %bb.48:                               ;   in Loop: Header=BB88_7 Depth=2
	global_load_dwordx2 v[4:5], v[2:3], off
	s_waitcnt vmcnt(0)
	ds_write_b64 v46, v[4:5] offset:4096
.LBB88_49:                              ;   in Loop: Header=BB88_7 Depth=2
	s_andn2_saveexec_b32 s6, s6
; %bb.50:                               ;   in Loop: Header=BB88_7 Depth=2
	v_mov_b32_e32 v4, v11
	v_mov_b32_e32 v5, v11
	ds_write_b64 v46, v[4:5] offset:4096
; %bb.51:                               ;   in Loop: Header=BB88_7 Depth=2
	s_or_b32 exec_lo, exec_lo, s6
	s_nor_b32 s5, s5, s0
	s_and_saveexec_b32 s6, s5
	s_xor_b32 s5, exec_lo, s6
	s_cbranch_execz .LBB88_53
; %bb.52:                               ;   in Loop: Header=BB88_7 Depth=2
	global_load_dwordx2 v[2:3], v[2:3], off offset:128
	s_waitcnt vmcnt(0)
	ds_write_b64 v46, v[2:3] offset:4224
.LBB88_53:                              ;   in Loop: Header=BB88_7 Depth=2
	s_andn2_saveexec_b32 s5, s5
	s_cbranch_execz .LBB88_6
; %bb.54:                               ;   in Loop: Header=BB88_7 Depth=2
	v_mov_b32_e32 v2, v11
	v_mov_b32_e32 v3, v11
	ds_write_b64 v46, v[2:3] offset:4224
	s_branch .LBB88_6
.LBB88_55:                              ;   in Loop: Header=BB88_4 Depth=1
	v_mul_lo_u32 v4, s29, v25
	v_mul_lo_u32 v5, s28, v26
	v_mad_u64_u32 v[2:3], null, s28, v25, 0
	v_cmp_gt_i32_e64 s3, s14, v25
	v_add3_u32 v3, v3, v5, v4
	v_lshlrev_b64 v[2:3], 3, v[2:3]
	v_add_co_u32 v2, s4, s26, v2
	v_add_co_ci_u32_e64 v3, null, s27, v3, s4
	s_and_b32 s4, s1, s3
	s_and_saveexec_b32 s5, s4
	s_cbranch_execz .LBB88_57
; %bb.56:                               ;   in Loop: Header=BB88_4 Depth=1
	v_add_co_u32 v4, s4, v2, v12
	v_add_co_ci_u32_e64 v5, null, v3, v13, s4
	v_mul_f32_e32 v8, s35, v61
	v_mul_f32_e32 v9, s34, v61
	global_load_dwordx2 v[6:7], v[4:5], off
	v_fma_f32 v8, v60, s34, -v8
	v_fmac_f32_e32 v9, s35, v60
	s_waitcnt vmcnt(0)
	v_add_f32_e32 v6, v6, v8
	v_add_f32_e32 v7, v9, v7
	global_store_dwordx2 v[4:5], v[6:7], off
.LBB88_57:                              ;   in Loop: Header=BB88_4 Depth=1
	s_or_b32 exec_lo, exec_lo, s5
	s_and_b32 s3, s2, s3
	s_and_saveexec_b32 s4, s3
	s_cbranch_execz .LBB88_59
; %bb.58:                               ;   in Loop: Header=BB88_4 Depth=1
	v_add_co_u32 v2, s3, v2, v23
	v_add_co_ci_u32_e64 v3, null, v3, v24, s3
	v_mul_f32_e32 v6, s35, v59
	v_mul_f32_e32 v7, s34, v59
	global_load_dwordx2 v[4:5], v[2:3], off
	v_fma_f32 v6, v58, s34, -v6
	v_fmac_f32_e32 v7, s35, v58
	s_waitcnt vmcnt(0)
	v_add_f32_e32 v4, v4, v6
	v_add_f32_e32 v5, v7, v5
	global_store_dwordx2 v[2:3], v[4:5], off
.LBB88_59:                              ;   in Loop: Header=BB88_4 Depth=1
	s_or_b32 exec_lo, exec_lo, s4
	v_add_nc_u32_e32 v4, 16, v25
	v_ashrrev_i32_e32 v5, 31, v4
	v_mul_lo_u32 v6, s29, v4
	v_mad_u64_u32 v[2:3], null, s28, v4, 0
	v_cmp_gt_i32_e64 s3, s14, v4
	v_mul_lo_u32 v5, s28, v5
	v_add3_u32 v3, v3, v5, v6
	v_lshlrev_b64 v[2:3], 3, v[2:3]
	v_add_co_u32 v2, s4, s26, v2
	v_add_co_ci_u32_e64 v3, null, s27, v3, s4
	s_and_b32 s4, s1, s3
	s_and_saveexec_b32 s5, s4
	s_cbranch_execz .LBB88_61
; %bb.60:                               ;   in Loop: Header=BB88_4 Depth=1
	v_add_co_u32 v4, s4, v2, v12
	v_add_co_ci_u32_e64 v5, null, v3, v13, s4
	v_mul_f32_e32 v8, s35, v57
	v_mul_f32_e32 v9, s34, v57
	global_load_dwordx2 v[6:7], v[4:5], off
	v_fma_f32 v8, v56, s34, -v8
	v_fmac_f32_e32 v9, s35, v56
	s_waitcnt vmcnt(0)
	v_add_f32_e32 v6, v6, v8
	v_add_f32_e32 v7, v9, v7
	global_store_dwordx2 v[4:5], v[6:7], off
.LBB88_61:                              ;   in Loop: Header=BB88_4 Depth=1
	s_or_b32 exec_lo, exec_lo, s5
	s_and_b32 s3, s2, s3
	s_and_saveexec_b32 s4, s3
	s_cbranch_execz .LBB88_3
; %bb.62:                               ;   in Loop: Header=BB88_4 Depth=1
	v_add_co_u32 v2, s3, v2, v23
	v_add_co_ci_u32_e64 v3, null, v3, v24, s3
	v_mul_f32_e32 v6, s35, v22
	v_mul_f32_e32 v7, s34, v22
	global_load_dwordx2 v[4:5], v[2:3], off
	v_fma_f32 v6, v55, s34, -v6
	v_fmac_f32_e32 v7, s35, v55
	s_waitcnt vmcnt(0)
	v_add_f32_e32 v4, v4, v6
	v_add_f32_e32 v5, v7, v5
	global_store_dwordx2 v[2:3], v[4:5], off
	s_branch .LBB88_3
.LBB88_63:
	s_endpgm
	.section	.rodata,"a",@progbits
	.p2align	6, 0x0
	.amdhsa_kernel _ZL30rocblas_trmm_outofplace_kernelI19rocblas_complex_numIfELi32ELi2ELb0ELb0ELb1ELb0EPKS1_S2_S1_Ev17rocblas_diagonal_iiT6_lPT7_lllS7_lllPT8_llli
		.amdhsa_group_segment_fixed_size 16384
		.amdhsa_private_segment_fixed_size 0
		.amdhsa_kernarg_size 392
		.amdhsa_user_sgpr_count 6
		.amdhsa_user_sgpr_private_segment_buffer 1
		.amdhsa_user_sgpr_dispatch_ptr 0
		.amdhsa_user_sgpr_queue_ptr 0
		.amdhsa_user_sgpr_kernarg_segment_ptr 1
		.amdhsa_user_sgpr_dispatch_id 0
		.amdhsa_user_sgpr_flat_scratch_init 0
		.amdhsa_user_sgpr_private_segment_size 0
		.amdhsa_wavefront_size32 1
		.amdhsa_uses_dynamic_stack 0
		.amdhsa_system_sgpr_private_segment_wavefront_offset 0
		.amdhsa_system_sgpr_workgroup_id_x 1
		.amdhsa_system_sgpr_workgroup_id_y 1
		.amdhsa_system_sgpr_workgroup_id_z 1
		.amdhsa_system_sgpr_workgroup_info 0
		.amdhsa_system_vgpr_workitem_id 1
		.amdhsa_next_free_vgpr 92
		.amdhsa_next_free_sgpr 44
		.amdhsa_reserve_vcc 1
		.amdhsa_reserve_flat_scratch 0
		.amdhsa_float_round_mode_32 0
		.amdhsa_float_round_mode_16_64 0
		.amdhsa_float_denorm_mode_32 3
		.amdhsa_float_denorm_mode_16_64 3
		.amdhsa_dx10_clamp 1
		.amdhsa_ieee_mode 1
		.amdhsa_fp16_overflow 0
		.amdhsa_workgroup_processor_mode 1
		.amdhsa_memory_ordered 1
		.amdhsa_forward_progress 1
		.amdhsa_shared_vgpr_count 0
		.amdhsa_exception_fp_ieee_invalid_op 0
		.amdhsa_exception_fp_denorm_src 0
		.amdhsa_exception_fp_ieee_div_zero 0
		.amdhsa_exception_fp_ieee_overflow 0
		.amdhsa_exception_fp_ieee_underflow 0
		.amdhsa_exception_fp_ieee_inexact 0
		.amdhsa_exception_int_div_zero 0
	.end_amdhsa_kernel
	.section	.text._ZL30rocblas_trmm_outofplace_kernelI19rocblas_complex_numIfELi32ELi2ELb0ELb0ELb1ELb0EPKS1_S2_S1_Ev17rocblas_diagonal_iiT6_lPT7_lllS7_lllPT8_llli,"axG",@progbits,_ZL30rocblas_trmm_outofplace_kernelI19rocblas_complex_numIfELi32ELi2ELb0ELb0ELb1ELb0EPKS1_S2_S1_Ev17rocblas_diagonal_iiT6_lPT7_lllS7_lllPT8_llli,comdat
.Lfunc_end88:
	.size	_ZL30rocblas_trmm_outofplace_kernelI19rocblas_complex_numIfELi32ELi2ELb0ELb0ELb1ELb0EPKS1_S2_S1_Ev17rocblas_diagonal_iiT6_lPT7_lllS7_lllPT8_llli, .Lfunc_end88-_ZL30rocblas_trmm_outofplace_kernelI19rocblas_complex_numIfELi32ELi2ELb0ELb0ELb1ELb0EPKS1_S2_S1_Ev17rocblas_diagonal_iiT6_lPT7_lllS7_lllPT8_llli
                                        ; -- End function
	.set _ZL30rocblas_trmm_outofplace_kernelI19rocblas_complex_numIfELi32ELi2ELb0ELb0ELb1ELb0EPKS1_S2_S1_Ev17rocblas_diagonal_iiT6_lPT7_lllS7_lllPT8_llli.num_vgpr, 92
	.set _ZL30rocblas_trmm_outofplace_kernelI19rocblas_complex_numIfELi32ELi2ELb0ELb0ELb1ELb0EPKS1_S2_S1_Ev17rocblas_diagonal_iiT6_lPT7_lllS7_lllPT8_llli.num_agpr, 0
	.set _ZL30rocblas_trmm_outofplace_kernelI19rocblas_complex_numIfELi32ELi2ELb0ELb0ELb1ELb0EPKS1_S2_S1_Ev17rocblas_diagonal_iiT6_lPT7_lllS7_lllPT8_llli.numbered_sgpr, 44
	.set _ZL30rocblas_trmm_outofplace_kernelI19rocblas_complex_numIfELi32ELi2ELb0ELb0ELb1ELb0EPKS1_S2_S1_Ev17rocblas_diagonal_iiT6_lPT7_lllS7_lllPT8_llli.num_named_barrier, 0
	.set _ZL30rocblas_trmm_outofplace_kernelI19rocblas_complex_numIfELi32ELi2ELb0ELb0ELb1ELb0EPKS1_S2_S1_Ev17rocblas_diagonal_iiT6_lPT7_lllS7_lllPT8_llli.private_seg_size, 0
	.set _ZL30rocblas_trmm_outofplace_kernelI19rocblas_complex_numIfELi32ELi2ELb0ELb0ELb1ELb0EPKS1_S2_S1_Ev17rocblas_diagonal_iiT6_lPT7_lllS7_lllPT8_llli.uses_vcc, 1
	.set _ZL30rocblas_trmm_outofplace_kernelI19rocblas_complex_numIfELi32ELi2ELb0ELb0ELb1ELb0EPKS1_S2_S1_Ev17rocblas_diagonal_iiT6_lPT7_lllS7_lllPT8_llli.uses_flat_scratch, 0
	.set _ZL30rocblas_trmm_outofplace_kernelI19rocblas_complex_numIfELi32ELi2ELb0ELb0ELb1ELb0EPKS1_S2_S1_Ev17rocblas_diagonal_iiT6_lPT7_lllS7_lllPT8_llli.has_dyn_sized_stack, 0
	.set _ZL30rocblas_trmm_outofplace_kernelI19rocblas_complex_numIfELi32ELi2ELb0ELb0ELb1ELb0EPKS1_S2_S1_Ev17rocblas_diagonal_iiT6_lPT7_lllS7_lllPT8_llli.has_recursion, 0
	.set _ZL30rocblas_trmm_outofplace_kernelI19rocblas_complex_numIfELi32ELi2ELb0ELb0ELb1ELb0EPKS1_S2_S1_Ev17rocblas_diagonal_iiT6_lPT7_lllS7_lllPT8_llli.has_indirect_call, 0
	.section	.AMDGPU.csdata,"",@progbits
; Kernel info:
; codeLenInByte = 6572
; TotalNumSgprs: 46
; NumVgprs: 92
; ScratchSize: 0
; MemoryBound: 1
; FloatMode: 240
; IeeeMode: 1
; LDSByteSize: 16384 bytes/workgroup (compile time only)
; SGPRBlocks: 0
; VGPRBlocks: 11
; NumSGPRsForWavesPerEU: 46
; NumVGPRsForWavesPerEU: 92
; Occupancy: 10
; WaveLimiterHint : 0
; COMPUTE_PGM_RSRC2:SCRATCH_EN: 0
; COMPUTE_PGM_RSRC2:USER_SGPR: 6
; COMPUTE_PGM_RSRC2:TRAP_HANDLER: 0
; COMPUTE_PGM_RSRC2:TGID_X_EN: 1
; COMPUTE_PGM_RSRC2:TGID_Y_EN: 1
; COMPUTE_PGM_RSRC2:TGID_Z_EN: 1
; COMPUTE_PGM_RSRC2:TIDIG_COMP_CNT: 1
	.section	.text._ZL30rocblas_trmm_outofplace_kernelI19rocblas_complex_numIfELi32ELi2ELb0ELb0ELb1ELb0ES1_KS1_S1_Ev17rocblas_diagonal_iiT6_lPT7_lllS6_lllPT8_llli,"axG",@progbits,_ZL30rocblas_trmm_outofplace_kernelI19rocblas_complex_numIfELi32ELi2ELb0ELb0ELb1ELb0ES1_KS1_S1_Ev17rocblas_diagonal_iiT6_lPT7_lllS6_lllPT8_llli,comdat
	.globl	_ZL30rocblas_trmm_outofplace_kernelI19rocblas_complex_numIfELi32ELi2ELb0ELb0ELb1ELb0ES1_KS1_S1_Ev17rocblas_diagonal_iiT6_lPT7_lllS6_lllPT8_llli ; -- Begin function _ZL30rocblas_trmm_outofplace_kernelI19rocblas_complex_numIfELi32ELi2ELb0ELb0ELb1ELb0ES1_KS1_S1_Ev17rocblas_diagonal_iiT6_lPT7_lllS6_lllPT8_llli
	.p2align	8
	.type	_ZL30rocblas_trmm_outofplace_kernelI19rocblas_complex_numIfELi32ELi2ELb0ELb0ELb1ELb0ES1_KS1_S1_Ev17rocblas_diagonal_iiT6_lPT7_lllS6_lllPT8_llli,@function
_ZL30rocblas_trmm_outofplace_kernelI19rocblas_complex_numIfELi32ELi2ELb0ELb0ELb1ELb0ES1_KS1_S1_Ev17rocblas_diagonal_iiT6_lPT7_lllS6_lllPT8_llli: ; @_ZL30rocblas_trmm_outofplace_kernelI19rocblas_complex_numIfELi32ELi2ELb0ELb0ELb1ELb0ES1_KS1_S1_Ev17rocblas_diagonal_iiT6_lPT7_lllS6_lllPT8_llli
; %bb.0:
	s_clause 0x1
	s_load_dwordx4 s[28:31], s[4:5], 0x0
	s_load_dword s11, s[4:5], 0x10
	s_waitcnt lgkmcnt(0)
	s_or_b32 s0, s31, s11
	s_bitset0_b32 s0, 31
	s_cmp_eq_u32 s0, 0
	s_cbranch_scc1 .LBB89_63
; %bb.1:
	s_add_i32 s0, s30, -1
	s_ashr_i32 s1, s0, 31
	s_lshr_b32 s1, s1, 27
	s_add_i32 s0, s0, s1
	s_ashr_i32 s33, s0, 5
	s_cmp_gt_i32 s7, s33
	s_cbranch_scc1 .LBB89_63
; %bb.2:
	s_clause 0x1
	s_load_dwordx16 s[12:27], s[4:5], 0x20
	s_load_dwordx8 s[36:43], s[4:5], 0x60
	v_lshl_add_u32 v2, s6, 5, v0
	v_lshlrev_b32_e32 v18, 3, v0
	v_lshlrev_b32_e32 v43, 8, v1
	v_lshl_add_u32 v22, v1, 3, 0x80
	v_mov_b32_e32 v11, 0
	v_add_nc_u32_e32 v8, 16, v2
	v_or_b32_e32 v45, 0x2000, v18
	v_add_nc_u32_e32 v44, v43, v18
	v_add_nc_u32_e32 v46, v45, v43
	;; [unrolled: 1-line block ×5, first 2 shown]
	s_waitcnt lgkmcnt(0)
	v_mad_u64_u32 v[4:5], null, s16, v0, 0
	s_mul_i32 s1, s19, s8
	s_mul_hi_u32 s2, s18, s8
	s_mul_i32 s0, s18, s8
	s_add_i32 s1, s2, s1
	s_mul_i32 s3, s27, s8
	s_lshl_b64 s[0:1], s[0:1], 3
	v_mov_b32_e32 v3, v5
	s_add_u32 s10, s12, s0
	s_addc_u32 s18, s13, s1
	s_lshl_b64 s[44:45], s[14:15], 3
	s_mul_hi_u32 s6, s26, s8
	v_mad_u64_u32 v[5:6], null, s17, v0, v[3:4]
	s_add_u32 s10, s10, s44
	s_mul_i32 s2, s26, s8
	s_addc_u32 s14, s18, s45
	s_add_i32 s3, s6, s3
	s_mul_i32 s9, s43, s8
	s_lshl_b64 s[2:3], s[2:3], 3
	v_lshlrev_b64 v[4:5], 3, v[4:5]
	s_add_u32 s15, s20, s2
	s_addc_u32 s18, s21, s3
	s_lshl_b64 s[2:3], s[22:23], 3
	s_mul_hi_u32 s6, s42, s8
	s_load_dword s26, s[4:5], 0x8c
	v_ashrrev_i32_e32 v3, 31, v2
	s_add_u32 s15, s15, s2
	s_mul_i32 s8, s42, s8
	s_addc_u32 s18, s18, s3
	s_add_i32 s9, s6, s9
	v_lshlrev_b64 v[12:13], 3, v[2:3]
	s_lshl_b64 s[2:3], s[8:9], 3
	v_add_co_u32 v14, vcc_lo, s10, v4
	s_add_u32 s4, s36, s2
	s_addc_u32 s5, s37, s3
	s_lshl_b64 s[2:3], s[38:39], 3
	v_add_co_ci_u32_e64 v15, null, s14, v5, vcc_lo
	v_mad_u64_u32 v[4:5], null, s24, v1, 0
	s_add_u32 s27, s4, s2
	s_addc_u32 s34, s5, s3
	s_cmpk_eq_i32 s28, 0x84
	v_add_co_u32 v16, vcc_lo, s15, v12
	v_add_co_ci_u32_e64 v17, null, s18, v13, vcc_lo
	s_cselect_b32 s28, -1, 0
	s_ashr_i32 s2, s29, 31
	v_sub_co_u32 v6, vcc_lo, s29, v2
	v_sub_co_ci_u32_e64 v7, null, s2, v3, vcc_lo
	v_mov_b32_e32 v3, v5
	s_ashr_i32 s15, s30, 31
	s_lshl_b64 s[18:19], s[16:17], 8
	s_lshl_b64 s[20:21], s[24:25], 8
	s_add_u32 s22, s30, -16
	s_addc_u32 s23, s15, -1
	s_waitcnt lgkmcnt(0)
	s_lshl_b32 s35, s26, 5
	v_mad_u64_u32 v[9:10], null, s25, v1, v[3:4]
	v_add_nc_u32_e32 v10, 0x80, v18
	s_add_u32 s2, s12, s44
	s_addc_u32 s3, s13, s45
	s_add_u32 s0, s2, s0
	s_addc_u32 s1, s3, s1
	v_mad_u64_u32 v[20:21], null, s24, v22, 0
	v_mad_u64_u32 v[18:19], null, s16, v10, s[0:1]
	v_mov_b32_e32 v5, v9
	v_cmp_gt_i32_e64 s1, s29, v2
	v_cmp_gt_i64_e32 vcc_lo, 1, v[6:7]
	v_cmp_gt_i64_e64 s0, 17, v[6:7]
	v_mov_b32_e32 v3, v21
	v_lshlrev_b64 v[4:5], 3, v[4:5]
	v_mov_b32_e32 v2, v19
	v_ashrrev_i32_e32 v9, 31, v8
	v_sub_co_u32 v47, s3, 0, v0
	v_sub_co_ci_u32_e64 v48, null, 0, 0, s3
	v_mad_u64_u32 v[6:7], null, s17, v10, v[2:3]
	v_mad_u64_u32 v[2:3], null, s25, v22, v[3:4]
	v_add_co_u32 v49, s3, 0x80, v4
	v_lshlrev_b64 v[23:24], 3, v[8:9]
	v_cmp_gt_i32_e64 s2, s29, v8
	v_lshl_add_u32 v21, s7, 5, v1
	v_add_co_ci_u32_e64 v50, null, 0, v5, s3
	v_mov_b32_e32 v19, v6
	v_mov_b32_e32 v51, v2
	v_mov_b32_e32 v10, 1.0
	s_mov_b32 s14, s30
	s_branch .LBB89_4
.LBB89_3:                               ;   in Loop: Header=BB89_4 Depth=1
	s_or_b32 exec_lo, exec_lo, s4
	v_add_nc_u32_e32 v21, s35, v21
	s_add_i32 s7, s26, s7
	s_cmp_le_i32 s7, s33
	s_cbranch_scc0 .LBB89_63
.LBB89_4:                               ; =>This Loop Header: Depth=1
                                        ;     Child Loop BB89_7 Depth 2
	s_lshl_b32 s16, s7, 5
	v_mov_b32_e32 v60, v11
	v_add_nc_u32_e32 v25, s16, v1
	v_mov_b32_e32 v61, v11
	v_mov_b32_e32 v58, v11
	;; [unrolled: 1-line block ×4, first 2 shown]
	v_ashrrev_i32_e32 v26, 31, v25
	v_mov_b32_e32 v57, v11
	v_mov_b32_e32 v55, v11
	;; [unrolled: 1-line block ×3, first 2 shown]
	s_cmp_lt_i32 s7, 0
	s_cbranch_scc1 .LBB89_55
; %bb.5:                                ;   in Loop: Header=BB89_4 Depth=1
	v_ashrrev_i32_e32 v22, 31, v21
	v_add_co_u32 v27, s3, v25, 16
	v_add_co_ci_u32_e64 v28, null, 0, v26, s3
	v_add_co_u32 v29, s3, v47, v21
	v_add_co_ci_u32_e64 v30, null, v48, v22, s3
	v_lshlrev_b64 v[31:32], 3, v[21:22]
	v_add_co_u32 v33, s5, v29, 16
	v_add_co_ci_u32_e64 v34, null, 0, v30, s5
	v_add_co_u32 v35, s5, v29, -16
	v_cmp_le_i64_e64 s4, s[14:15], v[27:28]
	v_mov_b32_e32 v38, v15
	v_mov_b32_e32 v40, v19
	;; [unrolled: 1-line block ×3, first 2 shown]
	v_cmp_le_i32_e64 s3, s30, v25
	v_add_co_ci_u32_e64 v36, null, -1, v30, s5
	v_mov_b32_e32 v22, 0
	v_mov_b32_e32 v37, v14
	;; [unrolled: 1-line block ×11, first 2 shown]
	s_mov_b64 s[12:13], 0
	s_branch .LBB89_7
.LBB89_6:                               ;   in Loop: Header=BB89_7 Depth=2
	s_or_b32 exec_lo, exec_lo, s5
	s_waitcnt lgkmcnt(0)
	s_barrier
	buffer_gl0_inv
	ds_read_b128 v[62:65], v43
	ds_read2_b64 v[66:69], v45 offset1:16
	ds_read_b128 v[70:73], v43 offset:4096
	ds_read_b128 v[74:77], v43 offset:16
	;; [unrolled: 1-line block ×4, first 2 shown]
	ds_read2_b64 v[78:81], v45 offset0:32 offset1:48
	ds_read_b128 v[82:85], v43 offset:4112
	v_add_co_u32 v41, s5, v41, s20
	v_add_co_ci_u32_e64 v42, null, s21, v42, s5
	v_add_co_u32 v39, s5, v39, s18
	v_add_co_ci_u32_e64 v40, null, s19, v40, s5
	v_add_co_u32 v37, s5, v37, s18
	s_add_u32 s12, s12, 32
	v_add_co_ci_u32_e64 v38, null, s19, v38, s5
	s_waitcnt lgkmcnt(6)
	v_mul_f32_e32 v86, v63, v67
	v_mul_f32_e32 v87, v62, v67
	;; [unrolled: 1-line block ×4, first 2 shown]
	s_waitcnt lgkmcnt(5)
	v_mul_f32_e32 v90, v71, v67
	v_mul_f32_e32 v67, v70, v67
	;; [unrolled: 1-line block ×3, first 2 shown]
	v_fma_f32 v86, v62, v66, -v86
	v_fmac_f32_e32 v87, v63, v66
	v_fma_f32 v62, v62, v68, -v88
	v_fmac_f32_e32 v89, v63, v68
	;; [unrolled: 2-line block ×3, first 2 shown]
	v_fma_f32 v66, v70, v68, -v91
	v_mul_f32_e32 v69, v70, v69
	v_add_f32_e32 v62, v58, v62
	v_add_f32_e32 v63, v56, v63
	;; [unrolled: 1-line block ×3, first 2 shown]
	s_waitcnt lgkmcnt(1)
	v_mul_f32_e32 v70, v65, v79
	v_add_f32_e32 v66, v55, v66
	ds_read2_b64 v[55:58], v45 offset0:64 offset1:80
	v_add_f32_e32 v60, v60, v86
	v_fmac_f32_e32 v69, v71, v68
	v_mul_f32_e32 v68, v64, v79
	v_fma_f32 v70, v64, v78, -v70
	v_mul_f32_e32 v71, v65, v81
	v_add_f32_e32 v61, v61, v87
	v_add_f32_e32 v22, v22, v69
	v_fmac_f32_e32 v68, v65, v78
	v_mul_f32_e32 v69, v64, v81
	v_add_f32_e32 v70, v60, v70
	v_fma_f32 v60, v64, v80, -v71
	v_mul_f32_e32 v64, v73, v79
	v_add_f32_e32 v59, v59, v89
	v_add_f32_e32 v68, v61, v68
	v_fmac_f32_e32 v69, v65, v80
	v_mul_f32_e32 v61, v72, v79
	v_add_f32_e32 v65, v62, v60
	v_fma_f32 v60, v72, v78, -v64
	v_mul_f32_e32 v62, v73, v81
	v_add_f32_e32 v64, v59, v69
	v_fmac_f32_e32 v61, v73, v78
	v_mul_f32_e32 v69, v72, v81
	v_add_f32_e32 v63, v63, v60
	v_fma_f32 v59, v72, v80, -v62
	s_waitcnt lgkmcnt(0)
	v_mul_f32_e32 v60, v75, v56
	v_add_f32_e32 v67, v67, v61
	v_fmac_f32_e32 v69, v73, v80
	v_mul_f32_e32 v71, v74, v56
	v_add_f32_e32 v66, v66, v59
	v_fma_f32 v72, v74, v55, -v60
	v_mul_f32_e32 v73, v75, v58
	ds_read2_b64 v[59:62], v45 offset0:96 offset1:112
	v_fmac_f32_e32 v71, v75, v55
	v_add_f32_e32 v22, v22, v69
	v_add_f32_e32 v69, v70, v72
	v_fma_f32 v72, v74, v57, -v73
	v_mul_f32_e32 v70, v74, v58
	v_add_f32_e32 v68, v68, v71
	v_mul_f32_e32 v71, v83, v56
	v_mul_f32_e32 v56, v82, v56
	v_add_f32_e32 v65, v65, v72
	v_mul_f32_e32 v72, v83, v58
	v_fmac_f32_e32 v70, v75, v57
	v_fma_f32 v71, v82, v55, -v71
	v_fmac_f32_e32 v56, v83, v55
	v_mul_f32_e32 v73, v82, v58
	v_fma_f32 v55, v82, v57, -v72
	v_add_f32_e32 v64, v64, v70
	v_add_f32_e32 v70, v63, v71
	;; [unrolled: 1-line block ×3, first 2 shown]
	v_fmac_f32_e32 v73, v83, v57
	s_waitcnt lgkmcnt(0)
	v_mul_f32_e32 v63, v77, v60
	v_add_f32_e32 v71, v66, v55
	ds_read2_b64 v[55:58], v45 offset0:128 offset1:144
	v_mul_f32_e32 v66, v76, v60
	v_mul_f32_e32 v72, v77, v62
	v_fma_f32 v63, v76, v59, -v63
	v_add_f32_e32 v22, v22, v73
	v_mul_f32_e32 v73, v76, v62
	v_fmac_f32_e32 v66, v77, v59
	v_fma_f32 v72, v76, v61, -v72
	v_add_f32_e32 v69, v69, v63
	v_mul_f32_e32 v63, v85, v60
	v_fmac_f32_e32 v73, v77, v61
	v_mul_f32_e32 v60, v84, v60
	v_mul_f32_e32 v75, v85, v62
	v_add_f32_e32 v68, v68, v66
	v_fma_f32 v74, v84, v59, -v63
	v_add_f32_e32 v72, v65, v72
	v_add_f32_e32 v73, v64, v73
	ds_read_b128 v[63:66], v43 offset:4128
	v_fmac_f32_e32 v60, v85, v59
	v_add_f32_e32 v74, v70, v74
	v_mul_f32_e32 v70, v84, v62
	v_fma_f32 v59, v84, v61, -v75
	s_waitcnt lgkmcnt(1)
	v_mul_f32_e32 v62, v7, v56
	v_add_f32_e32 v75, v67, v60
	v_mul_f32_e32 v67, v6, v56
	v_fmac_f32_e32 v70, v85, v61
	v_add_f32_e32 v71, v71, v59
	v_fma_f32 v76, v6, v55, -v62
	ds_read2_b64 v[59:62], v45 offset0:160 offset1:176
	v_fmac_f32_e32 v67, v7, v55
	v_mul_f32_e32 v77, v7, v58
	v_mul_f32_e32 v78, v6, v58
	v_add_f32_e32 v22, v22, v70
	v_add_f32_e32 v76, v69, v76
	;; [unrolled: 1-line block ×3, first 2 shown]
	v_fma_f32 v6, v6, v57, -v77
	ds_read_b128 v[67:70], v43 offset:4144
	s_waitcnt lgkmcnt(2)
	v_mul_f32_e32 v77, v64, v56
	v_fmac_f32_e32 v78, v7, v57
	v_mul_f32_e32 v7, v63, v56
	v_mul_f32_e32 v56, v64, v58
	v_add_f32_e32 v6, v72, v6
	v_fma_f32 v72, v63, v55, -v77
	v_mul_f32_e32 v77, v63, v58
	v_fmac_f32_e32 v7, v64, v55
	v_fma_f32 v55, v63, v57, -v56
	v_add_f32_e32 v73, v73, v78
	v_add_f32_e32 v63, v74, v72
	s_waitcnt lgkmcnt(1)
	v_mul_f32_e32 v56, v9, v60
	v_fmac_f32_e32 v77, v64, v57
	v_add_f32_e32 v64, v71, v55
	v_mul_f32_e32 v74, v9, v62
	v_add_f32_e32 v7, v75, v7
	v_fma_f32 v72, v8, v59, -v56
	ds_read2_b64 v[55:58], v45 offset0:192 offset1:208
	v_mul_f32_e32 v71, v8, v60
	v_mul_f32_e32 v75, v8, v62
	v_fma_f32 v8, v8, v61, -v74
	v_mul_f32_e32 v74, v66, v60
	v_mul_f32_e32 v60, v65, v60
	v_add_f32_e32 v72, v76, v72
	v_fmac_f32_e32 v71, v9, v59
	v_add_f32_e32 v76, v6, v8
	v_fma_f32 v6, v65, v59, -v74
	v_fmac_f32_e32 v60, v66, v59
	v_mul_f32_e32 v8, v66, v62
	v_fmac_f32_e32 v75, v9, v61
	v_mul_f32_e32 v62, v65, v62
	v_add_f32_e32 v63, v63, v6
	v_add_f32_e32 v60, v7, v60
	v_fma_f32 v65, v65, v61, -v8
	ds_read2_b64 v[6:9], v45 offset0:224 offset1:240
	v_add_f32_e32 v59, v73, v75
	v_fmac_f32_e32 v62, v66, v61
	s_waitcnt lgkmcnt(1)
	v_mul_f32_e32 v73, v3, v56
	v_mul_f32_e32 v61, v2, v56
	v_add_f32_e32 v71, v79, v71
	v_add_f32_e32 v64, v64, v65
	v_mul_f32_e32 v66, v3, v58
	v_fma_f32 v65, v2, v55, -v73
	v_fmac_f32_e32 v61, v3, v55
	v_mul_f32_e32 v73, v2, v58
	v_add_f32_e32 v22, v22, v77
	v_fma_f32 v2, v2, v57, -v66
	v_add_f32_e32 v65, v72, v65
	v_add_f32_e32 v66, v71, v61
	v_fmac_f32_e32 v73, v3, v57
	v_mul_f32_e32 v3, v68, v56
	v_mul_f32_e32 v56, v67, v56
	;; [unrolled: 1-line block ×4, first 2 shown]
	s_waitcnt lgkmcnt(0)
	v_mul_f32_e32 v58, v5, v7
	v_fma_f32 v3, v67, v55, -v3
	v_fmac_f32_e32 v56, v68, v55
	v_fma_f32 v55, v67, v57, -v61
	v_add_f32_e32 v22, v22, v62
	v_add_f32_e32 v71, v59, v73
	;; [unrolled: 1-line block ×4, first 2 shown]
	v_fmac_f32_e32 v72, v68, v57
	v_add_f32_e32 v68, v64, v55
	v_fma_f32 v3, v4, v6, -v58
	ds_read_b128 v[55:58], v43 offset:64
	ds_read2_b64 v[59:62], v52 offset1:16
	v_mul_f32_e32 v64, v4, v7
	v_mul_f32_e32 v73, v5, v9
	v_add_f32_e32 v2, v76, v2
	v_add_f32_e32 v22, v22, v72
	v_mul_f32_e32 v72, v4, v9
	v_fmac_f32_e32 v64, v5, v6
	v_add_f32_e32 v74, v65, v3
	v_fma_f32 v3, v4, v8, -v73
	v_mul_f32_e32 v4, v70, v7
	v_mul_f32_e32 v7, v69, v7
	;; [unrolled: 1-line block ×3, first 2 shown]
	v_add_f32_e32 v73, v66, v64
	v_fmac_f32_e32 v72, v5, v8
	v_add_f32_e32 v75, v2, v3
	v_fma_f32 v64, v69, v6, -v4
	v_fmac_f32_e32 v7, v70, v6
	ds_read_b128 v[2:5], v43 offset:4160
	v_fma_f32 v6, v69, v8, -v65
	v_mul_f32_e32 v69, v69, v9
	s_waitcnt lgkmcnt(1)
	v_mul_f32_e32 v9, v56, v60
	v_add_f32_e32 v76, v67, v7
	v_mul_f32_e32 v67, v55, v60
	v_add_f32_e32 v77, v68, v6
	v_fmac_f32_e32 v69, v70, v8
	v_fma_f32 v68, v55, v59, -v9
	ds_read2_b64 v[6:9], v52 offset0:32 offset1:48
	v_mul_f32_e32 v70, v56, v62
	v_mul_f32_e32 v78, v55, v62
	v_add_f32_e32 v71, v71, v72
	v_add_f32_e32 v72, v63, v64
	ds_read_b128 v[63:66], v43 offset:80
	v_fmac_f32_e32 v67, v56, v59
	v_fma_f32 v55, v55, v61, -v70
	v_fmac_f32_e32 v78, v56, v61
	v_add_f32_e32 v74, v74, v68
	v_add_f32_e32 v22, v22, v69
	s_waitcnt lgkmcnt(2)
	v_mul_f32_e32 v79, v3, v60
	v_mul_f32_e32 v56, v2, v60
	;; [unrolled: 1-line block ×3, first 2 shown]
	v_add_f32_e32 v55, v75, v55
	v_add_f32_e32 v71, v71, v78
	v_fma_f32 v75, v2, v59, -v79
	v_fmac_f32_e32 v56, v3, v59
	v_mul_f32_e32 v78, v2, v62
	v_fma_f32 v2, v2, v61, -v60
	s_waitcnt lgkmcnt(1)
	v_mul_f32_e32 v59, v58, v7
	v_add_f32_e32 v72, v72, v75
	v_add_f32_e32 v56, v76, v56
	v_fmac_f32_e32 v78, v3, v61
	v_add_f32_e32 v75, v77, v2
	v_mul_f32_e32 v2, v57, v7
	v_fma_f32 v3, v57, v6, -v59
	ds_read2_b64 v[59:62], v52 offset0:64 offset1:80
	v_mul_f32_e32 v76, v58, v9
	v_add_f32_e32 v73, v73, v67
	v_fmac_f32_e32 v2, v58, v6
	v_add_f32_e32 v74, v74, v3
	v_mul_f32_e32 v3, v57, v9
	v_fma_f32 v57, v57, v8, -v76
	v_mul_f32_e32 v76, v5, v7
	v_mul_f32_e32 v7, v4, v7
	ds_read_b128 v[67:70], v43 offset:4176
	v_add_f32_e32 v73, v73, v2
	v_fmac_f32_e32 v3, v58, v8
	v_fma_f32 v2, v4, v6, -v76
	v_fmac_f32_e32 v7, v5, v6
	v_mul_f32_e32 v6, v5, v9
	v_mul_f32_e32 v9, v4, v9
	v_add_f32_e32 v55, v55, v57
	v_add_f32_e32 v57, v71, v3
	;; [unrolled: 1-line block ×3, first 2 shown]
	v_fma_f32 v6, v4, v8, -v6
	v_fmac_f32_e32 v9, v5, v8
	ds_read2_b64 v[2:5], v52 offset0:96 offset1:112
	v_add_f32_e32 v22, v22, v78
	v_add_f32_e32 v7, v56, v7
	s_waitcnt lgkmcnt(2)
	v_mul_f32_e32 v56, v64, v60
	v_mul_f32_e32 v8, v63, v60
	;; [unrolled: 1-line block ×3, first 2 shown]
	v_add_f32_e32 v22, v22, v9
	v_mul_f32_e32 v72, v63, v62
	v_fma_f32 v56, v63, v59, -v56
	v_fmac_f32_e32 v8, v64, v59
	v_fma_f32 v9, v63, v61, -v71
	v_add_f32_e32 v6, v75, v6
	v_fmac_f32_e32 v72, v64, v61
	v_add_f32_e32 v74, v74, v56
	v_add_f32_e32 v63, v73, v8
	s_waitcnt lgkmcnt(1)
	v_mul_f32_e32 v8, v68, v60
	v_mul_f32_e32 v56, v67, v60
	v_add_f32_e32 v60, v55, v9
	v_mul_f32_e32 v9, v68, v62
	v_add_f32_e32 v64, v57, v72
	v_fma_f32 v8, v67, v59, -v8
	v_fmac_f32_e32 v56, v68, v59
	v_mul_f32_e32 v59, v67, v62
	v_fma_f32 v9, v67, v61, -v9
	s_waitcnt lgkmcnt(0)
	v_mul_f32_e32 v55, v66, v3
	v_add_f32_e32 v67, v58, v8
	v_add_f32_e32 v71, v7, v56
	v_fmac_f32_e32 v59, v68, v61
	v_add_f32_e32 v68, v6, v9
	v_fma_f32 v61, v65, v2, -v55
	ds_read_b128 v[6:9], v43 offset:96
	ds_read2_b64 v[55:58], v52 offset0:128 offset1:144
	v_mul_f32_e32 v62, v65, v3
	v_mul_f32_e32 v72, v66, v5
	v_add_f32_e32 v22, v22, v59
	v_mul_f32_e32 v59, v65, v5
	v_add_f32_e32 v73, v74, v61
	v_fmac_f32_e32 v62, v66, v2
	v_fma_f32 v61, v65, v4, -v72
	v_mul_f32_e32 v65, v70, v3
	v_fmac_f32_e32 v59, v66, v4
	v_mul_f32_e32 v3, v69, v3
	v_add_f32_e32 v72, v63, v62
	v_add_f32_e32 v74, v60, v61
	v_fma_f32 v63, v69, v2, -v65
	v_mul_f32_e32 v65, v70, v5
	v_add_f32_e32 v75, v64, v59
	v_fmac_f32_e32 v3, v70, v2
	ds_read_b128 v[59:62], v43 offset:4192
	v_add_f32_e32 v76, v67, v63
	v_fma_f32 v2, v69, v4, -v65
	v_mul_f32_e32 v67, v69, v5
	s_waitcnt lgkmcnt(1)
	v_mul_f32_e32 v5, v7, v56
	v_add_f32_e32 v71, v71, v3
	v_mul_f32_e32 v69, v6, v56
	v_add_f32_e32 v77, v68, v2
	v_fmac_f32_e32 v67, v70, v4
	v_fma_f32 v68, v6, v55, -v5
	ds_read2_b64 v[2:5], v52 offset0:160 offset1:176
	v_mul_f32_e32 v70, v7, v58
	v_mul_f32_e32 v78, v6, v58
	ds_read_b128 v[63:66], v43 offset:112
	v_fmac_f32_e32 v69, v7, v55
	v_add_f32_e32 v73, v73, v68
	v_fma_f32 v6, v6, v57, -v70
	v_fmac_f32_e32 v78, v7, v57
	v_add_f32_e32 v22, v22, v67
	v_add_f32_e32 v72, v72, v69
	s_waitcnt lgkmcnt(2)
	v_mul_f32_e32 v79, v60, v56
	v_mul_f32_e32 v7, v59, v56
	;; [unrolled: 1-line block ×3, first 2 shown]
	v_add_f32_e32 v6, v74, v6
	v_add_f32_e32 v75, v75, v78
	v_fma_f32 v74, v59, v55, -v79
	v_fmac_f32_e32 v7, v60, v55
	v_mul_f32_e32 v78, v59, v58
	v_fma_f32 v55, v59, v57, -v56
	ds_read_b128 v[67:70], v43 offset:4208
	s_waitcnt lgkmcnt(2)
	v_mul_f32_e32 v56, v9, v3
	v_add_f32_e32 v59, v76, v74
	v_fmac_f32_e32 v78, v60, v57
	v_add_f32_e32 v60, v77, v55
	v_add_f32_e32 v7, v71, v7
	v_fma_f32 v74, v8, v2, -v56
	ds_read2_b64 v[55:58], v52 offset0:192 offset1:208
	v_mul_f32_e32 v71, v8, v3
	v_mul_f32_e32 v76, v9, v5
	v_add_f32_e32 v22, v22, v78
	v_add_f32_e32 v73, v73, v74
	v_mul_f32_e32 v74, v8, v5
	v_fmac_f32_e32 v71, v9, v2
	v_fma_f32 v8, v8, v4, -v76
	v_mul_f32_e32 v76, v62, v3
	v_mul_f32_e32 v3, v61, v3
	v_fmac_f32_e32 v74, v9, v4
	v_add_f32_e32 v71, v72, v71
	v_add_f32_e32 v6, v6, v8
	v_fma_f32 v8, v61, v2, -v76
	v_fmac_f32_e32 v3, v62, v2
	v_mul_f32_e32 v2, v62, v5
	v_mul_f32_e32 v72, v61, v5
	v_add_f32_e32 v9, v75, v74
	v_add_f32_e32 v8, v59, v8
	;; [unrolled: 1-line block ×3, first 2 shown]
	v_fma_f32 v59, v61, v4, -v2
	s_waitcnt lgkmcnt(0)
	v_mul_f32_e32 v61, v64, v56
	v_fmac_f32_e32 v72, v62, v4
	ds_read2_b64 v[2:5], v52 offset0:224 offset1:240
	v_mul_f32_e32 v74, v63, v58
	v_add_f32_e32 v59, v60, v59
	v_fma_f32 v60, v63, v55, -v61
	v_mul_f32_e32 v61, v64, v58
	v_mul_f32_e32 v62, v63, v56
	v_fmac_f32_e32 v74, v64, v57
	v_add_f32_e32 v22, v22, v72
	v_add_f32_e32 v60, v73, v60
	v_fma_f32 v61, v63, v57, -v61
	v_mul_f32_e32 v63, v68, v56
	v_mul_f32_e32 v56, v67, v56
	v_fmac_f32_e32 v62, v64, v55
	v_add_f32_e32 v64, v9, v74
	v_add_f32_e32 v61, v6, v61
	v_mul_f32_e32 v6, v68, v58
	v_fma_f32 v9, v67, v55, -v63
	v_fmac_f32_e32 v56, v68, v55
	v_mul_f32_e32 v63, v67, v58
	v_add_f32_e32 v62, v71, v62
	v_fma_f32 v6, v67, v57, -v6
	s_waitcnt lgkmcnt(0)
	v_mul_f32_e32 v55, v66, v3
	v_add_f32_e32 v67, v8, v9
	v_add_f32_e32 v71, v7, v56
	v_fmac_f32_e32 v63, v68, v57
	v_add_f32_e32 v68, v59, v6
	v_fma_f32 v59, v65, v2, -v55
	ds_read_b128 v[6:9], v43 offset:128
	ds_read2_b64 v[55:58], v53 offset1:16
	v_mul_f32_e32 v72, v65, v3
	v_mul_f32_e32 v73, v66, v5
	v_add_f32_e32 v22, v22, v63
	v_mul_f32_e32 v63, v65, v5
	v_add_f32_e32 v74, v60, v59
	v_mul_f32_e32 v60, v70, v3
	v_fmac_f32_e32 v72, v66, v2
	v_fma_f32 v59, v65, v4, -v73
	v_fmac_f32_e32 v63, v66, v4
	v_mul_f32_e32 v3, v69, v3
	v_fma_f32 v65, v69, v2, -v60
	v_mul_f32_e32 v66, v70, v5
	v_add_f32_e32 v72, v62, v72
	v_add_f32_e32 v73, v61, v59
	v_fmac_f32_e32 v3, v70, v2
	ds_read_b128 v[59:62], v43 offset:4224
	v_add_f32_e32 v76, v67, v65
	v_fma_f32 v2, v69, v4, -v66
	v_mul_f32_e32 v67, v69, v5
	s_waitcnt lgkmcnt(1)
	v_mul_f32_e32 v5, v7, v56
	v_add_f32_e32 v71, v71, v3
	v_mul_f32_e32 v69, v6, v56
	v_add_f32_e32 v77, v68, v2
	v_fmac_f32_e32 v67, v70, v4
	v_fma_f32 v68, v6, v55, -v5
	ds_read2_b64 v[2:5], v53 offset0:32 offset1:48
	v_mul_f32_e32 v70, v7, v58
	v_mul_f32_e32 v78, v6, v58
	v_add_f32_e32 v75, v64, v63
	ds_read_b128 v[63:66], v43 offset:144
	v_fmac_f32_e32 v69, v7, v55
	v_fma_f32 v6, v6, v57, -v70
	v_fmac_f32_e32 v78, v7, v57
	v_add_f32_e32 v74, v74, v68
	v_add_f32_e32 v22, v22, v67
	s_waitcnt lgkmcnt(2)
	v_mul_f32_e32 v79, v60, v56
	v_mul_f32_e32 v7, v59, v56
	;; [unrolled: 1-line block ×3, first 2 shown]
	v_add_f32_e32 v6, v73, v6
	v_add_f32_e32 v75, v75, v78
	v_fma_f32 v73, v59, v55, -v79
	v_fmac_f32_e32 v7, v60, v55
	v_mul_f32_e32 v78, v59, v58
	v_fma_f32 v55, v59, v57, -v56
	v_add_f32_e32 v72, v72, v69
	s_waitcnt lgkmcnt(1)
	v_mul_f32_e32 v56, v9, v3
	v_add_f32_e32 v59, v76, v73
	v_fmac_f32_e32 v78, v60, v57
	v_add_f32_e32 v60, v77, v55
	v_add_f32_e32 v7, v71, v7
	v_fma_f32 v73, v8, v2, -v56
	ds_read2_b64 v[55:58], v53 offset0:64 offset1:80
	v_mul_f32_e32 v71, v8, v3
	v_mul_f32_e32 v76, v9, v5
	ds_read_b128 v[67:70], v43 offset:4240
	v_add_f32_e32 v73, v74, v73
	v_mul_f32_e32 v74, v8, v5
	v_fmac_f32_e32 v71, v9, v2
	v_fma_f32 v8, v8, v4, -v76
	v_mul_f32_e32 v76, v62, v3
	v_mul_f32_e32 v3, v61, v3
	v_fmac_f32_e32 v74, v9, v4
	v_add_f32_e32 v71, v72, v71
	v_add_f32_e32 v6, v6, v8
	v_fma_f32 v8, v61, v2, -v76
	v_fmac_f32_e32 v3, v62, v2
	v_mul_f32_e32 v2, v62, v5
	v_mul_f32_e32 v72, v61, v5
	v_add_f32_e32 v9, v75, v74
	v_add_f32_e32 v8, v59, v8
	;; [unrolled: 1-line block ×3, first 2 shown]
	v_fma_f32 v59, v61, v4, -v2
	s_waitcnt lgkmcnt(1)
	v_mul_f32_e32 v61, v64, v56
	v_fmac_f32_e32 v72, v62, v4
	ds_read2_b64 v[2:5], v53 offset0:96 offset1:112
	v_mul_f32_e32 v74, v63, v58
	v_add_f32_e32 v59, v60, v59
	v_fma_f32 v60, v63, v55, -v61
	v_mul_f32_e32 v61, v64, v58
	v_mul_f32_e32 v62, v63, v56
	v_fmac_f32_e32 v74, v64, v57
	v_add_f32_e32 v22, v22, v78
	v_add_f32_e32 v60, v73, v60
	v_fma_f32 v61, v63, v57, -v61
	s_waitcnt lgkmcnt(1)
	v_mul_f32_e32 v63, v68, v56
	v_mul_f32_e32 v56, v67, v56
	v_fmac_f32_e32 v62, v64, v55
	v_add_f32_e32 v64, v9, v74
	v_add_f32_e32 v61, v6, v61
	v_mul_f32_e32 v6, v68, v58
	v_fma_f32 v9, v67, v55, -v63
	v_fmac_f32_e32 v56, v68, v55
	v_mul_f32_e32 v63, v67, v58
	v_add_f32_e32 v62, v71, v62
	v_fma_f32 v6, v67, v57, -v6
	s_waitcnt lgkmcnt(0)
	v_mul_f32_e32 v55, v66, v3
	v_add_f32_e32 v67, v8, v9
	v_add_f32_e32 v71, v7, v56
	v_fmac_f32_e32 v63, v68, v57
	v_add_f32_e32 v68, v59, v6
	v_fma_f32 v59, v65, v2, -v55
	ds_read_b128 v[6:9], v43 offset:160
	ds_read2_b64 v[55:58], v53 offset0:128 offset1:144
	v_add_f32_e32 v22, v22, v72
	v_mul_f32_e32 v72, v65, v3
	v_mul_f32_e32 v73, v66, v5
	v_add_f32_e32 v74, v60, v59
	v_mul_f32_e32 v60, v70, v3
	v_add_f32_e32 v22, v22, v63
	v_mul_f32_e32 v63, v65, v5
	v_fmac_f32_e32 v72, v66, v2
	v_fma_f32 v59, v65, v4, -v73
	v_mul_f32_e32 v3, v69, v3
	v_fma_f32 v65, v69, v2, -v60
	v_fmac_f32_e32 v63, v66, v4
	v_mul_f32_e32 v66, v70, v5
	v_add_f32_e32 v72, v62, v72
	v_add_f32_e32 v73, v61, v59
	v_fmac_f32_e32 v3, v70, v2
	ds_read_b128 v[59:62], v43 offset:4256
	v_add_f32_e32 v76, v67, v65
	v_fma_f32 v2, v69, v4, -v66
	v_mul_f32_e32 v67, v69, v5
	s_waitcnt lgkmcnt(1)
	v_mul_f32_e32 v5, v7, v56
	v_add_f32_e32 v71, v71, v3
	v_mul_f32_e32 v69, v6, v56
	v_add_f32_e32 v77, v68, v2
	v_fmac_f32_e32 v67, v70, v4
	v_fma_f32 v68, v6, v55, -v5
	ds_read2_b64 v[2:5], v53 offset0:160 offset1:176
	v_mul_f32_e32 v70, v7, v58
	v_mul_f32_e32 v78, v6, v58
	v_add_f32_e32 v75, v64, v63
	ds_read_b128 v[63:66], v43 offset:176
	v_fmac_f32_e32 v69, v7, v55
	v_fma_f32 v6, v6, v57, -v70
	v_fmac_f32_e32 v78, v7, v57
	v_add_f32_e32 v74, v74, v68
	v_add_f32_e32 v22, v22, v67
	s_waitcnt lgkmcnt(2)
	v_mul_f32_e32 v79, v60, v56
	v_mul_f32_e32 v7, v59, v56
	;; [unrolled: 1-line block ×3, first 2 shown]
	v_add_f32_e32 v6, v73, v6
	v_add_f32_e32 v75, v75, v78
	v_fma_f32 v73, v59, v55, -v79
	v_fmac_f32_e32 v7, v60, v55
	v_mul_f32_e32 v78, v59, v58
	v_fma_f32 v55, v59, v57, -v56
	v_add_f32_e32 v72, v72, v69
	s_waitcnt lgkmcnt(1)
	v_mul_f32_e32 v56, v9, v3
	v_add_f32_e32 v59, v76, v73
	v_fmac_f32_e32 v78, v60, v57
	v_add_f32_e32 v60, v77, v55
	v_add_f32_e32 v7, v71, v7
	v_fma_f32 v73, v8, v2, -v56
	ds_read2_b64 v[55:58], v53 offset0:192 offset1:208
	v_mul_f32_e32 v71, v8, v3
	v_mul_f32_e32 v76, v9, v5
	ds_read_b128 v[67:70], v43 offset:4272
	v_add_f32_e32 v73, v74, v73
	v_mul_f32_e32 v74, v8, v5
	v_fmac_f32_e32 v71, v9, v2
	v_fma_f32 v8, v8, v4, -v76
	v_mul_f32_e32 v76, v62, v3
	v_mul_f32_e32 v3, v61, v3
	v_fmac_f32_e32 v74, v9, v4
	v_add_f32_e32 v71, v72, v71
	v_add_f32_e32 v6, v6, v8
	v_fma_f32 v8, v61, v2, -v76
	v_fmac_f32_e32 v3, v62, v2
	v_mul_f32_e32 v2, v62, v5
	v_mul_f32_e32 v72, v61, v5
	v_add_f32_e32 v9, v75, v74
	v_add_f32_e32 v8, v59, v8
	;; [unrolled: 1-line block ×3, first 2 shown]
	v_fma_f32 v59, v61, v4, -v2
	s_waitcnt lgkmcnt(1)
	v_mul_f32_e32 v61, v64, v56
	v_fmac_f32_e32 v72, v62, v4
	ds_read2_b64 v[2:5], v53 offset0:224 offset1:240
	v_mul_f32_e32 v74, v63, v58
	v_add_f32_e32 v59, v60, v59
	v_fma_f32 v60, v63, v55, -v61
	v_mul_f32_e32 v61, v64, v58
	v_mul_f32_e32 v62, v63, v56
	v_fmac_f32_e32 v74, v64, v57
	v_add_f32_e32 v22, v22, v78
	v_add_f32_e32 v60, v73, v60
	v_fma_f32 v61, v63, v57, -v61
	s_waitcnt lgkmcnt(1)
	v_mul_f32_e32 v63, v68, v56
	v_mul_f32_e32 v56, v67, v56
	v_fmac_f32_e32 v62, v64, v55
	v_add_f32_e32 v64, v9, v74
	v_add_f32_e32 v61, v6, v61
	v_mul_f32_e32 v6, v68, v58
	v_fma_f32 v9, v67, v55, -v63
	v_fmac_f32_e32 v56, v68, v55
	v_mul_f32_e32 v63, v67, v58
	v_add_f32_e32 v62, v71, v62
	v_fma_f32 v6, v67, v57, -v6
	s_waitcnt lgkmcnt(0)
	v_mul_f32_e32 v55, v66, v3
	v_add_f32_e32 v67, v8, v9
	v_add_f32_e32 v71, v7, v56
	v_fmac_f32_e32 v63, v68, v57
	v_add_f32_e32 v68, v59, v6
	v_fma_f32 v59, v65, v2, -v55
	ds_read_b128 v[6:9], v43 offset:192
	ds_read2_b64 v[55:58], v54 offset1:16
	v_add_f32_e32 v22, v22, v72
	v_mul_f32_e32 v72, v65, v3
	v_mul_f32_e32 v73, v66, v5
	v_add_f32_e32 v74, v60, v59
	v_mul_f32_e32 v60, v70, v3
	v_add_f32_e32 v22, v22, v63
	v_mul_f32_e32 v63, v65, v5
	v_fmac_f32_e32 v72, v66, v2
	v_fma_f32 v59, v65, v4, -v73
	v_mul_f32_e32 v3, v69, v3
	v_fma_f32 v65, v69, v2, -v60
	v_fmac_f32_e32 v63, v66, v4
	v_mul_f32_e32 v66, v70, v5
	v_add_f32_e32 v72, v62, v72
	v_add_f32_e32 v73, v61, v59
	v_fmac_f32_e32 v3, v70, v2
	ds_read_b128 v[59:62], v43 offset:4288
	v_add_f32_e32 v76, v67, v65
	v_fma_f32 v2, v69, v4, -v66
	v_mul_f32_e32 v67, v69, v5
	s_waitcnt lgkmcnt(1)
	v_mul_f32_e32 v5, v7, v56
	v_add_f32_e32 v71, v71, v3
	v_mul_f32_e32 v69, v6, v56
	v_add_f32_e32 v77, v68, v2
	v_fmac_f32_e32 v67, v70, v4
	v_fma_f32 v68, v6, v55, -v5
	ds_read2_b64 v[2:5], v54 offset0:32 offset1:48
	v_mul_f32_e32 v70, v7, v58
	v_mul_f32_e32 v78, v6, v58
	v_add_f32_e32 v75, v64, v63
	ds_read_b128 v[63:66], v43 offset:208
	v_fmac_f32_e32 v69, v7, v55
	v_fma_f32 v6, v6, v57, -v70
	v_fmac_f32_e32 v78, v7, v57
	v_add_f32_e32 v74, v74, v68
	v_add_f32_e32 v22, v22, v67
	s_waitcnt lgkmcnt(2)
	v_mul_f32_e32 v79, v60, v56
	v_mul_f32_e32 v7, v59, v56
	;; [unrolled: 1-line block ×3, first 2 shown]
	v_add_f32_e32 v6, v73, v6
	v_add_f32_e32 v75, v75, v78
	v_fma_f32 v73, v59, v55, -v79
	v_fmac_f32_e32 v7, v60, v55
	v_mul_f32_e32 v78, v59, v58
	v_fma_f32 v55, v59, v57, -v56
	v_add_f32_e32 v72, v72, v69
	s_waitcnt lgkmcnt(1)
	v_mul_f32_e32 v56, v9, v3
	v_add_f32_e32 v59, v76, v73
	v_fmac_f32_e32 v78, v60, v57
	v_add_f32_e32 v60, v77, v55
	v_add_f32_e32 v7, v71, v7
	v_fma_f32 v73, v8, v2, -v56
	ds_read2_b64 v[55:58], v54 offset0:64 offset1:80
	v_mul_f32_e32 v71, v8, v3
	v_mul_f32_e32 v76, v9, v5
	ds_read_b128 v[67:70], v43 offset:4304
	v_add_f32_e32 v73, v74, v73
	v_mul_f32_e32 v74, v8, v5
	v_fmac_f32_e32 v71, v9, v2
	v_fma_f32 v8, v8, v4, -v76
	v_mul_f32_e32 v76, v62, v3
	v_mul_f32_e32 v3, v61, v3
	v_fmac_f32_e32 v74, v9, v4
	v_add_f32_e32 v71, v72, v71
	v_add_f32_e32 v6, v6, v8
	v_fma_f32 v8, v61, v2, -v76
	v_fmac_f32_e32 v3, v62, v2
	v_mul_f32_e32 v2, v62, v5
	v_mul_f32_e32 v72, v61, v5
	v_add_f32_e32 v9, v75, v74
	v_add_f32_e32 v8, v59, v8
	v_add_f32_e32 v7, v7, v3
	v_fma_f32 v59, v61, v4, -v2
	s_waitcnt lgkmcnt(1)
	v_mul_f32_e32 v61, v64, v56
	v_fmac_f32_e32 v72, v62, v4
	ds_read2_b64 v[2:5], v54 offset0:96 offset1:112
	v_mul_f32_e32 v74, v63, v58
	v_add_f32_e32 v59, v60, v59
	v_fma_f32 v60, v63, v55, -v61
	v_mul_f32_e32 v61, v64, v58
	v_mul_f32_e32 v62, v63, v56
	v_fmac_f32_e32 v74, v64, v57
	v_add_f32_e32 v22, v22, v78
	v_add_f32_e32 v60, v73, v60
	v_fma_f32 v61, v63, v57, -v61
	s_waitcnt lgkmcnt(1)
	v_mul_f32_e32 v63, v68, v56
	v_mul_f32_e32 v56, v67, v56
	v_fmac_f32_e32 v62, v64, v55
	v_add_f32_e32 v64, v9, v74
	v_add_f32_e32 v61, v6, v61
	v_mul_f32_e32 v6, v68, v58
	v_fma_f32 v9, v67, v55, -v63
	v_fmac_f32_e32 v56, v68, v55
	v_mul_f32_e32 v63, v67, v58
	v_add_f32_e32 v22, v22, v72
	v_fma_f32 v6, v67, v57, -v6
	s_waitcnt lgkmcnt(0)
	v_mul_f32_e32 v55, v66, v3
	v_add_f32_e32 v62, v71, v62
	v_add_f32_e32 v67, v8, v9
	;; [unrolled: 1-line block ×3, first 2 shown]
	v_fmac_f32_e32 v63, v68, v57
	v_add_f32_e32 v68, v59, v6
	v_fma_f32 v59, v65, v2, -v55
	ds_read_b128 v[6:9], v43 offset:224
	ds_read2_b64 v[55:58], v54 offset0:128 offset1:144
	v_mul_f32_e32 v72, v65, v3
	v_mul_f32_e32 v73, v66, v5
	v_add_f32_e32 v22, v22, v63
	v_mul_f32_e32 v63, v65, v5
	s_addc_u32 s13, s13, 0
	v_fmac_f32_e32 v72, v66, v2
	v_fma_f32 v65, v65, v4, -v73
	v_add_f32_e32 v73, v60, v59
	v_mul_f32_e32 v59, v70, v3
	v_fmac_f32_e32 v63, v66, v4
	v_add_f32_e32 v72, v62, v72
	v_add_f32_e32 v74, v61, v65
	v_mul_f32_e32 v3, v69, v3
	v_fma_f32 v65, v69, v2, -v59
	v_add_f32_e32 v75, v64, v63
	v_mul_f32_e32 v63, v70, v5
	ds_read_b128 v[59:62], v43 offset:4320
	v_fmac_f32_e32 v3, v70, v2
	v_add_f32_e32 v76, v67, v65
	v_mul_f32_e32 v67, v69, v5
	v_fma_f32 v2, v69, v4, -v63
	s_waitcnt lgkmcnt(1)
	v_mul_f32_e32 v5, v7, v56
	v_add_f32_e32 v71, v71, v3
	v_mul_f32_e32 v69, v7, v58
	v_fmac_f32_e32 v67, v70, v4
	v_add_f32_e32 v77, v68, v2
	v_fma_f32 v68, v6, v55, -v5
	ds_read2_b64 v[2:5], v54 offset0:160 offset1:176
	ds_read_b128 v[63:66], v43 offset:240
	v_mul_f32_e32 v78, v6, v56
	v_mul_f32_e32 v79, v6, v58
	v_fma_f32 v6, v6, v57, -v69
	v_add_f32_e32 v73, v73, v68
	v_add_f32_e32 v22, v22, v67
	v_fmac_f32_e32 v78, v7, v55
	v_fmac_f32_e32 v79, v7, v57
	s_waitcnt lgkmcnt(2)
	v_mul_f32_e32 v80, v60, v56
	v_mul_f32_e32 v7, v59, v56
	v_add_f32_e32 v6, v74, v6
	v_mul_f32_e32 v74, v60, v58
	v_add_f32_e32 v72, v72, v78
	v_fma_f32 v56, v59, v55, -v80
	v_fmac_f32_e32 v7, v60, v55
	v_mul_f32_e32 v78, v59, v58
	v_fma_f32 v55, v59, v57, -v74
	ds_read_b128 v[67:70], v43 offset:4336
	v_add_f32_e32 v76, v76, v56
	s_waitcnt lgkmcnt(2)
	v_mul_f32_e32 v56, v9, v3
	v_add_f32_e32 v7, v71, v7
	v_fmac_f32_e32 v78, v60, v57
	v_mul_f32_e32 v59, v8, v3
	v_add_f32_e32 v60, v77, v55
	v_fma_f32 v71, v8, v2, -v56
	ds_read2_b64 v[55:58], v54 offset0:192 offset1:208
	v_mul_f32_e32 v74, v9, v5
	v_fmac_f32_e32 v59, v9, v2
	v_add_f32_e32 v75, v75, v79
	v_add_f32_e32 v71, v73, v71
	v_mul_f32_e32 v73, v8, v5
	v_fma_f32 v8, v8, v4, -v74
	v_add_f32_e32 v59, v72, v59
	v_mul_f32_e32 v72, v62, v3
	v_mul_f32_e32 v3, v61, v3
	v_fmac_f32_e32 v73, v9, v4
	v_add_f32_e32 v6, v6, v8
	v_mul_f32_e32 v8, v62, v5
	v_fma_f32 v9, v61, v2, -v72
	v_fmac_f32_e32 v3, v62, v2
	v_add_f32_e32 v72, v75, v73
	v_mul_f32_e32 v73, v61, v5
	v_fma_f32 v2, v61, v4, -v8
	v_add_f32_e32 v8, v76, v9
	v_add_f32_e32 v7, v7, v3
	s_waitcnt lgkmcnt(0)
	v_mul_f32_e32 v9, v64, v56
	v_fmac_f32_e32 v73, v62, v4
	v_add_f32_e32 v60, v60, v2
	ds_read2_b64 v[2:5], v54 offset0:224 offset1:240
	v_mul_f32_e32 v61, v63, v56
	v_fma_f32 v9, v63, v55, -v9
	v_mul_f32_e32 v62, v64, v58
	v_add_f32_e32 v22, v22, v78
	s_sub_i32 s6, s12, 32
	v_fmac_f32_e32 v61, v64, v55
	v_add_f32_e32 v9, v71, v9
	v_mul_f32_e32 v71, v68, v56
	v_fma_f32 v62, v63, v57, -v62
	v_mul_f32_e32 v56, v67, v56
	v_add_f32_e32 v59, v59, v61
	v_add_f32_e32 v22, v22, v73
	v_fma_f32 v61, v67, v55, -v71
	v_mul_f32_e32 v73, v63, v58
	v_add_f32_e32 v6, v6, v62
	v_mul_f32_e32 v62, v68, v58
	v_fmac_f32_e32 v56, v68, v55
	v_add_f32_e32 v8, v8, v61
	v_mul_f32_e32 v55, v67, v58
	s_waitcnt lgkmcnt(0)
	v_mul_f32_e32 v61, v66, v3
	v_fmac_f32_e32 v73, v64, v57
	v_fma_f32 v58, v67, v57, -v62
	v_add_f32_e32 v7, v7, v56
	v_fmac_f32_e32 v55, v68, v57
	v_fma_f32 v56, v65, v2, -v61
	v_mul_f32_e32 v57, v66, v5
	v_mul_f32_e32 v62, v65, v3
	v_add_f32_e32 v64, v60, v58
	v_mul_f32_e32 v67, v65, v5
	v_add_f32_e32 v22, v22, v55
	v_add_f32_e32 v60, v9, v56
	v_fma_f32 v9, v65, v4, -v57
	v_mul_f32_e32 v55, v70, v3
	v_mul_f32_e32 v3, v69, v3
	v_mul_f32_e32 v56, v70, v5
	v_mul_f32_e32 v5, v69, v5
	v_add_f32_e32 v63, v72, v73
	v_fmac_f32_e32 v62, v66, v2
	v_fmac_f32_e32 v67, v66, v4
	v_add_f32_e32 v58, v6, v9
	v_fma_f32 v6, v69, v2, -v55
	v_fmac_f32_e32 v3, v70, v2
	v_fma_f32 v2, v69, v4, -v56
	v_fmac_f32_e32 v5, v70, v4
	v_add_f32_e32 v61, v59, v62
	v_add_f32_e32 v59, v63, v67
	;; [unrolled: 1-line block ×6, first 2 shown]
	s_cmp_ge_i32 s6, s16
	s_barrier
	buffer_gl0_inv
	s_cbranch_scc1 .LBB89_55
.LBB89_7:                               ;   Parent Loop BB89_4 Depth=1
                                        ; =>  This Inner Loop Header: Depth=2
	v_add_co_u32 v2, s5, v0, s12
	v_add_co_ci_u32_e64 v3, null, 0, s13, s5
	v_cmp_eq_u64_e64 s8, s[12:13], v[29:30]
	v_cmp_gt_i64_e64 s5, v[2:3], v[25:26]
	v_cmp_le_i64_e64 s6, s[14:15], v[2:3]
	s_and_b32 s24, s28, s8
	v_add_co_u32 v4, s8, v37, v31
	s_or_b32 s9, s3, s5
	v_add_co_ci_u32_e64 v5, null, v38, v32, s8
	s_or_b32 s8, s9, s24
	s_nor_b32 s8, s6, s8
	s_and_saveexec_b32 s9, s8
	s_xor_b32 s8, exec_lo, s9
	s_cbranch_execz .LBB89_9
; %bb.8:                                ;   in Loop: Header=BB89_7 Depth=2
	global_load_dwordx2 v[6:7], v[4:5], off
	s_waitcnt vmcnt(0)
	ds_write_b64 v44, v[6:7]
.LBB89_9:                               ;   in Loop: Header=BB89_7 Depth=2
	s_or_saveexec_b32 s8, s8
	s_xor_b32 s17, s24, -1
	s_xor_b32 exec_lo, exec_lo, s8
	s_cbranch_execz .LBB89_15
; %bb.10:                               ;   in Loop: Header=BB89_7 Depth=2
	s_and_saveexec_b32 s9, s17
	s_xor_b32 s9, exec_lo, s9
; %bb.11:                               ;   in Loop: Header=BB89_7 Depth=2
	v_mov_b32_e32 v6, v11
	v_mov_b32_e32 v7, v11
	ds_write_b64 v44, v[6:7]
; %bb.12:                               ;   in Loop: Header=BB89_7 Depth=2
	s_andn2_saveexec_b32 s9, s9
; %bb.13:                               ;   in Loop: Header=BB89_7 Depth=2
	ds_write_b64 v44, v[10:11]
; %bb.14:                               ;   in Loop: Header=BB89_7 Depth=2
	s_or_b32 exec_lo, exec_lo, s9
.LBB89_15:                              ;   in Loop: Header=BB89_7 Depth=2
	s_or_b32 exec_lo, exec_lo, s8
	v_add_co_u32 v6, s8, v2, 16
	v_add_co_ci_u32_e64 v7, null, 0, v3, s8
	v_cmp_eq_u64_e64 s9, s[12:13], v[35:36]
	v_cmp_gt_i64_e64 s10, v[6:7], v[25:26]
	v_cmp_le_i64_e64 s8, s[14:15], v[6:7]
	s_and_b32 s25, s28, s9
	s_or_b32 s9, s3, s10
	s_or_b32 s9, s9, s25
	s_nor_b32 s9, s8, s9
	s_and_saveexec_b32 s10, s9
	s_xor_b32 s10, exec_lo, s10
	s_cbranch_execz .LBB89_17
; %bb.16:                               ;   in Loop: Header=BB89_7 Depth=2
	v_add_co_u32 v6, s9, v39, v31
	v_add_co_ci_u32_e64 v7, null, v40, v32, s9
	global_load_dwordx2 v[6:7], v[6:7], off
	s_waitcnt vmcnt(0)
	ds_write_b64 v44, v[6:7] offset:128
.LBB89_17:                              ;   in Loop: Header=BB89_7 Depth=2
	s_andn2_saveexec_b32 s9, s10
	s_cbranch_execz .LBB89_23
; %bb.18:                               ;   in Loop: Header=BB89_7 Depth=2
	s_xor_b32 s10, s25, -1
	s_and_saveexec_b32 s25, s10
	s_xor_b32 s10, exec_lo, s25
; %bb.19:                               ;   in Loop: Header=BB89_7 Depth=2
	v_mov_b32_e32 v6, v11
	v_mov_b32_e32 v7, v11
	ds_write_b64 v44, v[6:7] offset:128
; %bb.20:                               ;   in Loop: Header=BB89_7 Depth=2
	s_andn2_saveexec_b32 s10, s10
; %bb.21:                               ;   in Loop: Header=BB89_7 Depth=2
	ds_write_b64 v44, v[10:11] offset:128
; %bb.22:                               ;   in Loop: Header=BB89_7 Depth=2
	s_or_b32 exec_lo, exec_lo, s10
.LBB89_23:                              ;   in Loop: Header=BB89_7 Depth=2
	s_or_b32 exec_lo, exec_lo, s9
	v_cmp_eq_u64_e64 s9, s[12:13], v[33:34]
	v_cmp_gt_i64_e64 s10, v[2:3], v[27:28]
	s_and_b32 s9, s28, s9
	s_or_b32 s10, s4, s10
	s_or_b32 s10, s10, s9
	s_nor_b32 s6, s6, s10
	s_and_saveexec_b32 s10, s6
	s_xor_b32 s6, exec_lo, s10
	s_cbranch_execz .LBB89_25
; %bb.24:                               ;   in Loop: Header=BB89_7 Depth=2
	global_load_dwordx2 v[2:3], v[4:5], off offset:128
	s_waitcnt vmcnt(0)
	ds_write_b64 v44, v[2:3] offset:4096
.LBB89_25:                              ;   in Loop: Header=BB89_7 Depth=2
	s_andn2_saveexec_b32 s6, s6
	s_cbranch_execz .LBB89_31
; %bb.26:                               ;   in Loop: Header=BB89_7 Depth=2
	s_xor_b32 s9, s9, -1
	s_and_saveexec_b32 s10, s9
	s_xor_b32 s9, exec_lo, s10
; %bb.27:                               ;   in Loop: Header=BB89_7 Depth=2
	v_mov_b32_e32 v2, v11
	v_mov_b32_e32 v3, v11
	ds_write_b64 v44, v[2:3] offset:4096
; %bb.28:                               ;   in Loop: Header=BB89_7 Depth=2
	s_andn2_saveexec_b32 s9, s9
; %bb.29:                               ;   in Loop: Header=BB89_7 Depth=2
	ds_write_b64 v44, v[10:11] offset:4096
; %bb.30:                               ;   in Loop: Header=BB89_7 Depth=2
	s_or_b32 exec_lo, exec_lo, s9
.LBB89_31:                              ;   in Loop: Header=BB89_7 Depth=2
	s_or_b32 exec_lo, exec_lo, s6
	s_or_b32 s5, s4, s5
	s_or_b32 s5, s5, s24
	s_nor_b32 s5, s8, s5
	s_and_saveexec_b32 s6, s5
	s_xor_b32 s6, exec_lo, s6
	s_cbranch_execz .LBB89_33
; %bb.32:                               ;   in Loop: Header=BB89_7 Depth=2
	v_add_co_u32 v2, s5, v39, v31
	v_add_co_ci_u32_e64 v3, null, v40, v32, s5
	global_load_dwordx2 v[2:3], v[2:3], off offset:128
	s_waitcnt vmcnt(0)
	ds_write_b64 v44, v[2:3] offset:4224
.LBB89_33:                              ;   in Loop: Header=BB89_7 Depth=2
	s_andn2_saveexec_b32 s5, s6
	s_cbranch_execz .LBB89_39
; %bb.34:                               ;   in Loop: Header=BB89_7 Depth=2
	s_and_saveexec_b32 s6, s17
	s_xor_b32 s6, exec_lo, s6
; %bb.35:                               ;   in Loop: Header=BB89_7 Depth=2
	v_mov_b32_e32 v2, v11
	v_mov_b32_e32 v3, v11
	ds_write_b64 v44, v[2:3] offset:4224
; %bb.36:                               ;   in Loop: Header=BB89_7 Depth=2
	s_andn2_saveexec_b32 s6, s6
; %bb.37:                               ;   in Loop: Header=BB89_7 Depth=2
	ds_write_b64 v44, v[10:11] offset:4224
; %bb.38:                               ;   in Loop: Header=BB89_7 Depth=2
	s_or_b32 exec_lo, exec_lo, s6
.LBB89_39:                              ;   in Loop: Header=BB89_7 Depth=2
	s_or_b32 exec_lo, exec_lo, s5
	v_add_co_u32 v2, s5, v1, s12
	v_add_co_ci_u32_e64 v3, null, 0, s13, s5
	v_add_co_u32 v4, s6, v41, v49
	v_add_co_ci_u32_e64 v5, null, v42, v50, s6
	v_cmp_le_i64_e64 s5, s[14:15], v[2:3]
	s_nor_b32 s6, s5, vcc_lo
	s_and_saveexec_b32 s8, s6
	s_xor_b32 s6, exec_lo, s8
	s_cbranch_execz .LBB89_41
; %bb.40:                               ;   in Loop: Header=BB89_7 Depth=2
	global_load_dwordx2 v[6:7], v[4:5], off offset:-128
	s_waitcnt vmcnt(0)
	ds_write_b64 v46, v[6:7]
.LBB89_41:                              ;   in Loop: Header=BB89_7 Depth=2
	s_andn2_saveexec_b32 s6, s6
; %bb.42:                               ;   in Loop: Header=BB89_7 Depth=2
	v_mov_b32_e32 v6, v11
	v_mov_b32_e32 v7, v11
	ds_write_b64 v46, v[6:7]
; %bb.43:                               ;   in Loop: Header=BB89_7 Depth=2
	s_or_b32 exec_lo, exec_lo, s6
	s_nor_b32 s5, s5, s0
	s_and_saveexec_b32 s6, s5
	s_xor_b32 s5, exec_lo, s6
	s_cbranch_execz .LBB89_45
; %bb.44:                               ;   in Loop: Header=BB89_7 Depth=2
	global_load_dwordx2 v[4:5], v[4:5], off
	s_waitcnt vmcnt(0)
	ds_write_b64 v46, v[4:5] offset:128
.LBB89_45:                              ;   in Loop: Header=BB89_7 Depth=2
	s_andn2_saveexec_b32 s5, s5
; %bb.46:                               ;   in Loop: Header=BB89_7 Depth=2
	v_mov_b32_e32 v4, v11
	v_mov_b32_e32 v5, v11
	ds_write_b64 v46, v[4:5] offset:128
; %bb.47:                               ;   in Loop: Header=BB89_7 Depth=2
	s_or_b32 exec_lo, exec_lo, s5
	v_cmp_le_i64_e64 s5, s[22:23], v[2:3]
	v_add_co_u32 v2, s6, v41, v20
	v_add_co_ci_u32_e64 v3, null, v42, v51, s6
	s_nor_b32 s6, s5, vcc_lo
	s_and_saveexec_b32 s8, s6
	s_xor_b32 s6, exec_lo, s8
	s_cbranch_execz .LBB89_49
; %bb.48:                               ;   in Loop: Header=BB89_7 Depth=2
	global_load_dwordx2 v[4:5], v[2:3], off
	s_waitcnt vmcnt(0)
	ds_write_b64 v46, v[4:5] offset:4096
.LBB89_49:                              ;   in Loop: Header=BB89_7 Depth=2
	s_andn2_saveexec_b32 s6, s6
; %bb.50:                               ;   in Loop: Header=BB89_7 Depth=2
	v_mov_b32_e32 v4, v11
	v_mov_b32_e32 v5, v11
	ds_write_b64 v46, v[4:5] offset:4096
; %bb.51:                               ;   in Loop: Header=BB89_7 Depth=2
	s_or_b32 exec_lo, exec_lo, s6
	s_nor_b32 s5, s5, s0
	s_and_saveexec_b32 s6, s5
	s_xor_b32 s5, exec_lo, s6
	s_cbranch_execz .LBB89_53
; %bb.52:                               ;   in Loop: Header=BB89_7 Depth=2
	global_load_dwordx2 v[2:3], v[2:3], off offset:128
	s_waitcnt vmcnt(0)
	ds_write_b64 v46, v[2:3] offset:4224
.LBB89_53:                              ;   in Loop: Header=BB89_7 Depth=2
	s_andn2_saveexec_b32 s5, s5
	s_cbranch_execz .LBB89_6
; %bb.54:                               ;   in Loop: Header=BB89_7 Depth=2
	v_mov_b32_e32 v2, v11
	v_mov_b32_e32 v3, v11
	ds_write_b64 v46, v[2:3] offset:4224
	s_branch .LBB89_6
.LBB89_55:                              ;   in Loop: Header=BB89_4 Depth=1
	v_mul_lo_u32 v4, s41, v25
	v_mul_lo_u32 v5, s40, v26
	v_mad_u64_u32 v[2:3], null, s40, v25, 0
	v_cmp_gt_i32_e64 s3, s30, v25
	v_add3_u32 v3, v3, v5, v4
	v_lshlrev_b64 v[2:3], 3, v[2:3]
	v_add_co_u32 v2, s4, s27, v2
	v_add_co_ci_u32_e64 v3, null, s34, v3, s4
	s_and_b32 s4, s1, s3
	s_and_saveexec_b32 s5, s4
	s_cbranch_execz .LBB89_57
; %bb.56:                               ;   in Loop: Header=BB89_4 Depth=1
	v_add_co_u32 v4, s4, v2, v12
	v_add_co_ci_u32_e64 v5, null, v3, v13, s4
	v_mul_f32_e32 v8, s11, v61
	v_mul_f32_e32 v9, s31, v61
	global_load_dwordx2 v[6:7], v[4:5], off
	v_fma_f32 v8, v60, s31, -v8
	v_fmac_f32_e32 v9, s11, v60
	s_waitcnt vmcnt(0)
	v_add_f32_e32 v6, v6, v8
	v_add_f32_e32 v7, v9, v7
	global_store_dwordx2 v[4:5], v[6:7], off
.LBB89_57:                              ;   in Loop: Header=BB89_4 Depth=1
	s_or_b32 exec_lo, exec_lo, s5
	s_and_b32 s3, s2, s3
	s_and_saveexec_b32 s4, s3
	s_cbranch_execz .LBB89_59
; %bb.58:                               ;   in Loop: Header=BB89_4 Depth=1
	v_add_co_u32 v2, s3, v2, v23
	v_add_co_ci_u32_e64 v3, null, v3, v24, s3
	v_mul_f32_e32 v6, s11, v59
	v_mul_f32_e32 v7, s31, v59
	global_load_dwordx2 v[4:5], v[2:3], off
	v_fma_f32 v6, v58, s31, -v6
	v_fmac_f32_e32 v7, s11, v58
	s_waitcnt vmcnt(0)
	v_add_f32_e32 v4, v4, v6
	v_add_f32_e32 v5, v7, v5
	global_store_dwordx2 v[2:3], v[4:5], off
.LBB89_59:                              ;   in Loop: Header=BB89_4 Depth=1
	s_or_b32 exec_lo, exec_lo, s4
	v_add_nc_u32_e32 v4, 16, v25
	v_ashrrev_i32_e32 v5, 31, v4
	v_mul_lo_u32 v6, s41, v4
	v_mad_u64_u32 v[2:3], null, s40, v4, 0
	v_cmp_gt_i32_e64 s3, s30, v4
	v_mul_lo_u32 v5, s40, v5
	v_add3_u32 v3, v3, v5, v6
	v_lshlrev_b64 v[2:3], 3, v[2:3]
	v_add_co_u32 v2, s4, s27, v2
	v_add_co_ci_u32_e64 v3, null, s34, v3, s4
	s_and_b32 s4, s1, s3
	s_and_saveexec_b32 s5, s4
	s_cbranch_execz .LBB89_61
; %bb.60:                               ;   in Loop: Header=BB89_4 Depth=1
	v_add_co_u32 v4, s4, v2, v12
	v_add_co_ci_u32_e64 v5, null, v3, v13, s4
	v_mul_f32_e32 v8, s11, v57
	v_mul_f32_e32 v9, s31, v57
	global_load_dwordx2 v[6:7], v[4:5], off
	v_fma_f32 v8, v56, s31, -v8
	v_fmac_f32_e32 v9, s11, v56
	s_waitcnt vmcnt(0)
	v_add_f32_e32 v6, v6, v8
	v_add_f32_e32 v7, v9, v7
	global_store_dwordx2 v[4:5], v[6:7], off
.LBB89_61:                              ;   in Loop: Header=BB89_4 Depth=1
	s_or_b32 exec_lo, exec_lo, s5
	s_and_b32 s3, s2, s3
	s_and_saveexec_b32 s4, s3
	s_cbranch_execz .LBB89_3
; %bb.62:                               ;   in Loop: Header=BB89_4 Depth=1
	v_add_co_u32 v2, s3, v2, v23
	v_add_co_ci_u32_e64 v3, null, v3, v24, s3
	v_mul_f32_e32 v6, s11, v22
	v_mul_f32_e32 v7, s31, v22
	global_load_dwordx2 v[4:5], v[2:3], off
	v_fma_f32 v6, v55, s31, -v6
	v_fmac_f32_e32 v7, s11, v55
	s_waitcnt vmcnt(0)
	v_add_f32_e32 v4, v4, v6
	v_add_f32_e32 v5, v7, v5
	global_store_dwordx2 v[2:3], v[4:5], off
	s_branch .LBB89_3
.LBB89_63:
	s_endpgm
	.section	.rodata,"a",@progbits
	.p2align	6, 0x0
	.amdhsa_kernel _ZL30rocblas_trmm_outofplace_kernelI19rocblas_complex_numIfELi32ELi2ELb0ELb0ELb1ELb0ES1_KS1_S1_Ev17rocblas_diagonal_iiT6_lPT7_lllS6_lllPT8_llli
		.amdhsa_group_segment_fixed_size 16384
		.amdhsa_private_segment_fixed_size 0
		.amdhsa_kernarg_size 392
		.amdhsa_user_sgpr_count 6
		.amdhsa_user_sgpr_private_segment_buffer 1
		.amdhsa_user_sgpr_dispatch_ptr 0
		.amdhsa_user_sgpr_queue_ptr 0
		.amdhsa_user_sgpr_kernarg_segment_ptr 1
		.amdhsa_user_sgpr_dispatch_id 0
		.amdhsa_user_sgpr_flat_scratch_init 0
		.amdhsa_user_sgpr_private_segment_size 0
		.amdhsa_wavefront_size32 1
		.amdhsa_uses_dynamic_stack 0
		.amdhsa_system_sgpr_private_segment_wavefront_offset 0
		.amdhsa_system_sgpr_workgroup_id_x 1
		.amdhsa_system_sgpr_workgroup_id_y 1
		.amdhsa_system_sgpr_workgroup_id_z 1
		.amdhsa_system_sgpr_workgroup_info 0
		.amdhsa_system_vgpr_workitem_id 1
		.amdhsa_next_free_vgpr 92
		.amdhsa_next_free_sgpr 46
		.amdhsa_reserve_vcc 1
		.amdhsa_reserve_flat_scratch 0
		.amdhsa_float_round_mode_32 0
		.amdhsa_float_round_mode_16_64 0
		.amdhsa_float_denorm_mode_32 3
		.amdhsa_float_denorm_mode_16_64 3
		.amdhsa_dx10_clamp 1
		.amdhsa_ieee_mode 1
		.amdhsa_fp16_overflow 0
		.amdhsa_workgroup_processor_mode 1
		.amdhsa_memory_ordered 1
		.amdhsa_forward_progress 1
		.amdhsa_shared_vgpr_count 0
		.amdhsa_exception_fp_ieee_invalid_op 0
		.amdhsa_exception_fp_denorm_src 0
		.amdhsa_exception_fp_ieee_div_zero 0
		.amdhsa_exception_fp_ieee_overflow 0
		.amdhsa_exception_fp_ieee_underflow 0
		.amdhsa_exception_fp_ieee_inexact 0
		.amdhsa_exception_int_div_zero 0
	.end_amdhsa_kernel
	.section	.text._ZL30rocblas_trmm_outofplace_kernelI19rocblas_complex_numIfELi32ELi2ELb0ELb0ELb1ELb0ES1_KS1_S1_Ev17rocblas_diagonal_iiT6_lPT7_lllS6_lllPT8_llli,"axG",@progbits,_ZL30rocblas_trmm_outofplace_kernelI19rocblas_complex_numIfELi32ELi2ELb0ELb0ELb1ELb0ES1_KS1_S1_Ev17rocblas_diagonal_iiT6_lPT7_lllS6_lllPT8_llli,comdat
.Lfunc_end89:
	.size	_ZL30rocblas_trmm_outofplace_kernelI19rocblas_complex_numIfELi32ELi2ELb0ELb0ELb1ELb0ES1_KS1_S1_Ev17rocblas_diagonal_iiT6_lPT7_lllS6_lllPT8_llli, .Lfunc_end89-_ZL30rocblas_trmm_outofplace_kernelI19rocblas_complex_numIfELi32ELi2ELb0ELb0ELb1ELb0ES1_KS1_S1_Ev17rocblas_diagonal_iiT6_lPT7_lllS6_lllPT8_llli
                                        ; -- End function
	.set _ZL30rocblas_trmm_outofplace_kernelI19rocblas_complex_numIfELi32ELi2ELb0ELb0ELb1ELb0ES1_KS1_S1_Ev17rocblas_diagonal_iiT6_lPT7_lllS6_lllPT8_llli.num_vgpr, 92
	.set _ZL30rocblas_trmm_outofplace_kernelI19rocblas_complex_numIfELi32ELi2ELb0ELb0ELb1ELb0ES1_KS1_S1_Ev17rocblas_diagonal_iiT6_lPT7_lllS6_lllPT8_llli.num_agpr, 0
	.set _ZL30rocblas_trmm_outofplace_kernelI19rocblas_complex_numIfELi32ELi2ELb0ELb0ELb1ELb0ES1_KS1_S1_Ev17rocblas_diagonal_iiT6_lPT7_lllS6_lllPT8_llli.numbered_sgpr, 46
	.set _ZL30rocblas_trmm_outofplace_kernelI19rocblas_complex_numIfELi32ELi2ELb0ELb0ELb1ELb0ES1_KS1_S1_Ev17rocblas_diagonal_iiT6_lPT7_lllS6_lllPT8_llli.num_named_barrier, 0
	.set _ZL30rocblas_trmm_outofplace_kernelI19rocblas_complex_numIfELi32ELi2ELb0ELb0ELb1ELb0ES1_KS1_S1_Ev17rocblas_diagonal_iiT6_lPT7_lllS6_lllPT8_llli.private_seg_size, 0
	.set _ZL30rocblas_trmm_outofplace_kernelI19rocblas_complex_numIfELi32ELi2ELb0ELb0ELb1ELb0ES1_KS1_S1_Ev17rocblas_diagonal_iiT6_lPT7_lllS6_lllPT8_llli.uses_vcc, 1
	.set _ZL30rocblas_trmm_outofplace_kernelI19rocblas_complex_numIfELi32ELi2ELb0ELb0ELb1ELb0ES1_KS1_S1_Ev17rocblas_diagonal_iiT6_lPT7_lllS6_lllPT8_llli.uses_flat_scratch, 0
	.set _ZL30rocblas_trmm_outofplace_kernelI19rocblas_complex_numIfELi32ELi2ELb0ELb0ELb1ELb0ES1_KS1_S1_Ev17rocblas_diagonal_iiT6_lPT7_lllS6_lllPT8_llli.has_dyn_sized_stack, 0
	.set _ZL30rocblas_trmm_outofplace_kernelI19rocblas_complex_numIfELi32ELi2ELb0ELb0ELb1ELb0ES1_KS1_S1_Ev17rocblas_diagonal_iiT6_lPT7_lllS6_lllPT8_llli.has_recursion, 0
	.set _ZL30rocblas_trmm_outofplace_kernelI19rocblas_complex_numIfELi32ELi2ELb0ELb0ELb1ELb0ES1_KS1_S1_Ev17rocblas_diagonal_iiT6_lPT7_lllS6_lllPT8_llli.has_indirect_call, 0
	.section	.AMDGPU.csdata,"",@progbits
; Kernel info:
; codeLenInByte = 6548
; TotalNumSgprs: 48
; NumVgprs: 92
; ScratchSize: 0
; MemoryBound: 1
; FloatMode: 240
; IeeeMode: 1
; LDSByteSize: 16384 bytes/workgroup (compile time only)
; SGPRBlocks: 0
; VGPRBlocks: 11
; NumSGPRsForWavesPerEU: 48
; NumVGPRsForWavesPerEU: 92
; Occupancy: 10
; WaveLimiterHint : 0
; COMPUTE_PGM_RSRC2:SCRATCH_EN: 0
; COMPUTE_PGM_RSRC2:USER_SGPR: 6
; COMPUTE_PGM_RSRC2:TRAP_HANDLER: 0
; COMPUTE_PGM_RSRC2:TGID_X_EN: 1
; COMPUTE_PGM_RSRC2:TGID_Y_EN: 1
; COMPUTE_PGM_RSRC2:TGID_Z_EN: 1
; COMPUTE_PGM_RSRC2:TIDIG_COMP_CNT: 1
	.section	.text._ZL30rocblas_trmm_outofplace_kernelI19rocblas_complex_numIfELi32ELi2ELb0ELb1ELb1ELb0EPKS1_S2_S1_Ev17rocblas_diagonal_iiT6_lPT7_lllS7_lllPT8_llli,"axG",@progbits,_ZL30rocblas_trmm_outofplace_kernelI19rocblas_complex_numIfELi32ELi2ELb0ELb1ELb1ELb0EPKS1_S2_S1_Ev17rocblas_diagonal_iiT6_lPT7_lllS7_lllPT8_llli,comdat
	.globl	_ZL30rocblas_trmm_outofplace_kernelI19rocblas_complex_numIfELi32ELi2ELb0ELb1ELb1ELb0EPKS1_S2_S1_Ev17rocblas_diagonal_iiT6_lPT7_lllS7_lllPT8_llli ; -- Begin function _ZL30rocblas_trmm_outofplace_kernelI19rocblas_complex_numIfELi32ELi2ELb0ELb1ELb1ELb0EPKS1_S2_S1_Ev17rocblas_diagonal_iiT6_lPT7_lllS7_lllPT8_llli
	.p2align	8
	.type	_ZL30rocblas_trmm_outofplace_kernelI19rocblas_complex_numIfELi32ELi2ELb0ELb1ELb1ELb0EPKS1_S2_S1_Ev17rocblas_diagonal_iiT6_lPT7_lllS7_lllPT8_llli,@function
_ZL30rocblas_trmm_outofplace_kernelI19rocblas_complex_numIfELi32ELi2ELb0ELb1ELb1ELb0EPKS1_S2_S1_Ev17rocblas_diagonal_iiT6_lPT7_lllS7_lllPT8_llli: ; @_ZL30rocblas_trmm_outofplace_kernelI19rocblas_complex_numIfELi32ELi2ELb0ELb1ELb1ELb0EPKS1_S2_S1_Ev17rocblas_diagonal_iiT6_lPT7_lllS7_lllPT8_llli
; %bb.0:
	s_load_dwordx16 s[12:27], s[4:5], 0x10
	s_waitcnt lgkmcnt(0)
	s_mul_i32 s0, s15, s8
	s_mul_hi_u32 s1, s14, s8
	s_add_i32 s1, s1, s0
	s_mul_i32 s0, s14, s8
	s_lshl_b64 s[0:1], s[0:1], 3
	s_add_u32 s0, s12, s0
	s_addc_u32 s1, s13, s1
	s_load_dwordx2 s[34:35], s[0:1], 0x0
	s_waitcnt lgkmcnt(0)
	s_or_b32 s0, s34, s35
	s_bitset0_b32 s0, 31
	s_cmp_eq_u32 s0, 0
	s_cbranch_scc1 .LBB90_64
; %bb.1:
	s_load_dwordx4 s[12:15], s[4:5], 0x0
	s_waitcnt lgkmcnt(0)
	s_add_i32 s0, s14, -1
	s_ashr_i32 s1, s0, 31
	s_lshr_b32 s1, s1, 27
	s_add_i32 s0, s0, s1
	s_ashr_i32 s11, s0, 5
	s_cmp_gt_i32 s7, s11
	s_cbranch_scc1 .LBB90_64
; %bb.2:
	s_clause 0x2
	s_load_dwordx4 s[28:31], s[4:5], 0x70
	s_load_dwordx8 s[36:43], s[4:5], 0x50
	s_load_dword s33, s[4:5], 0x8c
	v_lshl_add_u32 v2, s6, 5, v0
	v_lshlrev_b32_e32 v44, 8, v1
	v_lshlrev_b32_e32 v4, 3, v0
	v_mov_b32_e32 v21, 0
	v_mov_b32_e32 v20, 1.0
	v_add_nc_u32_e32 v10, 16, v2
	v_ashrrev_i32_e32 v3, 31, v2
	v_add_nc_u32_e32 v45, v44, v4
	v_or_b32_e32 v46, 0x2000, v4
	v_cmp_gt_i32_e32 vcc_lo, s13, v2
	v_ashrrev_i32_e32 v11, 31, v10
	v_lshlrev_b64 v[14:15], 3, v[2:3]
	v_add_nc_u32_e32 v47, v46, v44
	v_add_nc_u32_e32 v48, 0x1000, v46
	;; [unrolled: 1-line block ×3, first 2 shown]
	s_waitcnt lgkmcnt(0)
	s_mul_i32 s1, s31, s8
	s_mul_hi_u32 s2, s30, s8
	s_mul_i32 s0, s30, s8
	s_add_i32 s1, s2, s1
	s_mul_hi_u32 s5, s38, s8
	s_lshl_b64 s[0:1], s[0:1], 3
	s_add_u32 s4, s40, s0
	s_addc_u32 s1, s41, s1
	s_lshl_b64 s[2:3], s[42:43], 3
	v_cmp_gt_i32_e64 s0, s13, v10
	s_add_u32 s44, s4, s2
	s_addc_u32 s45, s1, s3
	s_cmpk_eq_i32 s12, 0x84
	v_sub_co_u32 v4, s1, s13, v2
	s_cselect_b32 s46, -1, 0
	s_ashr_i32 s15, s14, 31
	s_ashr_i32 s2, s13, 31
	s_lshl_b64 s[30:31], s[20:21], 8
	s_lshl_b64 s[40:41], s[36:37], 8
	s_add_u32 s12, s14, -16
	s_addc_u32 s13, s15, -1
	s_lshl_b32 s3, s7, 5
	s_lshl_b32 s47, s33, 5
	s_mul_i32 s4, s39, s8
	s_add_u32 s42, s24, 0x80
	s_addc_u32 s43, s25, 0
	s_add_i32 s5, s5, s4
	s_mul_i32 s4, s38, s8
	s_lshl_b64 s[38:39], s[26:27], 3
	s_lshl_b64 s[4:5], s[4:5], 3
	;; [unrolled: 1-line block ×3, first 2 shown]
	s_add_u32 s6, s4, s38
	v_sub_co_ci_u32_e64 v5, null, s2, v3, s1
	s_addc_u32 s10, s5, s39
	s_mul_i32 s4, s23, s8
	s_mul_hi_u32 s5, s22, s8
	v_add_nc_u32_e32 v12, s3, v0
	s_add_i32 s5, s5, s4
	s_mul_i32 s4, s22, s8
	v_add_nc_u32_e32 v16, s3, v1
	s_lshl_b64 s[4:5], s[4:5], 3
	s_lshl_b64 s[8:9], s[18:19], 3
	v_add_co_u32 v18, s3, s6, v14
	v_cmp_gt_i64_e64 s1, 1, v[4:5]
	v_cmp_gt_i64_e64 s2, 17, v[4:5]
	v_add_co_ci_u32_e64 v19, null, s10, v15, s3
	s_add_u32 s3, s4, s8
	v_add_nc_u32_e32 v0, 0x800, v46
	s_addc_u32 s4, s5, s9
	s_add_u32 s16, s16, s3
	s_addc_u32 s17, s17, s4
	s_lshl_b64 s[18:19], s[20:21], 3
	s_branch .LBB90_4
.LBB90_3:                               ;   in Loop: Header=BB90_4 Depth=1
	s_or_b32 exec_lo, exec_lo, s4
	v_add_nc_u32_e32 v12, s47, v12
	v_add_nc_u32_e32 v16, s47, v16
	s_add_i32 s7, s33, s7
	s_cmp_le_i32 s7, s11
	s_cbranch_scc0 .LBB90_64
.LBB90_4:                               ; =>This Loop Header: Depth=1
                                        ;     Child Loop BB90_7 Depth 2
	s_lshl_b32 s3, s7, 5
	v_ashrrev_i32_e32 v13, 31, v12
	v_add_nc_u32_e32 v22, s3, v1
	v_ashrrev_i32_e32 v17, 31, v16
	s_sub_i32 s38, s14, s3
	s_cmp_lt_i32 s38, 1
	v_ashrrev_i32_e32 v23, 31, v22
	s_cbranch_scc1 .LBB90_55
; %bb.5:                                ;   in Loop: Header=BB90_4 Depth=1
	v_lshlrev_b64 v[2:3], 3, v[12:13]
	v_sub_co_u32 v24, s3, v16, v12
	v_lshlrev_b64 v[28:29], 3, v[16:17]
	v_sub_co_ci_u32_e64 v25, null, v17, v13, s3
	v_add_co_u32 v2, s3, 0x80, v2
	v_add_co_ci_u32_e64 v3, null, 0, v3, s3
	v_mad_u64_u32 v[26:27], null, s26, v16, s[42:43]
	v_mul_lo_u32 v6, s21, v2
	v_mad_u64_u32 v[30:31], null, s20, v2, s[16:17]
	v_add_co_u32 v2, s3, 0x80, v28
	v_add_co_ci_u32_e64 v7, null, 0, v29, s3
	v_mul_lo_u32 v4, s26, v17
	v_mul_lo_u32 v38, s37, v2
	v_mad_u64_u32 v[34:35], null, s36, v2, s[24:25]
	v_mul_lo_u32 v7, s36, v7
	v_mul_lo_u32 v5, s27, v16
	;; [unrolled: 1-line block ×3, first 2 shown]
	v_mad_u64_u32 v[32:33], null, s18, v12, s[16:17]
	v_mul_lo_u32 v8, s18, v13
	v_mul_lo_u32 v9, s19, v12
	v_add_co_u32 v36, s3, v22, 16
	v_add_co_ci_u32_e64 v37, null, 0, v23, s3
	v_add3_u32 v35, v38, v35, v7
	v_add_co_u32 v38, s5, v24, 16
	v_add_co_ci_u32_e64 v39, null, 0, v25, s5
	v_add_co_u32 v40, s5, v24, -16
	v_cmp_le_i64_e64 s4, s[14:15], v[36:37]
	v_mov_b32_e32 v43, v19
	v_add3_u32 v27, v5, v27, v4
	v_add3_u32 v31, v6, v31, v3
	;; [unrolled: 1-line block ×3, first 2 shown]
	v_cmp_le_i32_e64 s3, s14, v22
	v_add_co_ci_u32_e64 v41, null, -1, v25, s5
	v_mov_b32_e32 v50, 0
	v_mov_b32_e32 v42, v18
	;; [unrolled: 1-line block ×9, first 2 shown]
	s_mov_b64 s[22:23], 0
	s_branch .LBB90_7
.LBB90_6:                               ;   in Loop: Header=BB90_7 Depth=2
	s_or_b32 exec_lo, exec_lo, s5
	s_waitcnt lgkmcnt(0)
	s_barrier
	buffer_gl0_inv
	ds_read_b128 v[58:61], v44
	ds_read2_b64 v[62:65], v46 offset1:16
	ds_read_b128 v[66:69], v44 offset:4096
	ds_read_b128 v[70:73], v44 offset:16
	;; [unrolled: 1-line block ×4, first 2 shown]
	ds_read2_b64 v[74:77], v46 offset0:32 offset1:48
	ds_read_b128 v[78:81], v44 offset:4112
	v_add_co_u32 v42, s5, v42, s40
	v_add_co_ci_u32_e64 v43, null, s41, v43, s5
	v_add_co_u32 v30, s5, v30, s30
	v_add_co_ci_u32_e64 v31, null, s31, v31, s5
	;; [unrolled: 2-line block ×3, first 2 shown]
	s_add_u32 s22, s22, 32
	s_waitcnt lgkmcnt(6)
	v_mul_f32_e32 v82, v59, v63
	v_mul_f32_e32 v83, v58, v63
	v_mul_f32_e32 v84, v59, v65
	v_mul_f32_e32 v85, v58, v65
	s_waitcnt lgkmcnt(5)
	v_mul_f32_e32 v86, v67, v63
	v_mul_f32_e32 v63, v66, v63
	v_mul_f32_e32 v87, v67, v65
	v_fma_f32 v82, v58, v62, -v82
	v_fmac_f32_e32 v83, v59, v62
	v_fma_f32 v58, v58, v64, -v84
	v_fmac_f32_e32 v85, v59, v64
	;; [unrolled: 2-line block ×3, first 2 shown]
	v_fma_f32 v62, v66, v64, -v87
	v_mul_f32_e32 v65, v66, v65
	v_add_f32_e32 v58, v54, v58
	v_add_f32_e32 v59, v52, v59
	;; [unrolled: 1-line block ×3, first 2 shown]
	s_waitcnt lgkmcnt(1)
	v_mul_f32_e32 v66, v61, v75
	v_add_f32_e32 v62, v51, v62
	ds_read2_b64 v[51:54], v46 offset0:64 offset1:80
	v_add_f32_e32 v56, v56, v82
	v_fmac_f32_e32 v65, v67, v64
	v_fma_f32 v66, v60, v74, -v66
	v_mul_f32_e32 v67, v61, v77
	v_mul_f32_e32 v64, v60, v75
	v_add_f32_e32 v57, v57, v83
	v_add_f32_e32 v50, v50, v65
	v_mul_f32_e32 v65, v60, v77
	v_add_f32_e32 v66, v56, v66
	v_fma_f32 v56, v60, v76, -v67
	v_mul_f32_e32 v60, v69, v75
	v_add_f32_e32 v55, v55, v85
	v_fmac_f32_e32 v64, v61, v74
	v_fmac_f32_e32 v65, v61, v76
	v_add_f32_e32 v61, v58, v56
	v_fma_f32 v56, v68, v74, -v60
	v_mul_f32_e32 v58, v69, v77
	v_add_f32_e32 v64, v57, v64
	v_mul_f32_e32 v57, v68, v75
	v_add_f32_e32 v60, v55, v65
	;; [unrolled: 2-line block ×3, first 2 shown]
	s_waitcnt lgkmcnt(0)
	v_mul_f32_e32 v56, v71, v52
	v_fmac_f32_e32 v57, v69, v74
	v_fma_f32 v55, v68, v76, -v58
	v_fmac_f32_e32 v65, v69, v76
	v_mul_f32_e32 v67, v70, v52
	v_fma_f32 v68, v70, v51, -v56
	v_mul_f32_e32 v69, v71, v54
	v_add_f32_e32 v63, v63, v57
	v_add_f32_e32 v62, v62, v55
	ds_read2_b64 v[55:58], v46 offset0:96 offset1:112
	v_fmac_f32_e32 v67, v71, v51
	v_add_f32_e32 v65, v50, v65
	v_add_f32_e32 v66, v66, v68
	v_mul_f32_e32 v50, v70, v54
	v_fma_f32 v68, v70, v53, -v69
	v_add_f32_e32 v64, v64, v67
	v_mul_f32_e32 v67, v79, v52
	v_mul_f32_e32 v52, v78, v52
	v_fmac_f32_e32 v50, v71, v53
	v_add_f32_e32 v61, v61, v68
	v_mul_f32_e32 v68, v79, v54
	v_mul_f32_e32 v54, v78, v54
	v_fmac_f32_e32 v52, v79, v51
	v_add_f32_e32 v60, v60, v50
	v_fma_f32 v67, v78, v51, -v67
	v_fma_f32 v50, v78, v53, -v68
	v_fmac_f32_e32 v54, v79, v53
	v_add_f32_e32 v63, v63, v52
	s_addc_u32 s23, s23, 0
	v_add_f32_e32 v67, v59, v67
	v_add_f32_e32 v68, v62, v50
	ds_read2_b64 v[50:53], v46 offset0:128 offset1:144
	s_waitcnt lgkmcnt(1)
	v_mul_f32_e32 v59, v73, v56
	v_add_f32_e32 v65, v65, v54
	v_mul_f32_e32 v54, v72, v58
	v_mul_f32_e32 v62, v72, v56
	;; [unrolled: 1-line block ×3, first 2 shown]
	v_fma_f32 v59, v72, v55, -v59
	s_cmp_ge_i32 s22, s38
	v_fmac_f32_e32 v54, v73, v57
	v_fmac_f32_e32 v62, v73, v55
	v_fma_f32 v69, v72, v57, -v69
	v_add_f32_e32 v66, v66, v59
	v_mul_f32_e32 v59, v81, v56
	v_mul_f32_e32 v56, v80, v56
	v_add_f32_e32 v71, v60, v54
	v_mul_f32_e32 v54, v81, v58
	v_add_f32_e32 v64, v64, v62
	v_add_f32_e32 v69, v61, v69
	v_fma_f32 v70, v80, v55, -v59
	ds_read_b128 v[59:62], v44 offset:4128
	v_fmac_f32_e32 v56, v81, v55
	v_mul_f32_e32 v58, v80, v58
	v_fma_f32 v54, v80, v57, -v54
	s_waitcnt lgkmcnt(1)
	v_mul_f32_e32 v55, v7, v51
	v_add_f32_e32 v67, v67, v70
	v_add_f32_e32 v70, v63, v56
	v_fmac_f32_e32 v58, v81, v57
	v_add_f32_e32 v68, v68, v54
	v_fma_f32 v72, v6, v50, -v55
	ds_read2_b64 v[54:57], v46 offset0:160 offset1:176
	v_mul_f32_e32 v63, v6, v51
	v_mul_f32_e32 v73, v7, v53
	;; [unrolled: 1-line block ×3, first 2 shown]
	v_add_f32_e32 v58, v65, v58
	v_add_f32_e32 v72, v66, v72
	v_fmac_f32_e32 v63, v7, v50
	v_fma_f32 v6, v6, v52, -v73
	v_fmac_f32_e32 v74, v7, v52
	v_add_f32_e32 v75, v64, v63
	ds_read_b128 v[63:66], v44 offset:4144
	s_waitcnt lgkmcnt(2)
	v_mul_f32_e32 v73, v60, v51
	v_mul_f32_e32 v7, v59, v51
	;; [unrolled: 1-line block ×3, first 2 shown]
	v_add_f32_e32 v6, v69, v6
	v_add_f32_e32 v71, v71, v74
	v_fma_f32 v69, v59, v50, -v73
	v_fmac_f32_e32 v7, v60, v50
	v_mul_f32_e32 v73, v59, v53
	v_fma_f32 v50, v59, v52, -v51
	s_waitcnt lgkmcnt(1)
	v_mul_f32_e32 v51, v9, v55
	v_add_f32_e32 v59, v67, v69
	v_mul_f32_e32 v69, v9, v57
	v_fmac_f32_e32 v73, v60, v52
	v_add_f32_e32 v60, v68, v50
	v_fma_f32 v68, v8, v54, -v51
	ds_read2_b64 v[50:53], v46 offset0:192 offset1:208
	v_add_f32_e32 v7, v70, v7
	v_mul_f32_e32 v67, v8, v55
	v_mul_f32_e32 v70, v8, v57
	v_fma_f32 v8, v8, v56, -v69
	v_mul_f32_e32 v69, v62, v55
	v_mul_f32_e32 v55, v61, v55
	v_add_f32_e32 v68, v72, v68
	v_fmac_f32_e32 v67, v9, v54
	v_add_f32_e32 v72, v6, v8
	v_fma_f32 v6, v61, v54, -v69
	v_fmac_f32_e32 v55, v62, v54
	v_mul_f32_e32 v8, v62, v57
	v_fmac_f32_e32 v70, v9, v56
	v_mul_f32_e32 v57, v61, v57
	v_add_f32_e32 v59, v59, v6
	v_add_f32_e32 v55, v7, v55
	v_fma_f32 v61, v61, v56, -v8
	ds_read2_b64 v[6:9], v46 offset0:224 offset1:240
	v_fmac_f32_e32 v57, v62, v56
	s_waitcnt lgkmcnt(1)
	v_mul_f32_e32 v69, v3, v51
	v_mul_f32_e32 v56, v2, v51
	v_add_f32_e32 v67, v75, v67
	v_add_f32_e32 v60, v60, v61
	v_mul_f32_e32 v62, v3, v53
	v_fma_f32 v61, v2, v50, -v69
	v_fmac_f32_e32 v56, v3, v50
	v_mul_f32_e32 v69, v2, v53
	v_add_f32_e32 v58, v58, v73
	v_fma_f32 v2, v2, v52, -v62
	v_add_f32_e32 v54, v71, v70
	v_add_f32_e32 v62, v67, v56
	v_fmac_f32_e32 v69, v3, v52
	v_mul_f32_e32 v3, v64, v51
	v_mul_f32_e32 v51, v63, v51
	;; [unrolled: 1-line block ×3, first 2 shown]
	v_add_f32_e32 v61, v68, v61
	v_mul_f32_e32 v68, v63, v53
	v_fma_f32 v3, v63, v50, -v3
	v_fmac_f32_e32 v51, v64, v50
	v_fma_f32 v50, v63, v52, -v56
	s_waitcnt lgkmcnt(0)
	v_mul_f32_e32 v53, v5, v7
	v_add_f32_e32 v58, v58, v57
	v_add_f32_e32 v67, v54, v69
	;; [unrolled: 1-line block ×4, first 2 shown]
	v_fmac_f32_e32 v68, v64, v52
	v_add_f32_e32 v64, v60, v50
	v_fma_f32 v3, v4, v6, -v53
	ds_read_b128 v[50:53], v44 offset:64
	ds_read2_b64 v[54:57], v0 offset1:16
	v_mul_f32_e32 v60, v4, v7
	v_mul_f32_e32 v69, v5, v9
	v_add_f32_e32 v2, v72, v2
	v_add_f32_e32 v68, v58, v68
	v_mul_f32_e32 v58, v4, v9
	v_fmac_f32_e32 v60, v5, v6
	v_add_f32_e32 v70, v61, v3
	v_fma_f32 v3, v4, v8, -v69
	v_mul_f32_e32 v4, v66, v7
	v_mul_f32_e32 v7, v65, v7
	;; [unrolled: 1-line block ×3, first 2 shown]
	v_add_f32_e32 v62, v62, v60
	v_fmac_f32_e32 v58, v5, v8
	v_add_f32_e32 v69, v2, v3
	v_fma_f32 v60, v65, v6, -v4
	v_fmac_f32_e32 v7, v66, v6
	ds_read_b128 v[2:5], v44 offset:4160
	v_fma_f32 v6, v65, v8, -v61
	v_mul_f32_e32 v65, v65, v9
	s_waitcnt lgkmcnt(1)
	v_mul_f32_e32 v9, v51, v55
	v_add_f32_e32 v72, v63, v7
	v_mul_f32_e32 v63, v50, v55
	v_mul_f32_e32 v73, v51, v57
	v_fmac_f32_e32 v65, v66, v8
	v_add_f32_e32 v66, v64, v6
	v_fma_f32 v64, v50, v54, -v9
	ds_read2_b64 v[6:9], v0 offset0:32 offset1:48
	v_mul_f32_e32 v74, v50, v57
	v_add_f32_e32 v67, v67, v58
	v_add_f32_e32 v71, v59, v60
	ds_read_b128 v[58:61], v44 offset:80
	v_fmac_f32_e32 v63, v51, v54
	v_fma_f32 v50, v50, v56, -v73
	v_fmac_f32_e32 v74, v51, v56
	v_add_f32_e32 v70, v70, v64
	v_add_f32_e32 v68, v68, v65
	s_waitcnt lgkmcnt(2)
	v_mul_f32_e32 v73, v3, v55
	v_mul_f32_e32 v51, v2, v55
	v_mul_f32_e32 v55, v3, v57
	v_add_f32_e32 v50, v69, v50
	v_add_f32_e32 v75, v62, v63
	v_fma_f32 v69, v2, v54, -v73
	v_fmac_f32_e32 v51, v3, v54
	v_mul_f32_e32 v73, v2, v57
	v_fma_f32 v2, v2, v56, -v55
	ds_read_b128 v[62:65], v44 offset:4176
	s_waitcnt lgkmcnt(2)
	v_mul_f32_e32 v54, v53, v7
	v_add_f32_e32 v69, v71, v69
	v_fmac_f32_e32 v73, v3, v56
	v_add_f32_e32 v66, v66, v2
	v_mul_f32_e32 v2, v52, v7
	v_fma_f32 v3, v52, v6, -v54
	ds_read2_b64 v[54:57], v0 offset0:64 offset1:80
	v_mul_f32_e32 v71, v53, v9
	v_add_f32_e32 v67, v67, v74
	v_fmac_f32_e32 v2, v53, v6
	v_add_f32_e32 v70, v70, v3
	v_mul_f32_e32 v3, v52, v9
	v_fma_f32 v52, v52, v8, -v71
	v_mul_f32_e32 v71, v5, v7
	v_mul_f32_e32 v7, v4, v7
	v_add_f32_e32 v51, v72, v51
	v_add_f32_e32 v72, v75, v2
	v_fmac_f32_e32 v3, v53, v8
	v_fma_f32 v2, v4, v6, -v71
	v_fmac_f32_e32 v7, v5, v6
	v_mul_f32_e32 v6, v5, v9
	v_mul_f32_e32 v9, v4, v9
	v_add_f32_e32 v50, v50, v52
	v_add_f32_e32 v52, v67, v3
	;; [unrolled: 1-line block ×3, first 2 shown]
	v_fma_f32 v6, v4, v8, -v6
	v_fmac_f32_e32 v9, v5, v8
	ds_read2_b64 v[2:5], v0 offset0:96 offset1:112
	v_add_f32_e32 v68, v68, v73
	v_add_f32_e32 v7, v51, v7
	s_waitcnt lgkmcnt(1)
	v_mul_f32_e32 v51, v59, v55
	v_mul_f32_e32 v8, v58, v55
	v_add_f32_e32 v6, v66, v6
	v_mul_f32_e32 v66, v59, v57
	v_add_f32_e32 v68, v68, v9
	v_fma_f32 v51, v58, v54, -v51
	v_fmac_f32_e32 v8, v59, v54
	v_mul_f32_e32 v67, v58, v57
	v_fma_f32 v9, v58, v56, -v66
	v_add_f32_e32 v69, v70, v51
	v_add_f32_e32 v58, v72, v8
	v_mul_f32_e32 v8, v63, v55
	v_mul_f32_e32 v51, v62, v55
	v_add_f32_e32 v55, v50, v9
	v_mul_f32_e32 v9, v63, v57
	v_fmac_f32_e32 v67, v59, v56
	v_fma_f32 v8, v62, v54, -v8
	v_fmac_f32_e32 v51, v63, v54
	v_mul_f32_e32 v54, v62, v57
	v_fma_f32 v9, v62, v56, -v9
	s_waitcnt lgkmcnt(0)
	v_mul_f32_e32 v50, v61, v3
	v_add_f32_e32 v59, v52, v67
	v_add_f32_e32 v62, v53, v8
	;; [unrolled: 1-line block ×3, first 2 shown]
	v_fmac_f32_e32 v54, v63, v56
	v_add_f32_e32 v63, v6, v9
	v_fma_f32 v56, v60, v2, -v50
	ds_read_b128 v[6:9], v44 offset:96
	ds_read2_b64 v[50:53], v0 offset0:128 offset1:144
	v_mul_f32_e32 v57, v60, v3
	v_mul_f32_e32 v67, v61, v5
	v_add_f32_e32 v68, v68, v54
	v_mul_f32_e32 v54, v60, v5
	v_add_f32_e32 v69, v69, v56
	v_fmac_f32_e32 v57, v61, v2
	v_fma_f32 v56, v60, v4, -v67
	v_mul_f32_e32 v60, v65, v3
	v_fmac_f32_e32 v54, v61, v4
	v_mul_f32_e32 v3, v64, v3
	v_add_f32_e32 v67, v58, v57
	v_add_f32_e32 v70, v55, v56
	v_fma_f32 v58, v64, v2, -v60
	v_mul_f32_e32 v60, v65, v5
	v_add_f32_e32 v71, v59, v54
	v_fmac_f32_e32 v3, v65, v2
	ds_read_b128 v[54:57], v44 offset:4192
	v_add_f32_e32 v72, v62, v58
	v_fma_f32 v2, v64, v4, -v60
	v_mul_f32_e32 v62, v64, v5
	s_waitcnt lgkmcnt(1)
	v_mul_f32_e32 v5, v7, v51
	v_add_f32_e32 v66, v66, v3
	v_mul_f32_e32 v64, v6, v51
	v_add_f32_e32 v73, v63, v2
	v_fmac_f32_e32 v62, v65, v4
	v_fma_f32 v63, v6, v50, -v5
	ds_read2_b64 v[2:5], v0 offset0:160 offset1:176
	v_mul_f32_e32 v65, v7, v53
	v_mul_f32_e32 v74, v6, v53
	ds_read_b128 v[58:61], v44 offset:112
	v_fmac_f32_e32 v64, v7, v50
	v_add_f32_e32 v69, v69, v63
	v_fma_f32 v6, v6, v52, -v65
	v_fmac_f32_e32 v74, v7, v52
	v_add_f32_e32 v68, v68, v62
	v_add_f32_e32 v67, v67, v64
	s_waitcnt lgkmcnt(2)
	v_mul_f32_e32 v75, v55, v51
	v_mul_f32_e32 v7, v54, v51
	;; [unrolled: 1-line block ×3, first 2 shown]
	v_add_f32_e32 v6, v70, v6
	v_add_f32_e32 v71, v71, v74
	v_fma_f32 v70, v54, v50, -v75
	v_fmac_f32_e32 v7, v55, v50
	v_mul_f32_e32 v74, v54, v53
	v_fma_f32 v50, v54, v52, -v51
	ds_read_b128 v[62:65], v44 offset:4208
	s_waitcnt lgkmcnt(2)
	v_mul_f32_e32 v51, v9, v3
	v_add_f32_e32 v54, v72, v70
	v_fmac_f32_e32 v74, v55, v52
	v_add_f32_e32 v55, v73, v50
	v_add_f32_e32 v7, v66, v7
	v_fma_f32 v70, v8, v2, -v51
	ds_read2_b64 v[50:53], v0 offset0:192 offset1:208
	v_mul_f32_e32 v66, v8, v3
	v_mul_f32_e32 v72, v9, v5
	v_add_f32_e32 v68, v68, v74
	v_add_f32_e32 v69, v69, v70
	v_mul_f32_e32 v70, v8, v5
	v_fmac_f32_e32 v66, v9, v2
	v_fma_f32 v8, v8, v4, -v72
	v_mul_f32_e32 v72, v57, v3
	v_mul_f32_e32 v3, v56, v3
	v_fmac_f32_e32 v70, v9, v4
	v_add_f32_e32 v66, v67, v66
	v_add_f32_e32 v6, v6, v8
	v_fma_f32 v8, v56, v2, -v72
	v_fmac_f32_e32 v3, v57, v2
	v_mul_f32_e32 v2, v57, v5
	v_mul_f32_e32 v67, v56, v5
	v_add_f32_e32 v9, v71, v70
	v_add_f32_e32 v8, v54, v8
	;; [unrolled: 1-line block ×3, first 2 shown]
	v_fma_f32 v54, v56, v4, -v2
	s_waitcnt lgkmcnt(0)
	v_mul_f32_e32 v56, v59, v51
	v_fmac_f32_e32 v67, v57, v4
	ds_read2_b64 v[2:5], v0 offset0:224 offset1:240
	v_mul_f32_e32 v70, v58, v53
	v_add_f32_e32 v54, v55, v54
	v_fma_f32 v55, v58, v50, -v56
	v_mul_f32_e32 v56, v59, v53
	v_mul_f32_e32 v57, v58, v51
	v_fmac_f32_e32 v70, v59, v52
	v_add_f32_e32 v67, v68, v67
	v_add_f32_e32 v55, v69, v55
	v_fma_f32 v56, v58, v52, -v56
	v_mul_f32_e32 v58, v63, v51
	v_mul_f32_e32 v51, v62, v51
	v_fmac_f32_e32 v57, v59, v50
	v_add_f32_e32 v59, v9, v70
	v_add_f32_e32 v56, v6, v56
	v_mul_f32_e32 v6, v63, v53
	v_fma_f32 v9, v62, v50, -v58
	v_fmac_f32_e32 v51, v63, v50
	v_mul_f32_e32 v58, v62, v53
	v_add_f32_e32 v57, v66, v57
	v_fma_f32 v6, v62, v52, -v6
	s_waitcnt lgkmcnt(0)
	v_mul_f32_e32 v50, v61, v3
	v_add_f32_e32 v62, v8, v9
	v_add_f32_e32 v66, v7, v51
	v_fmac_f32_e32 v58, v63, v52
	v_add_f32_e32 v63, v54, v6
	v_fma_f32 v54, v60, v2, -v50
	ds_read_b128 v[6:9], v44 offset:128
	ds_read2_b64 v[50:53], v48 offset1:16
	v_mul_f32_e32 v68, v60, v3
	v_mul_f32_e32 v69, v61, v5
	v_add_f32_e32 v67, v67, v58
	v_mul_f32_e32 v58, v60, v5
	v_add_f32_e32 v70, v55, v54
	v_mul_f32_e32 v55, v65, v3
	v_fmac_f32_e32 v68, v61, v2
	v_fma_f32 v54, v60, v4, -v69
	v_fmac_f32_e32 v58, v61, v4
	v_mul_f32_e32 v3, v64, v3
	v_fma_f32 v60, v64, v2, -v55
	v_mul_f32_e32 v61, v65, v5
	v_add_f32_e32 v68, v57, v68
	v_add_f32_e32 v69, v56, v54
	v_fmac_f32_e32 v3, v65, v2
	ds_read_b128 v[54:57], v44 offset:4224
	v_add_f32_e32 v72, v62, v60
	v_fma_f32 v2, v64, v4, -v61
	v_mul_f32_e32 v62, v64, v5
	s_waitcnt lgkmcnt(1)
	v_mul_f32_e32 v5, v7, v51
	v_add_f32_e32 v66, v66, v3
	v_mul_f32_e32 v64, v6, v51
	v_add_f32_e32 v73, v63, v2
	v_fmac_f32_e32 v62, v65, v4
	v_fma_f32 v63, v6, v50, -v5
	ds_read2_b64 v[2:5], v48 offset0:32 offset1:48
	v_mul_f32_e32 v65, v7, v53
	v_mul_f32_e32 v74, v6, v53
	v_add_f32_e32 v71, v59, v58
	ds_read_b128 v[58:61], v44 offset:144
	v_fmac_f32_e32 v64, v7, v50
	v_fma_f32 v6, v6, v52, -v65
	v_fmac_f32_e32 v74, v7, v52
	v_add_f32_e32 v70, v70, v63
	v_add_f32_e32 v67, v67, v62
	s_waitcnt lgkmcnt(2)
	v_mul_f32_e32 v75, v55, v51
	v_mul_f32_e32 v7, v54, v51
	;; [unrolled: 1-line block ×3, first 2 shown]
	v_add_f32_e32 v6, v69, v6
	v_add_f32_e32 v71, v71, v74
	v_fma_f32 v69, v54, v50, -v75
	v_fmac_f32_e32 v7, v55, v50
	v_mul_f32_e32 v74, v54, v53
	v_fma_f32 v50, v54, v52, -v51
	v_add_f32_e32 v68, v68, v64
	s_waitcnt lgkmcnt(1)
	v_mul_f32_e32 v51, v9, v3
	v_add_f32_e32 v54, v72, v69
	v_fmac_f32_e32 v74, v55, v52
	v_add_f32_e32 v55, v73, v50
	v_add_f32_e32 v7, v66, v7
	v_fma_f32 v69, v8, v2, -v51
	ds_read2_b64 v[50:53], v48 offset0:64 offset1:80
	v_mul_f32_e32 v66, v8, v3
	v_mul_f32_e32 v72, v9, v5
	ds_read_b128 v[62:65], v44 offset:4240
	v_add_f32_e32 v69, v70, v69
	v_mul_f32_e32 v70, v8, v5
	v_fmac_f32_e32 v66, v9, v2
	v_fma_f32 v8, v8, v4, -v72
	v_mul_f32_e32 v72, v57, v3
	v_mul_f32_e32 v3, v56, v3
	v_fmac_f32_e32 v70, v9, v4
	v_add_f32_e32 v66, v68, v66
	v_add_f32_e32 v6, v6, v8
	v_fma_f32 v8, v56, v2, -v72
	v_fmac_f32_e32 v3, v57, v2
	v_mul_f32_e32 v2, v57, v5
	v_mul_f32_e32 v68, v56, v5
	v_add_f32_e32 v9, v71, v70
	v_add_f32_e32 v8, v54, v8
	v_add_f32_e32 v7, v7, v3
	v_fma_f32 v54, v56, v4, -v2
	s_waitcnt lgkmcnt(1)
	v_mul_f32_e32 v56, v59, v51
	v_fmac_f32_e32 v68, v57, v4
	ds_read2_b64 v[2:5], v48 offset0:96 offset1:112
	v_mul_f32_e32 v70, v58, v53
	v_add_f32_e32 v54, v55, v54
	v_fma_f32 v55, v58, v50, -v56
	v_mul_f32_e32 v56, v59, v53
	v_mul_f32_e32 v57, v58, v51
	v_fmac_f32_e32 v70, v59, v52
	v_add_f32_e32 v67, v67, v74
	v_add_f32_e32 v55, v69, v55
	v_fma_f32 v56, v58, v52, -v56
	s_waitcnt lgkmcnt(1)
	v_mul_f32_e32 v58, v63, v51
	v_mul_f32_e32 v51, v62, v51
	v_fmac_f32_e32 v57, v59, v50
	v_add_f32_e32 v59, v9, v70
	v_add_f32_e32 v56, v6, v56
	v_mul_f32_e32 v6, v63, v53
	v_fma_f32 v9, v62, v50, -v58
	v_fmac_f32_e32 v51, v63, v50
	v_mul_f32_e32 v58, v62, v53
	v_add_f32_e32 v57, v66, v57
	v_fma_f32 v6, v62, v52, -v6
	s_waitcnt lgkmcnt(0)
	v_mul_f32_e32 v50, v61, v3
	v_add_f32_e32 v62, v8, v9
	v_add_f32_e32 v66, v7, v51
	v_fmac_f32_e32 v58, v63, v52
	v_add_f32_e32 v63, v54, v6
	v_fma_f32 v54, v60, v2, -v50
	ds_read_b128 v[6:9], v44 offset:160
	ds_read2_b64 v[50:53], v48 offset0:128 offset1:144
	v_add_f32_e32 v67, v67, v68
	v_mul_f32_e32 v68, v60, v3
	v_mul_f32_e32 v69, v61, v5
	v_add_f32_e32 v70, v55, v54
	v_mul_f32_e32 v55, v65, v3
	v_add_f32_e32 v67, v67, v58
	v_mul_f32_e32 v58, v60, v5
	v_fmac_f32_e32 v68, v61, v2
	v_fma_f32 v54, v60, v4, -v69
	v_mul_f32_e32 v3, v64, v3
	v_fma_f32 v60, v64, v2, -v55
	v_fmac_f32_e32 v58, v61, v4
	v_mul_f32_e32 v61, v65, v5
	v_add_f32_e32 v68, v57, v68
	v_add_f32_e32 v69, v56, v54
	v_fmac_f32_e32 v3, v65, v2
	ds_read_b128 v[54:57], v44 offset:4256
	v_add_f32_e32 v72, v62, v60
	v_fma_f32 v2, v64, v4, -v61
	v_mul_f32_e32 v62, v64, v5
	s_waitcnt lgkmcnt(1)
	v_mul_f32_e32 v5, v7, v51
	v_add_f32_e32 v66, v66, v3
	v_mul_f32_e32 v64, v6, v51
	v_add_f32_e32 v73, v63, v2
	v_fmac_f32_e32 v62, v65, v4
	v_fma_f32 v63, v6, v50, -v5
	ds_read2_b64 v[2:5], v48 offset0:160 offset1:176
	v_mul_f32_e32 v65, v7, v53
	v_mul_f32_e32 v74, v6, v53
	v_add_f32_e32 v71, v59, v58
	ds_read_b128 v[58:61], v44 offset:176
	v_fmac_f32_e32 v64, v7, v50
	v_fma_f32 v6, v6, v52, -v65
	v_fmac_f32_e32 v74, v7, v52
	v_add_f32_e32 v70, v70, v63
	v_add_f32_e32 v67, v67, v62
	s_waitcnt lgkmcnt(2)
	v_mul_f32_e32 v75, v55, v51
	v_mul_f32_e32 v7, v54, v51
	;; [unrolled: 1-line block ×3, first 2 shown]
	v_add_f32_e32 v6, v69, v6
	v_add_f32_e32 v71, v71, v74
	v_fma_f32 v69, v54, v50, -v75
	v_fmac_f32_e32 v7, v55, v50
	v_mul_f32_e32 v74, v54, v53
	v_fma_f32 v50, v54, v52, -v51
	v_add_f32_e32 v68, v68, v64
	s_waitcnt lgkmcnt(1)
	v_mul_f32_e32 v51, v9, v3
	v_add_f32_e32 v54, v72, v69
	v_fmac_f32_e32 v74, v55, v52
	v_add_f32_e32 v55, v73, v50
	v_add_f32_e32 v7, v66, v7
	v_fma_f32 v69, v8, v2, -v51
	ds_read2_b64 v[50:53], v48 offset0:192 offset1:208
	v_mul_f32_e32 v66, v8, v3
	v_mul_f32_e32 v72, v9, v5
	ds_read_b128 v[62:65], v44 offset:4272
	v_add_f32_e32 v69, v70, v69
	v_mul_f32_e32 v70, v8, v5
	v_fmac_f32_e32 v66, v9, v2
	v_fma_f32 v8, v8, v4, -v72
	v_mul_f32_e32 v72, v57, v3
	v_mul_f32_e32 v3, v56, v3
	v_fmac_f32_e32 v70, v9, v4
	v_add_f32_e32 v66, v68, v66
	v_add_f32_e32 v6, v6, v8
	v_fma_f32 v8, v56, v2, -v72
	v_fmac_f32_e32 v3, v57, v2
	v_mul_f32_e32 v2, v57, v5
	v_mul_f32_e32 v68, v56, v5
	v_add_f32_e32 v9, v71, v70
	v_add_f32_e32 v8, v54, v8
	;; [unrolled: 1-line block ×3, first 2 shown]
	v_fma_f32 v54, v56, v4, -v2
	s_waitcnt lgkmcnt(1)
	v_mul_f32_e32 v56, v59, v51
	v_fmac_f32_e32 v68, v57, v4
	ds_read2_b64 v[2:5], v48 offset0:224 offset1:240
	v_mul_f32_e32 v70, v58, v53
	v_add_f32_e32 v54, v55, v54
	v_fma_f32 v55, v58, v50, -v56
	v_mul_f32_e32 v56, v59, v53
	v_mul_f32_e32 v57, v58, v51
	v_fmac_f32_e32 v70, v59, v52
	v_add_f32_e32 v67, v67, v74
	v_add_f32_e32 v55, v69, v55
	v_fma_f32 v56, v58, v52, -v56
	s_waitcnt lgkmcnt(1)
	v_mul_f32_e32 v58, v63, v51
	v_mul_f32_e32 v51, v62, v51
	v_fmac_f32_e32 v57, v59, v50
	v_add_f32_e32 v59, v9, v70
	v_add_f32_e32 v56, v6, v56
	v_mul_f32_e32 v6, v63, v53
	v_fma_f32 v9, v62, v50, -v58
	v_fmac_f32_e32 v51, v63, v50
	v_mul_f32_e32 v58, v62, v53
	v_add_f32_e32 v57, v66, v57
	v_fma_f32 v6, v62, v52, -v6
	s_waitcnt lgkmcnt(0)
	v_mul_f32_e32 v50, v61, v3
	v_add_f32_e32 v62, v8, v9
	v_add_f32_e32 v66, v7, v51
	v_fmac_f32_e32 v58, v63, v52
	v_add_f32_e32 v63, v54, v6
	v_fma_f32 v54, v60, v2, -v50
	ds_read_b128 v[6:9], v44 offset:192
	ds_read2_b64 v[50:53], v49 offset1:16
	v_add_f32_e32 v67, v67, v68
	v_mul_f32_e32 v68, v60, v3
	v_mul_f32_e32 v69, v61, v5
	v_add_f32_e32 v70, v55, v54
	v_mul_f32_e32 v55, v65, v3
	v_add_f32_e32 v67, v67, v58
	v_mul_f32_e32 v58, v60, v5
	v_fmac_f32_e32 v68, v61, v2
	v_fma_f32 v54, v60, v4, -v69
	v_mul_f32_e32 v3, v64, v3
	v_fma_f32 v60, v64, v2, -v55
	v_fmac_f32_e32 v58, v61, v4
	v_mul_f32_e32 v61, v65, v5
	v_add_f32_e32 v68, v57, v68
	v_add_f32_e32 v69, v56, v54
	v_fmac_f32_e32 v3, v65, v2
	ds_read_b128 v[54:57], v44 offset:4288
	v_add_f32_e32 v72, v62, v60
	v_fma_f32 v2, v64, v4, -v61
	v_mul_f32_e32 v62, v64, v5
	s_waitcnt lgkmcnt(1)
	v_mul_f32_e32 v5, v7, v51
	v_add_f32_e32 v66, v66, v3
	v_mul_f32_e32 v64, v6, v51
	v_add_f32_e32 v73, v63, v2
	v_fmac_f32_e32 v62, v65, v4
	v_fma_f32 v63, v6, v50, -v5
	ds_read2_b64 v[2:5], v49 offset0:32 offset1:48
	v_mul_f32_e32 v65, v7, v53
	v_mul_f32_e32 v74, v6, v53
	v_add_f32_e32 v71, v59, v58
	ds_read_b128 v[58:61], v44 offset:208
	v_fmac_f32_e32 v64, v7, v50
	v_fma_f32 v6, v6, v52, -v65
	v_fmac_f32_e32 v74, v7, v52
	v_add_f32_e32 v70, v70, v63
	v_add_f32_e32 v67, v67, v62
	s_waitcnt lgkmcnt(2)
	v_mul_f32_e32 v75, v55, v51
	v_mul_f32_e32 v7, v54, v51
	;; [unrolled: 1-line block ×3, first 2 shown]
	v_add_f32_e32 v6, v69, v6
	v_add_f32_e32 v71, v71, v74
	v_fma_f32 v69, v54, v50, -v75
	v_fmac_f32_e32 v7, v55, v50
	v_mul_f32_e32 v74, v54, v53
	v_fma_f32 v50, v54, v52, -v51
	v_add_f32_e32 v68, v68, v64
	s_waitcnt lgkmcnt(1)
	v_mul_f32_e32 v51, v9, v3
	v_add_f32_e32 v54, v72, v69
	v_fmac_f32_e32 v74, v55, v52
	v_add_f32_e32 v55, v73, v50
	v_add_f32_e32 v7, v66, v7
	v_fma_f32 v69, v8, v2, -v51
	ds_read2_b64 v[50:53], v49 offset0:64 offset1:80
	v_mul_f32_e32 v66, v8, v3
	v_mul_f32_e32 v72, v9, v5
	ds_read_b128 v[62:65], v44 offset:4304
	v_add_f32_e32 v69, v70, v69
	v_mul_f32_e32 v70, v8, v5
	v_fmac_f32_e32 v66, v9, v2
	v_fma_f32 v8, v8, v4, -v72
	v_mul_f32_e32 v72, v57, v3
	v_mul_f32_e32 v3, v56, v3
	v_fmac_f32_e32 v70, v9, v4
	v_add_f32_e32 v66, v68, v66
	v_add_f32_e32 v6, v6, v8
	v_fma_f32 v8, v56, v2, -v72
	v_fmac_f32_e32 v3, v57, v2
	v_mul_f32_e32 v2, v57, v5
	v_mul_f32_e32 v68, v56, v5
	v_add_f32_e32 v9, v71, v70
	v_add_f32_e32 v8, v54, v8
	;; [unrolled: 1-line block ×3, first 2 shown]
	v_fma_f32 v54, v56, v4, -v2
	s_waitcnt lgkmcnt(1)
	v_mul_f32_e32 v56, v59, v51
	v_fmac_f32_e32 v68, v57, v4
	ds_read2_b64 v[2:5], v49 offset0:96 offset1:112
	v_mul_f32_e32 v70, v58, v53
	v_add_f32_e32 v54, v55, v54
	v_fma_f32 v55, v58, v50, -v56
	v_mul_f32_e32 v56, v59, v53
	v_mul_f32_e32 v57, v58, v51
	v_fmac_f32_e32 v70, v59, v52
	v_add_f32_e32 v67, v67, v74
	v_add_f32_e32 v55, v69, v55
	v_fma_f32 v56, v58, v52, -v56
	s_waitcnt lgkmcnt(1)
	v_mul_f32_e32 v58, v63, v51
	v_mul_f32_e32 v51, v62, v51
	v_fmac_f32_e32 v57, v59, v50
	v_add_f32_e32 v59, v9, v70
	v_add_f32_e32 v56, v6, v56
	v_mul_f32_e32 v6, v63, v53
	v_fma_f32 v9, v62, v50, -v58
	v_fmac_f32_e32 v51, v63, v50
	v_mul_f32_e32 v58, v62, v53
	v_add_f32_e32 v67, v67, v68
	v_fma_f32 v6, v62, v52, -v6
	s_waitcnt lgkmcnt(0)
	v_mul_f32_e32 v50, v61, v3
	v_add_f32_e32 v57, v66, v57
	v_add_f32_e32 v62, v8, v9
	;; [unrolled: 1-line block ×3, first 2 shown]
	v_fmac_f32_e32 v58, v63, v52
	v_add_f32_e32 v63, v54, v6
	v_fma_f32 v54, v60, v2, -v50
	ds_read_b128 v[6:9], v44 offset:224
	ds_read2_b64 v[50:53], v49 offset0:128 offset1:144
	v_mul_f32_e32 v68, v60, v3
	v_mul_f32_e32 v69, v61, v5
	v_add_f32_e32 v67, v67, v58
	v_mul_f32_e32 v58, v60, v5
	v_fmac_f32_e32 v68, v61, v2
	v_fma_f32 v60, v60, v4, -v69
	v_add_f32_e32 v69, v55, v54
	v_mul_f32_e32 v54, v65, v3
	v_fmac_f32_e32 v58, v61, v4
	v_add_f32_e32 v68, v57, v68
	v_add_f32_e32 v70, v56, v60
	v_mul_f32_e32 v3, v64, v3
	v_fma_f32 v60, v64, v2, -v54
	v_add_f32_e32 v71, v59, v58
	v_mul_f32_e32 v58, v65, v5
	ds_read_b128 v[54:57], v44 offset:4320
	v_fmac_f32_e32 v3, v65, v2
	v_add_f32_e32 v72, v62, v60
	v_mul_f32_e32 v62, v64, v5
	v_fma_f32 v2, v64, v4, -v58
	s_waitcnt lgkmcnt(1)
	v_mul_f32_e32 v5, v7, v51
	v_add_f32_e32 v66, v66, v3
	v_mul_f32_e32 v64, v7, v53
	v_fmac_f32_e32 v62, v65, v4
	v_add_f32_e32 v73, v63, v2
	v_fma_f32 v63, v6, v50, -v5
	ds_read2_b64 v[2:5], v49 offset0:160 offset1:176
	ds_read_b128 v[58:61], v44 offset:240
	v_mul_f32_e32 v74, v6, v51
	v_mul_f32_e32 v75, v6, v53
	v_fma_f32 v6, v6, v52, -v64
	v_add_f32_e32 v69, v69, v63
	v_add_f32_e32 v67, v67, v62
	v_fmac_f32_e32 v74, v7, v50
	v_fmac_f32_e32 v75, v7, v52
	s_waitcnt lgkmcnt(2)
	v_mul_f32_e32 v76, v55, v51
	v_mul_f32_e32 v7, v54, v51
	v_add_f32_e32 v6, v70, v6
	v_mul_f32_e32 v70, v55, v53
	v_add_f32_e32 v68, v68, v74
	v_fma_f32 v51, v54, v50, -v76
	v_fmac_f32_e32 v7, v55, v50
	v_mul_f32_e32 v74, v54, v53
	v_fma_f32 v50, v54, v52, -v70
	ds_read_b128 v[62:65], v44 offset:4336
	v_add_f32_e32 v72, v72, v51
	s_waitcnt lgkmcnt(2)
	v_mul_f32_e32 v51, v9, v3
	v_add_f32_e32 v7, v66, v7
	v_fmac_f32_e32 v74, v55, v52
	v_mul_f32_e32 v54, v8, v3
	v_add_f32_e32 v55, v73, v50
	v_fma_f32 v66, v8, v2, -v51
	ds_read2_b64 v[50:53], v49 offset0:192 offset1:208
	v_mul_f32_e32 v70, v9, v5
	v_fmac_f32_e32 v54, v9, v2
	v_add_f32_e32 v71, v71, v75
	v_add_f32_e32 v66, v69, v66
	v_mul_f32_e32 v69, v8, v5
	v_fma_f32 v8, v8, v4, -v70
	v_add_f32_e32 v54, v68, v54
	v_mul_f32_e32 v68, v57, v3
	v_mul_f32_e32 v3, v56, v3
	v_fmac_f32_e32 v69, v9, v4
	v_add_f32_e32 v6, v6, v8
	v_mul_f32_e32 v8, v57, v5
	v_fma_f32 v9, v56, v2, -v68
	v_fmac_f32_e32 v3, v57, v2
	v_add_f32_e32 v68, v71, v69
	v_mul_f32_e32 v69, v56, v5
	v_fma_f32 v2, v56, v4, -v8
	v_add_f32_e32 v67, v67, v74
	v_add_f32_e32 v8, v72, v9
	;; [unrolled: 1-line block ×3, first 2 shown]
	s_waitcnt lgkmcnt(0)
	v_mul_f32_e32 v9, v59, v51
	v_fmac_f32_e32 v69, v57, v4
	v_add_f32_e32 v55, v55, v2
	ds_read2_b64 v[2:5], v49 offset0:224 offset1:240
	v_mul_f32_e32 v56, v58, v51
	v_fma_f32 v9, v58, v50, -v9
	v_add_f32_e32 v57, v67, v69
	v_mul_f32_e32 v67, v59, v53
	v_mul_f32_e32 v69, v58, v53
	v_fmac_f32_e32 v56, v59, v50
	v_add_f32_e32 v9, v66, v9
	v_mul_f32_e32 v66, v63, v51
	v_fma_f32 v58, v58, v52, -v67
	v_mul_f32_e32 v51, v62, v51
	v_add_f32_e32 v54, v54, v56
	v_fmac_f32_e32 v69, v59, v52
	v_fma_f32 v56, v62, v50, -v66
	v_add_f32_e32 v6, v6, v58
	v_mul_f32_e32 v58, v63, v53
	v_fmac_f32_e32 v51, v63, v50
	v_mul_f32_e32 v50, v62, v53
	v_add_f32_e32 v8, v8, v56
	v_add_f32_e32 v59, v68, v69
	v_fma_f32 v53, v62, v52, -v58
	s_waitcnt lgkmcnt(0)
	v_mul_f32_e32 v56, v61, v3
	v_mul_f32_e32 v58, v60, v3
	v_add_f32_e32 v7, v7, v51
	v_fmac_f32_e32 v50, v63, v52
	v_add_f32_e32 v51, v55, v53
	v_fma_f32 v52, v60, v2, -v56
	v_mul_f32_e32 v53, v61, v5
	v_fmac_f32_e32 v58, v61, v2
	v_mul_f32_e32 v55, v60, v5
	v_add_f32_e32 v50, v57, v50
	v_add_f32_e32 v56, v9, v52
	v_fma_f32 v9, v60, v4, -v53
	v_mul_f32_e32 v52, v65, v3
	v_mul_f32_e32 v3, v64, v3
	;; [unrolled: 1-line block ×4, first 2 shown]
	v_add_f32_e32 v57, v54, v58
	v_fmac_f32_e32 v55, v61, v4
	v_add_f32_e32 v54, v6, v9
	v_fma_f32 v6, v64, v2, -v52
	v_fmac_f32_e32 v3, v65, v2
	v_fma_f32 v2, v64, v4, -v53
	v_fmac_f32_e32 v5, v65, v4
	v_add_f32_e32 v55, v59, v55
	v_add_f32_e32 v52, v8, v6
	;; [unrolled: 1-line block ×5, first 2 shown]
	s_barrier
	buffer_gl0_inv
	s_cbranch_scc1 .LBB90_56
.LBB90_7:                               ;   Parent Loop BB90_4 Depth=1
                                        ; =>  This Inner Loop Header: Depth=2
	v_add_co_u32 v2, s5, v12, s22
	v_add_co_ci_u32_e64 v3, null, s23, v13, s5
	v_cmp_eq_u64_e64 s8, s[22:23], v[24:25]
	v_add_co_u32 v4, s9, v32, v28
	v_cmp_lt_i64_e64 s5, v[2:3], v[22:23]
	v_cmp_le_i64_e64 s6, s[14:15], v[2:3]
	v_add_co_ci_u32_e64 v5, null, v33, v29, s9
	s_and_b32 s48, s46, s8
	s_or_b32 s9, s3, s5
	s_or_b32 s8, s6, s9
	s_nor_b32 s8, s8, s48
	s_and_saveexec_b32 s9, s8
	s_xor_b32 s8, exec_lo, s9
	s_cbranch_execz .LBB90_9
; %bb.8:                                ;   in Loop: Header=BB90_7 Depth=2
	global_load_dwordx2 v[6:7], v[4:5], off
	s_waitcnt vmcnt(0)
	ds_write_b64 v45, v[6:7]
.LBB90_9:                               ;   in Loop: Header=BB90_7 Depth=2
	s_or_saveexec_b32 s8, s8
	s_xor_b32 s39, s48, -1
	s_xor_b32 exec_lo, exec_lo, s8
	s_cbranch_execz .LBB90_15
; %bb.10:                               ;   in Loop: Header=BB90_7 Depth=2
	s_and_saveexec_b32 s9, s39
	s_xor_b32 s9, exec_lo, s9
; %bb.11:                               ;   in Loop: Header=BB90_7 Depth=2
	v_mov_b32_e32 v6, v21
	v_mov_b32_e32 v7, v21
	ds_write_b64 v45, v[6:7]
; %bb.12:                               ;   in Loop: Header=BB90_7 Depth=2
	s_andn2_saveexec_b32 s9, s9
; %bb.13:                               ;   in Loop: Header=BB90_7 Depth=2
	ds_write_b64 v45, v[20:21]
; %bb.14:                               ;   in Loop: Header=BB90_7 Depth=2
	s_or_b32 exec_lo, exec_lo, s9
.LBB90_15:                              ;   in Loop: Header=BB90_7 Depth=2
	s_or_b32 exec_lo, exec_lo, s8
	v_add_co_u32 v6, s8, v2, 16
	v_add_co_ci_u32_e64 v7, null, 0, v3, s8
	v_cmp_eq_u64_e64 s10, s[22:23], v[40:41]
	v_cmp_lt_i64_e64 s9, v[6:7], v[22:23]
	v_cmp_le_i64_e64 s8, s[14:15], v[6:7]
	s_and_b32 s10, s46, s10
	s_or_b32 s9, s3, s9
	s_or_b32 s9, s8, s9
	s_nor_b32 s9, s9, s10
	s_and_saveexec_b32 s49, s9
	s_xor_b32 s49, exec_lo, s49
	s_cbranch_execz .LBB90_17
; %bb.16:                               ;   in Loop: Header=BB90_7 Depth=2
	v_add_co_u32 v6, s9, v30, v28
	v_add_co_ci_u32_e64 v7, null, v31, v29, s9
	global_load_dwordx2 v[6:7], v[6:7], off
	s_waitcnt vmcnt(0)
	ds_write_b64 v45, v[6:7] offset:128
.LBB90_17:                              ;   in Loop: Header=BB90_7 Depth=2
	s_andn2_saveexec_b32 s9, s49
	s_cbranch_execz .LBB90_23
; %bb.18:                               ;   in Loop: Header=BB90_7 Depth=2
	s_xor_b32 s10, s10, -1
	s_and_saveexec_b32 s49, s10
	s_xor_b32 s10, exec_lo, s49
; %bb.19:                               ;   in Loop: Header=BB90_7 Depth=2
	v_mov_b32_e32 v6, v21
	v_mov_b32_e32 v7, v21
	ds_write_b64 v45, v[6:7] offset:128
; %bb.20:                               ;   in Loop: Header=BB90_7 Depth=2
	s_andn2_saveexec_b32 s10, s10
; %bb.21:                               ;   in Loop: Header=BB90_7 Depth=2
	ds_write_b64 v45, v[20:21] offset:128
; %bb.22:                               ;   in Loop: Header=BB90_7 Depth=2
	s_or_b32 exec_lo, exec_lo, s10
.LBB90_23:                              ;   in Loop: Header=BB90_7 Depth=2
	s_or_b32 exec_lo, exec_lo, s9
	v_cmp_eq_u64_e64 s9, s[22:23], v[38:39]
	v_cmp_lt_i64_e64 s10, v[2:3], v[36:37]
	s_and_b32 s9, s46, s9
	s_or_b32 s10, s4, s10
	s_or_b32 s10, s10, s9
	s_nor_b32 s6, s6, s10
	s_and_saveexec_b32 s10, s6
	s_xor_b32 s6, exec_lo, s10
	s_cbranch_execz .LBB90_25
; %bb.24:                               ;   in Loop: Header=BB90_7 Depth=2
	global_load_dwordx2 v[2:3], v[4:5], off offset:128
	s_waitcnt vmcnt(0)
	ds_write_b64 v45, v[2:3] offset:4096
.LBB90_25:                              ;   in Loop: Header=BB90_7 Depth=2
	s_andn2_saveexec_b32 s6, s6
	s_cbranch_execz .LBB90_31
; %bb.26:                               ;   in Loop: Header=BB90_7 Depth=2
	s_xor_b32 s9, s9, -1
	s_and_saveexec_b32 s10, s9
	s_xor_b32 s9, exec_lo, s10
; %bb.27:                               ;   in Loop: Header=BB90_7 Depth=2
	v_mov_b32_e32 v2, v21
	v_mov_b32_e32 v3, v21
	ds_write_b64 v45, v[2:3] offset:4096
; %bb.28:                               ;   in Loop: Header=BB90_7 Depth=2
	s_andn2_saveexec_b32 s9, s9
; %bb.29:                               ;   in Loop: Header=BB90_7 Depth=2
	ds_write_b64 v45, v[20:21] offset:4096
; %bb.30:                               ;   in Loop: Header=BB90_7 Depth=2
	s_or_b32 exec_lo, exec_lo, s9
.LBB90_31:                              ;   in Loop: Header=BB90_7 Depth=2
	s_or_b32 exec_lo, exec_lo, s6
	s_or_b32 s5, s4, s5
	s_or_b32 s5, s8, s5
	s_nor_b32 s5, s5, s48
	s_and_saveexec_b32 s6, s5
	s_xor_b32 s6, exec_lo, s6
	s_cbranch_execz .LBB90_33
; %bb.32:                               ;   in Loop: Header=BB90_7 Depth=2
	v_add_co_u32 v2, s5, v30, v28
	v_add_co_ci_u32_e64 v3, null, v31, v29, s5
	global_load_dwordx2 v[2:3], v[2:3], off offset:128
	s_waitcnt vmcnt(0)
	ds_write_b64 v45, v[2:3] offset:4224
.LBB90_33:                              ;   in Loop: Header=BB90_7 Depth=2
	s_andn2_saveexec_b32 s5, s6
	s_cbranch_execz .LBB90_39
; %bb.34:                               ;   in Loop: Header=BB90_7 Depth=2
	s_and_saveexec_b32 s6, s39
	s_xor_b32 s6, exec_lo, s6
; %bb.35:                               ;   in Loop: Header=BB90_7 Depth=2
	v_mov_b32_e32 v2, v21
	v_mov_b32_e32 v3, v21
	ds_write_b64 v45, v[2:3] offset:4224
; %bb.36:                               ;   in Loop: Header=BB90_7 Depth=2
	s_andn2_saveexec_b32 s6, s6
; %bb.37:                               ;   in Loop: Header=BB90_7 Depth=2
	ds_write_b64 v45, v[20:21] offset:4224
; %bb.38:                               ;   in Loop: Header=BB90_7 Depth=2
	s_or_b32 exec_lo, exec_lo, s6
.LBB90_39:                              ;   in Loop: Header=BB90_7 Depth=2
	s_or_b32 exec_lo, exec_lo, s5
	v_add_co_u32 v2, s5, v16, s22
	v_add_co_ci_u32_e64 v3, null, s23, v17, s5
	v_add_co_u32 v4, s6, v26, v42
	v_add_co_ci_u32_e64 v5, null, v27, v43, s6
	v_cmp_le_i64_e64 s5, s[14:15], v[2:3]
	s_nor_b32 s6, s5, s1
	s_and_saveexec_b32 s8, s6
	s_xor_b32 s6, exec_lo, s8
	s_cbranch_execz .LBB90_41
; %bb.40:                               ;   in Loop: Header=BB90_7 Depth=2
	global_load_dwordx2 v[6:7], v[4:5], off offset:-128
	s_waitcnt vmcnt(0)
	ds_write_b64 v47, v[6:7]
.LBB90_41:                              ;   in Loop: Header=BB90_7 Depth=2
	s_andn2_saveexec_b32 s6, s6
; %bb.42:                               ;   in Loop: Header=BB90_7 Depth=2
	v_mov_b32_e32 v6, v21
	v_mov_b32_e32 v7, v21
	ds_write_b64 v47, v[6:7]
; %bb.43:                               ;   in Loop: Header=BB90_7 Depth=2
	s_or_b32 exec_lo, exec_lo, s6
	s_nor_b32 s5, s5, s2
	s_and_saveexec_b32 s6, s5
	s_xor_b32 s5, exec_lo, s6
	s_cbranch_execz .LBB90_45
; %bb.44:                               ;   in Loop: Header=BB90_7 Depth=2
	global_load_dwordx2 v[4:5], v[4:5], off
	s_waitcnt vmcnt(0)
	ds_write_b64 v47, v[4:5] offset:128
.LBB90_45:                              ;   in Loop: Header=BB90_7 Depth=2
	s_andn2_saveexec_b32 s5, s5
; %bb.46:                               ;   in Loop: Header=BB90_7 Depth=2
	v_mov_b32_e32 v4, v21
	v_mov_b32_e32 v5, v21
	ds_write_b64 v47, v[4:5] offset:128
; %bb.47:                               ;   in Loop: Header=BB90_7 Depth=2
	s_or_b32 exec_lo, exec_lo, s5
	v_cmp_le_i64_e64 s5, s[12:13], v[2:3]
	v_add_co_u32 v2, s6, v34, v42
	v_add_co_ci_u32_e64 v3, null, v35, v43, s6
	s_nor_b32 s6, s5, s1
	s_and_saveexec_b32 s8, s6
	s_xor_b32 s6, exec_lo, s8
	s_cbranch_execz .LBB90_49
; %bb.48:                               ;   in Loop: Header=BB90_7 Depth=2
	global_load_dwordx2 v[4:5], v[2:3], off
	s_waitcnt vmcnt(0)
	ds_write_b64 v47, v[4:5] offset:4096
.LBB90_49:                              ;   in Loop: Header=BB90_7 Depth=2
	s_andn2_saveexec_b32 s6, s6
; %bb.50:                               ;   in Loop: Header=BB90_7 Depth=2
	v_mov_b32_e32 v4, v21
	v_mov_b32_e32 v5, v21
	ds_write_b64 v47, v[4:5] offset:4096
; %bb.51:                               ;   in Loop: Header=BB90_7 Depth=2
	s_or_b32 exec_lo, exec_lo, s6
	s_nor_b32 s5, s5, s2
	s_and_saveexec_b32 s6, s5
	s_xor_b32 s5, exec_lo, s6
	s_cbranch_execz .LBB90_53
; %bb.52:                               ;   in Loop: Header=BB90_7 Depth=2
	global_load_dwordx2 v[2:3], v[2:3], off offset:128
	s_waitcnt vmcnt(0)
	ds_write_b64 v47, v[2:3] offset:4224
.LBB90_53:                              ;   in Loop: Header=BB90_7 Depth=2
	s_andn2_saveexec_b32 s5, s5
	s_cbranch_execz .LBB90_6
; %bb.54:                               ;   in Loop: Header=BB90_7 Depth=2
	v_mov_b32_e32 v2, v21
	v_mov_b32_e32 v3, v21
	ds_write_b64 v47, v[2:3] offset:4224
	s_branch .LBB90_6
.LBB90_55:                              ;   in Loop: Header=BB90_4 Depth=1
	v_mov_b32_e32 v56, 0
	v_mov_b32_e32 v57, 0
	;; [unrolled: 1-line block ×8, first 2 shown]
.LBB90_56:                              ;   in Loop: Header=BB90_4 Depth=1
	v_mul_lo_u32 v4, s29, v22
	v_mul_lo_u32 v5, s28, v23
	v_mad_u64_u32 v[2:3], null, s28, v22, 0
	v_cmp_gt_i32_e64 s3, s14, v22
	v_add3_u32 v3, v3, v5, v4
	v_lshlrev_b64 v[2:3], 3, v[2:3]
	v_add_co_u32 v2, s4, s44, v2
	v_add_co_ci_u32_e64 v3, null, s45, v3, s4
	s_and_b32 s4, vcc_lo, s3
	s_and_saveexec_b32 s5, s4
	s_cbranch_execz .LBB90_58
; %bb.57:                               ;   in Loop: Header=BB90_4 Depth=1
	v_add_co_u32 v4, s4, v2, v14
	v_add_co_ci_u32_e64 v5, null, v3, v15, s4
	v_mul_f32_e32 v8, s35, v57
	v_mul_f32_e32 v9, s34, v57
	global_load_dwordx2 v[6:7], v[4:5], off
	v_fma_f32 v8, v56, s34, -v8
	v_fmac_f32_e32 v9, s35, v56
	s_waitcnt vmcnt(0)
	v_add_f32_e32 v6, v6, v8
	v_add_f32_e32 v7, v9, v7
	global_store_dwordx2 v[4:5], v[6:7], off
.LBB90_58:                              ;   in Loop: Header=BB90_4 Depth=1
	s_or_b32 exec_lo, exec_lo, s5
	s_and_b32 s3, s0, s3
	s_and_saveexec_b32 s4, s3
	s_cbranch_execz .LBB90_60
; %bb.59:                               ;   in Loop: Header=BB90_4 Depth=1
	v_lshlrev_b64 v[4:5], 3, v[10:11]
	v_mul_f32_e32 v6, s35, v55
	v_mul_f32_e32 v7, s34, v55
	v_fma_f32 v6, v54, s34, -v6
	v_add_co_u32 v2, s3, v2, v4
	v_add_co_ci_u32_e64 v3, null, v3, v5, s3
	v_fmac_f32_e32 v7, s35, v54
	global_load_dwordx2 v[4:5], v[2:3], off
	s_waitcnt vmcnt(0)
	v_add_f32_e32 v4, v4, v6
	v_add_f32_e32 v5, v7, v5
	global_store_dwordx2 v[2:3], v[4:5], off
.LBB90_60:                              ;   in Loop: Header=BB90_4 Depth=1
	s_or_b32 exec_lo, exec_lo, s4
	v_add_nc_u32_e32 v4, 16, v22
	v_ashrrev_i32_e32 v5, 31, v4
	v_mul_lo_u32 v6, s29, v4
	v_mad_u64_u32 v[2:3], null, s28, v4, 0
	v_cmp_gt_i32_e64 s3, s14, v4
	v_mul_lo_u32 v5, s28, v5
	v_add3_u32 v3, v3, v5, v6
	v_lshlrev_b64 v[2:3], 3, v[2:3]
	v_add_co_u32 v2, s4, s44, v2
	v_add_co_ci_u32_e64 v3, null, s45, v3, s4
	s_and_b32 s4, vcc_lo, s3
	s_and_saveexec_b32 s5, s4
	s_cbranch_execz .LBB90_62
; %bb.61:                               ;   in Loop: Header=BB90_4 Depth=1
	v_add_co_u32 v4, s4, v2, v14
	v_add_co_ci_u32_e64 v5, null, v3, v15, s4
	v_mul_f32_e32 v8, s35, v53
	v_mul_f32_e32 v9, s34, v53
	global_load_dwordx2 v[6:7], v[4:5], off
	v_fma_f32 v8, v52, s34, -v8
	v_fmac_f32_e32 v9, s35, v52
	s_waitcnt vmcnt(0)
	v_add_f32_e32 v6, v6, v8
	v_add_f32_e32 v7, v9, v7
	global_store_dwordx2 v[4:5], v[6:7], off
.LBB90_62:                              ;   in Loop: Header=BB90_4 Depth=1
	s_or_b32 exec_lo, exec_lo, s5
	s_and_b32 s3, s0, s3
	s_and_saveexec_b32 s4, s3
	s_cbranch_execz .LBB90_3
; %bb.63:                               ;   in Loop: Header=BB90_4 Depth=1
	v_lshlrev_b64 v[4:5], 3, v[10:11]
	v_mul_f32_e32 v6, s35, v50
	v_mul_f32_e32 v7, s34, v50
	v_fma_f32 v6, v51, s34, -v6
	v_add_co_u32 v2, s3, v2, v4
	v_add_co_ci_u32_e64 v3, null, v3, v5, s3
	v_fmac_f32_e32 v7, s35, v51
	global_load_dwordx2 v[4:5], v[2:3], off
	s_waitcnt vmcnt(0)
	v_add_f32_e32 v4, v4, v6
	v_add_f32_e32 v5, v7, v5
	global_store_dwordx2 v[2:3], v[4:5], off
	s_branch .LBB90_3
.LBB90_64:
	s_endpgm
	.section	.rodata,"a",@progbits
	.p2align	6, 0x0
	.amdhsa_kernel _ZL30rocblas_trmm_outofplace_kernelI19rocblas_complex_numIfELi32ELi2ELb0ELb1ELb1ELb0EPKS1_S2_S1_Ev17rocblas_diagonal_iiT6_lPT7_lllS7_lllPT8_llli
		.amdhsa_group_segment_fixed_size 16384
		.amdhsa_private_segment_fixed_size 0
		.amdhsa_kernarg_size 392
		.amdhsa_user_sgpr_count 6
		.amdhsa_user_sgpr_private_segment_buffer 1
		.amdhsa_user_sgpr_dispatch_ptr 0
		.amdhsa_user_sgpr_queue_ptr 0
		.amdhsa_user_sgpr_kernarg_segment_ptr 1
		.amdhsa_user_sgpr_dispatch_id 0
		.amdhsa_user_sgpr_flat_scratch_init 0
		.amdhsa_user_sgpr_private_segment_size 0
		.amdhsa_wavefront_size32 1
		.amdhsa_uses_dynamic_stack 0
		.amdhsa_system_sgpr_private_segment_wavefront_offset 0
		.amdhsa_system_sgpr_workgroup_id_x 1
		.amdhsa_system_sgpr_workgroup_id_y 1
		.amdhsa_system_sgpr_workgroup_id_z 1
		.amdhsa_system_sgpr_workgroup_info 0
		.amdhsa_system_vgpr_workitem_id 1
		.amdhsa_next_free_vgpr 88
		.amdhsa_next_free_sgpr 50
		.amdhsa_reserve_vcc 1
		.amdhsa_reserve_flat_scratch 0
		.amdhsa_float_round_mode_32 0
		.amdhsa_float_round_mode_16_64 0
		.amdhsa_float_denorm_mode_32 3
		.amdhsa_float_denorm_mode_16_64 3
		.amdhsa_dx10_clamp 1
		.amdhsa_ieee_mode 1
		.amdhsa_fp16_overflow 0
		.amdhsa_workgroup_processor_mode 1
		.amdhsa_memory_ordered 1
		.amdhsa_forward_progress 1
		.amdhsa_shared_vgpr_count 0
		.amdhsa_exception_fp_ieee_invalid_op 0
		.amdhsa_exception_fp_denorm_src 0
		.amdhsa_exception_fp_ieee_div_zero 0
		.amdhsa_exception_fp_ieee_overflow 0
		.amdhsa_exception_fp_ieee_underflow 0
		.amdhsa_exception_fp_ieee_inexact 0
		.amdhsa_exception_int_div_zero 0
	.end_amdhsa_kernel
	.section	.text._ZL30rocblas_trmm_outofplace_kernelI19rocblas_complex_numIfELi32ELi2ELb0ELb1ELb1ELb0EPKS1_S2_S1_Ev17rocblas_diagonal_iiT6_lPT7_lllS7_lllPT8_llli,"axG",@progbits,_ZL30rocblas_trmm_outofplace_kernelI19rocblas_complex_numIfELi32ELi2ELb0ELb1ELb1ELb0EPKS1_S2_S1_Ev17rocblas_diagonal_iiT6_lPT7_lllS7_lllPT8_llli,comdat
.Lfunc_end90:
	.size	_ZL30rocblas_trmm_outofplace_kernelI19rocblas_complex_numIfELi32ELi2ELb0ELb1ELb1ELb0EPKS1_S2_S1_Ev17rocblas_diagonal_iiT6_lPT7_lllS7_lllPT8_llli, .Lfunc_end90-_ZL30rocblas_trmm_outofplace_kernelI19rocblas_complex_numIfELi32ELi2ELb0ELb1ELb1ELb0EPKS1_S2_S1_Ev17rocblas_diagonal_iiT6_lPT7_lllS7_lllPT8_llli
                                        ; -- End function
	.set _ZL30rocblas_trmm_outofplace_kernelI19rocblas_complex_numIfELi32ELi2ELb0ELb1ELb1ELb0EPKS1_S2_S1_Ev17rocblas_diagonal_iiT6_lPT7_lllS7_lllPT8_llli.num_vgpr, 88
	.set _ZL30rocblas_trmm_outofplace_kernelI19rocblas_complex_numIfELi32ELi2ELb0ELb1ELb1ELb0EPKS1_S2_S1_Ev17rocblas_diagonal_iiT6_lPT7_lllS7_lllPT8_llli.num_agpr, 0
	.set _ZL30rocblas_trmm_outofplace_kernelI19rocblas_complex_numIfELi32ELi2ELb0ELb1ELb1ELb0EPKS1_S2_S1_Ev17rocblas_diagonal_iiT6_lPT7_lllS7_lllPT8_llli.numbered_sgpr, 50
	.set _ZL30rocblas_trmm_outofplace_kernelI19rocblas_complex_numIfELi32ELi2ELb0ELb1ELb1ELb0EPKS1_S2_S1_Ev17rocblas_diagonal_iiT6_lPT7_lllS7_lllPT8_llli.num_named_barrier, 0
	.set _ZL30rocblas_trmm_outofplace_kernelI19rocblas_complex_numIfELi32ELi2ELb0ELb1ELb1ELb0EPKS1_S2_S1_Ev17rocblas_diagonal_iiT6_lPT7_lllS7_lllPT8_llli.private_seg_size, 0
	.set _ZL30rocblas_trmm_outofplace_kernelI19rocblas_complex_numIfELi32ELi2ELb0ELb1ELb1ELb0EPKS1_S2_S1_Ev17rocblas_diagonal_iiT6_lPT7_lllS7_lllPT8_llli.uses_vcc, 1
	.set _ZL30rocblas_trmm_outofplace_kernelI19rocblas_complex_numIfELi32ELi2ELb0ELb1ELb1ELb0EPKS1_S2_S1_Ev17rocblas_diagonal_iiT6_lPT7_lllS7_lllPT8_llli.uses_flat_scratch, 0
	.set _ZL30rocblas_trmm_outofplace_kernelI19rocblas_complex_numIfELi32ELi2ELb0ELb1ELb1ELb0EPKS1_S2_S1_Ev17rocblas_diagonal_iiT6_lPT7_lllS7_lllPT8_llli.has_dyn_sized_stack, 0
	.set _ZL30rocblas_trmm_outofplace_kernelI19rocblas_complex_numIfELi32ELi2ELb0ELb1ELb1ELb0EPKS1_S2_S1_Ev17rocblas_diagonal_iiT6_lPT7_lllS7_lllPT8_llli.has_recursion, 0
	.set _ZL30rocblas_trmm_outofplace_kernelI19rocblas_complex_numIfELi32ELi2ELb0ELb1ELb1ELb0EPKS1_S2_S1_Ev17rocblas_diagonal_iiT6_lPT7_lllS7_lllPT8_llli.has_indirect_call, 0
	.section	.AMDGPU.csdata,"",@progbits
; Kernel info:
; codeLenInByte = 6572
; TotalNumSgprs: 52
; NumVgprs: 88
; ScratchSize: 0
; MemoryBound: 1
; FloatMode: 240
; IeeeMode: 1
; LDSByteSize: 16384 bytes/workgroup (compile time only)
; SGPRBlocks: 0
; VGPRBlocks: 10
; NumSGPRsForWavesPerEU: 52
; NumVGPRsForWavesPerEU: 88
; Occupancy: 10
; WaveLimiterHint : 0
; COMPUTE_PGM_RSRC2:SCRATCH_EN: 0
; COMPUTE_PGM_RSRC2:USER_SGPR: 6
; COMPUTE_PGM_RSRC2:TRAP_HANDLER: 0
; COMPUTE_PGM_RSRC2:TGID_X_EN: 1
; COMPUTE_PGM_RSRC2:TGID_Y_EN: 1
; COMPUTE_PGM_RSRC2:TGID_Z_EN: 1
; COMPUTE_PGM_RSRC2:TIDIG_COMP_CNT: 1
	.section	.text._ZL30rocblas_trmm_outofplace_kernelI19rocblas_complex_numIfELi32ELi2ELb0ELb1ELb1ELb0ES1_KS1_S1_Ev17rocblas_diagonal_iiT6_lPT7_lllS6_lllPT8_llli,"axG",@progbits,_ZL30rocblas_trmm_outofplace_kernelI19rocblas_complex_numIfELi32ELi2ELb0ELb1ELb1ELb0ES1_KS1_S1_Ev17rocblas_diagonal_iiT6_lPT7_lllS6_lllPT8_llli,comdat
	.globl	_ZL30rocblas_trmm_outofplace_kernelI19rocblas_complex_numIfELi32ELi2ELb0ELb1ELb1ELb0ES1_KS1_S1_Ev17rocblas_diagonal_iiT6_lPT7_lllS6_lllPT8_llli ; -- Begin function _ZL30rocblas_trmm_outofplace_kernelI19rocblas_complex_numIfELi32ELi2ELb0ELb1ELb1ELb0ES1_KS1_S1_Ev17rocblas_diagonal_iiT6_lPT7_lllS6_lllPT8_llli
	.p2align	8
	.type	_ZL30rocblas_trmm_outofplace_kernelI19rocblas_complex_numIfELi32ELi2ELb0ELb1ELb1ELb0ES1_KS1_S1_Ev17rocblas_diagonal_iiT6_lPT7_lllS6_lllPT8_llli,@function
_ZL30rocblas_trmm_outofplace_kernelI19rocblas_complex_numIfELi32ELi2ELb0ELb1ELb1ELb0ES1_KS1_S1_Ev17rocblas_diagonal_iiT6_lPT7_lllS6_lllPT8_llli: ; @_ZL30rocblas_trmm_outofplace_kernelI19rocblas_complex_numIfELi32ELi2ELb0ELb1ELb1ELb0ES1_KS1_S1_Ev17rocblas_diagonal_iiT6_lPT7_lllS6_lllPT8_llli
; %bb.0:
	s_clause 0x1
	s_load_dwordx4 s[28:31], s[4:5], 0x0
	s_load_dword s11, s[4:5], 0x10
	s_waitcnt lgkmcnt(0)
	s_or_b32 s0, s31, s11
	s_bitset0_b32 s0, 31
	s_cmp_eq_u32 s0, 0
	s_cbranch_scc1 .LBB91_64
; %bb.1:
	s_add_i32 s0, s30, -1
	s_ashr_i32 s1, s0, 31
	s_lshr_b32 s1, s1, 27
	s_add_i32 s0, s0, s1
	s_ashr_i32 s33, s0, 5
	s_cmp_gt_i32 s7, s33
	s_cbranch_scc1 .LBB91_64
; %bb.2:
	s_clause 0x2
	s_load_dwordx8 s[36:43], s[4:5], 0x60
	s_load_dwordx16 s[12:27], s[4:5], 0x20
	s_load_dword s44, s[4:5], 0x8c
	v_lshl_add_u32 v2, s6, 5, v0
	v_lshlrev_b32_e32 v44, 8, v1
	v_lshlrev_b32_e32 v4, 3, v0
	v_mov_b32_e32 v21, 0
	v_mov_b32_e32 v20, 1.0
	v_add_nc_u32_e32 v10, 16, v2
	v_ashrrev_i32_e32 v3, 31, v2
	v_add_nc_u32_e32 v45, v44, v4
	v_or_b32_e32 v46, 0x2000, v4
	v_cmp_gt_i32_e32 vcc_lo, s29, v2
	v_ashrrev_i32_e32 v11, 31, v10
	v_lshlrev_b64 v[14:15], 3, v[2:3]
	s_mov_b32 s34, s30
	v_add_nc_u32_e32 v47, v46, v44
	v_add_nc_u32_e32 v48, 0x1000, v46
	;; [unrolled: 1-line block ×3, first 2 shown]
	s_waitcnt lgkmcnt(0)
	s_mul_i32 s1, s43, s8
	s_mul_hi_u32 s2, s42, s8
	s_mul_i32 s0, s42, s8
	s_add_i32 s1, s2, s1
	s_mul_hi_u32 s5, s26, s8
	s_lshl_b64 s[0:1], s[0:1], 3
	s_add_u32 s4, s36, s0
	s_addc_u32 s1, s37, s1
	s_lshl_b64 s[2:3], s[38:39], 3
	v_cmp_gt_i32_e64 s0, s29, v10
	s_add_u32 s45, s4, s2
	s_addc_u32 s46, s1, s3
	s_cmpk_eq_i32 s28, 0x84
	v_sub_co_u32 v4, s1, s29, v2
	s_cselect_b32 s47, -1, 0
	s_ashr_i32 s35, s30, 31
	s_ashr_i32 s2, s29, 31
	s_lshl_b64 s[36:37], s[16:17], 8
	s_lshl_b64 s[38:39], s[24:25], 8
	s_add_u32 s28, s30, -16
	s_addc_u32 s29, s35, -1
	s_lshl_b32 s3, s7, 5
	s_lshl_b32 s48, s44, 5
	s_mul_i32 s4, s27, s8
	s_add_u32 s42, s20, 0x80
	s_addc_u32 s43, s21, 0
	s_add_i32 s5, s5, s4
	s_mul_i32 s4, s26, s8
	s_lshl_b64 s[26:27], s[22:23], 3
	s_lshl_b64 s[4:5], s[4:5], 3
	;; [unrolled: 1-line block ×3, first 2 shown]
	s_add_u32 s6, s4, s26
	v_sub_co_ci_u32_e64 v5, null, s2, v3, s1
	s_addc_u32 s10, s5, s27
	s_mul_i32 s4, s19, s8
	s_mul_hi_u32 s5, s18, s8
	v_add_nc_u32_e32 v12, s3, v0
	s_add_i32 s5, s5, s4
	s_mul_i32 s4, s18, s8
	v_add_nc_u32_e32 v16, s3, v1
	s_lshl_b64 s[4:5], s[4:5], 3
	s_lshl_b64 s[8:9], s[14:15], 3
	v_add_co_u32 v18, s3, s6, v14
	v_cmp_gt_i64_e64 s1, 1, v[4:5]
	v_cmp_gt_i64_e64 s2, 17, v[4:5]
	v_add_co_ci_u32_e64 v19, null, s10, v15, s3
	s_add_u32 s3, s4, s8
	v_add_nc_u32_e32 v0, 0x800, v46
	s_addc_u32 s4, s5, s9
	s_add_u32 s12, s12, s3
	s_addc_u32 s13, s13, s4
	s_lshl_b64 s[14:15], s[16:17], 3
	s_branch .LBB91_4
.LBB91_3:                               ;   in Loop: Header=BB91_4 Depth=1
	s_or_b32 exec_lo, exec_lo, s4
	v_add_nc_u32_e32 v12, s48, v12
	v_add_nc_u32_e32 v16, s48, v16
	s_add_i32 s7, s44, s7
	s_cmp_le_i32 s7, s33
	s_cbranch_scc0 .LBB91_64
.LBB91_4:                               ; =>This Loop Header: Depth=1
                                        ;     Child Loop BB91_7 Depth 2
	s_lshl_b32 s3, s7, 5
	v_ashrrev_i32_e32 v13, 31, v12
	v_add_nc_u32_e32 v22, s3, v1
	v_ashrrev_i32_e32 v17, 31, v16
	s_sub_i32 s26, s30, s3
	s_cmp_lt_i32 s26, 1
	v_ashrrev_i32_e32 v23, 31, v22
	s_cbranch_scc1 .LBB91_55
; %bb.5:                                ;   in Loop: Header=BB91_4 Depth=1
	v_lshlrev_b64 v[2:3], 3, v[12:13]
	v_sub_co_u32 v24, s3, v16, v12
	v_lshlrev_b64 v[28:29], 3, v[16:17]
	v_sub_co_ci_u32_e64 v25, null, v17, v13, s3
	v_add_co_u32 v2, s3, 0x80, v2
	v_add_co_ci_u32_e64 v3, null, 0, v3, s3
	v_mad_u64_u32 v[26:27], null, s22, v16, s[42:43]
	v_mul_lo_u32 v6, s17, v2
	v_mad_u64_u32 v[30:31], null, s16, v2, s[12:13]
	v_add_co_u32 v2, s3, 0x80, v28
	v_add_co_ci_u32_e64 v7, null, 0, v29, s3
	v_mul_lo_u32 v4, s22, v17
	v_mul_lo_u32 v38, s25, v2
	v_mad_u64_u32 v[34:35], null, s24, v2, s[20:21]
	v_mul_lo_u32 v7, s24, v7
	v_mul_lo_u32 v5, s23, v16
	;; [unrolled: 1-line block ×3, first 2 shown]
	v_mad_u64_u32 v[32:33], null, s14, v12, s[12:13]
	v_mul_lo_u32 v8, s14, v13
	v_mul_lo_u32 v9, s15, v12
	v_add_co_u32 v36, s3, v22, 16
	v_add_co_ci_u32_e64 v37, null, 0, v23, s3
	v_add3_u32 v35, v38, v35, v7
	v_add_co_u32 v38, s5, v24, 16
	v_add_co_ci_u32_e64 v39, null, 0, v25, s5
	v_add_co_u32 v40, s5, v24, -16
	v_cmp_le_i64_e64 s4, s[34:35], v[36:37]
	v_mov_b32_e32 v43, v19
	v_add3_u32 v27, v5, v27, v4
	v_add3_u32 v31, v6, v31, v3
	;; [unrolled: 1-line block ×3, first 2 shown]
	v_cmp_le_i32_e64 s3, s30, v22
	v_add_co_ci_u32_e64 v41, null, -1, v25, s5
	v_mov_b32_e32 v50, 0
	v_mov_b32_e32 v42, v18
	;; [unrolled: 1-line block ×9, first 2 shown]
	s_mov_b64 s[18:19], 0
	s_branch .LBB91_7
.LBB91_6:                               ;   in Loop: Header=BB91_7 Depth=2
	s_or_b32 exec_lo, exec_lo, s5
	s_waitcnt lgkmcnt(0)
	s_barrier
	buffer_gl0_inv
	ds_read_b128 v[58:61], v44
	ds_read2_b64 v[62:65], v46 offset1:16
	ds_read_b128 v[66:69], v44 offset:4096
	ds_read_b128 v[70:73], v44 offset:16
	;; [unrolled: 1-line block ×4, first 2 shown]
	ds_read2_b64 v[74:77], v46 offset0:32 offset1:48
	ds_read_b128 v[78:81], v44 offset:4112
	v_add_co_u32 v42, s5, v42, s38
	v_add_co_ci_u32_e64 v43, null, s39, v43, s5
	v_add_co_u32 v30, s5, v30, s36
	v_add_co_ci_u32_e64 v31, null, s37, v31, s5
	;; [unrolled: 2-line block ×3, first 2 shown]
	s_add_u32 s18, s18, 32
	s_waitcnt lgkmcnt(6)
	v_mul_f32_e32 v82, v59, v63
	v_mul_f32_e32 v83, v58, v63
	;; [unrolled: 1-line block ×4, first 2 shown]
	s_waitcnt lgkmcnt(5)
	v_mul_f32_e32 v86, v67, v63
	v_mul_f32_e32 v63, v66, v63
	;; [unrolled: 1-line block ×3, first 2 shown]
	v_fma_f32 v82, v58, v62, -v82
	v_fmac_f32_e32 v83, v59, v62
	v_fma_f32 v58, v58, v64, -v84
	v_fmac_f32_e32 v85, v59, v64
	;; [unrolled: 2-line block ×3, first 2 shown]
	v_fma_f32 v62, v66, v64, -v87
	v_mul_f32_e32 v65, v66, v65
	v_add_f32_e32 v58, v54, v58
	v_add_f32_e32 v59, v52, v59
	;; [unrolled: 1-line block ×3, first 2 shown]
	s_waitcnt lgkmcnt(1)
	v_mul_f32_e32 v66, v61, v75
	v_add_f32_e32 v62, v51, v62
	ds_read2_b64 v[51:54], v46 offset0:64 offset1:80
	v_add_f32_e32 v56, v56, v82
	v_fmac_f32_e32 v65, v67, v64
	v_fma_f32 v66, v60, v74, -v66
	v_mul_f32_e32 v67, v61, v77
	v_mul_f32_e32 v64, v60, v75
	v_add_f32_e32 v57, v57, v83
	v_add_f32_e32 v50, v50, v65
	v_mul_f32_e32 v65, v60, v77
	v_add_f32_e32 v66, v56, v66
	v_fma_f32 v56, v60, v76, -v67
	v_mul_f32_e32 v60, v69, v75
	v_add_f32_e32 v55, v55, v85
	v_fmac_f32_e32 v64, v61, v74
	v_fmac_f32_e32 v65, v61, v76
	v_add_f32_e32 v61, v58, v56
	v_fma_f32 v56, v68, v74, -v60
	v_mul_f32_e32 v58, v69, v77
	v_add_f32_e32 v64, v57, v64
	v_mul_f32_e32 v57, v68, v75
	v_add_f32_e32 v60, v55, v65
	;; [unrolled: 2-line block ×3, first 2 shown]
	s_waitcnt lgkmcnt(0)
	v_mul_f32_e32 v56, v71, v52
	v_fmac_f32_e32 v57, v69, v74
	v_fma_f32 v55, v68, v76, -v58
	v_fmac_f32_e32 v65, v69, v76
	v_mul_f32_e32 v67, v70, v52
	v_fma_f32 v68, v70, v51, -v56
	v_mul_f32_e32 v69, v71, v54
	v_add_f32_e32 v63, v63, v57
	v_add_f32_e32 v62, v62, v55
	ds_read2_b64 v[55:58], v46 offset0:96 offset1:112
	v_fmac_f32_e32 v67, v71, v51
	v_add_f32_e32 v65, v50, v65
	v_add_f32_e32 v66, v66, v68
	v_mul_f32_e32 v50, v70, v54
	v_fma_f32 v68, v70, v53, -v69
	v_add_f32_e32 v64, v64, v67
	v_mul_f32_e32 v67, v79, v52
	v_mul_f32_e32 v52, v78, v52
	v_fmac_f32_e32 v50, v71, v53
	v_add_f32_e32 v61, v61, v68
	v_mul_f32_e32 v68, v79, v54
	v_mul_f32_e32 v54, v78, v54
	v_fmac_f32_e32 v52, v79, v51
	v_add_f32_e32 v60, v60, v50
	v_fma_f32 v67, v78, v51, -v67
	v_fma_f32 v50, v78, v53, -v68
	v_fmac_f32_e32 v54, v79, v53
	v_add_f32_e32 v63, v63, v52
	s_addc_u32 s19, s19, 0
	v_add_f32_e32 v67, v59, v67
	v_add_f32_e32 v68, v62, v50
	ds_read2_b64 v[50:53], v46 offset0:128 offset1:144
	s_waitcnt lgkmcnt(1)
	v_mul_f32_e32 v59, v73, v56
	v_add_f32_e32 v65, v65, v54
	v_mul_f32_e32 v54, v72, v58
	v_mul_f32_e32 v62, v72, v56
	v_mul_f32_e32 v69, v73, v58
	v_fma_f32 v59, v72, v55, -v59
	s_cmp_ge_i32 s18, s26
	v_fmac_f32_e32 v54, v73, v57
	v_fmac_f32_e32 v62, v73, v55
	v_fma_f32 v69, v72, v57, -v69
	v_add_f32_e32 v66, v66, v59
	v_mul_f32_e32 v59, v81, v56
	v_mul_f32_e32 v56, v80, v56
	v_add_f32_e32 v71, v60, v54
	v_mul_f32_e32 v54, v81, v58
	v_add_f32_e32 v64, v64, v62
	v_add_f32_e32 v69, v61, v69
	v_fma_f32 v70, v80, v55, -v59
	ds_read_b128 v[59:62], v44 offset:4128
	v_fmac_f32_e32 v56, v81, v55
	v_mul_f32_e32 v58, v80, v58
	v_fma_f32 v54, v80, v57, -v54
	s_waitcnt lgkmcnt(1)
	v_mul_f32_e32 v55, v7, v51
	v_add_f32_e32 v67, v67, v70
	v_add_f32_e32 v70, v63, v56
	v_fmac_f32_e32 v58, v81, v57
	v_add_f32_e32 v68, v68, v54
	v_fma_f32 v72, v6, v50, -v55
	ds_read2_b64 v[54:57], v46 offset0:160 offset1:176
	v_mul_f32_e32 v63, v6, v51
	v_mul_f32_e32 v73, v7, v53
	;; [unrolled: 1-line block ×3, first 2 shown]
	v_add_f32_e32 v58, v65, v58
	v_add_f32_e32 v72, v66, v72
	v_fmac_f32_e32 v63, v7, v50
	v_fma_f32 v6, v6, v52, -v73
	v_fmac_f32_e32 v74, v7, v52
	v_add_f32_e32 v75, v64, v63
	ds_read_b128 v[63:66], v44 offset:4144
	s_waitcnt lgkmcnt(2)
	v_mul_f32_e32 v73, v60, v51
	v_mul_f32_e32 v7, v59, v51
	;; [unrolled: 1-line block ×3, first 2 shown]
	v_add_f32_e32 v6, v69, v6
	v_add_f32_e32 v71, v71, v74
	v_fma_f32 v69, v59, v50, -v73
	v_fmac_f32_e32 v7, v60, v50
	v_mul_f32_e32 v73, v59, v53
	v_fma_f32 v50, v59, v52, -v51
	s_waitcnt lgkmcnt(1)
	v_mul_f32_e32 v51, v9, v55
	v_add_f32_e32 v59, v67, v69
	v_mul_f32_e32 v69, v9, v57
	v_fmac_f32_e32 v73, v60, v52
	v_add_f32_e32 v60, v68, v50
	v_fma_f32 v68, v8, v54, -v51
	ds_read2_b64 v[50:53], v46 offset0:192 offset1:208
	v_add_f32_e32 v7, v70, v7
	v_mul_f32_e32 v67, v8, v55
	v_mul_f32_e32 v70, v8, v57
	v_fma_f32 v8, v8, v56, -v69
	v_mul_f32_e32 v69, v62, v55
	v_mul_f32_e32 v55, v61, v55
	v_add_f32_e32 v68, v72, v68
	v_fmac_f32_e32 v67, v9, v54
	v_add_f32_e32 v72, v6, v8
	v_fma_f32 v6, v61, v54, -v69
	v_fmac_f32_e32 v55, v62, v54
	v_mul_f32_e32 v8, v62, v57
	v_fmac_f32_e32 v70, v9, v56
	v_mul_f32_e32 v57, v61, v57
	v_add_f32_e32 v59, v59, v6
	v_add_f32_e32 v55, v7, v55
	v_fma_f32 v61, v61, v56, -v8
	ds_read2_b64 v[6:9], v46 offset0:224 offset1:240
	v_fmac_f32_e32 v57, v62, v56
	s_waitcnt lgkmcnt(1)
	v_mul_f32_e32 v69, v3, v51
	v_mul_f32_e32 v56, v2, v51
	v_add_f32_e32 v67, v75, v67
	v_add_f32_e32 v60, v60, v61
	v_mul_f32_e32 v62, v3, v53
	v_fma_f32 v61, v2, v50, -v69
	v_fmac_f32_e32 v56, v3, v50
	v_mul_f32_e32 v69, v2, v53
	v_add_f32_e32 v58, v58, v73
	v_fma_f32 v2, v2, v52, -v62
	v_add_f32_e32 v54, v71, v70
	v_add_f32_e32 v62, v67, v56
	v_fmac_f32_e32 v69, v3, v52
	v_mul_f32_e32 v3, v64, v51
	v_mul_f32_e32 v51, v63, v51
	;; [unrolled: 1-line block ×3, first 2 shown]
	v_add_f32_e32 v61, v68, v61
	v_mul_f32_e32 v68, v63, v53
	v_fma_f32 v3, v63, v50, -v3
	v_fmac_f32_e32 v51, v64, v50
	v_fma_f32 v50, v63, v52, -v56
	s_waitcnt lgkmcnt(0)
	v_mul_f32_e32 v53, v5, v7
	v_add_f32_e32 v58, v58, v57
	v_add_f32_e32 v67, v54, v69
	;; [unrolled: 1-line block ×4, first 2 shown]
	v_fmac_f32_e32 v68, v64, v52
	v_add_f32_e32 v64, v60, v50
	v_fma_f32 v3, v4, v6, -v53
	ds_read_b128 v[50:53], v44 offset:64
	ds_read2_b64 v[54:57], v0 offset1:16
	v_mul_f32_e32 v60, v4, v7
	v_mul_f32_e32 v69, v5, v9
	v_add_f32_e32 v2, v72, v2
	v_add_f32_e32 v68, v58, v68
	v_mul_f32_e32 v58, v4, v9
	v_fmac_f32_e32 v60, v5, v6
	v_add_f32_e32 v70, v61, v3
	v_fma_f32 v3, v4, v8, -v69
	v_mul_f32_e32 v4, v66, v7
	v_mul_f32_e32 v7, v65, v7
	;; [unrolled: 1-line block ×3, first 2 shown]
	v_add_f32_e32 v62, v62, v60
	v_fmac_f32_e32 v58, v5, v8
	v_add_f32_e32 v69, v2, v3
	v_fma_f32 v60, v65, v6, -v4
	v_fmac_f32_e32 v7, v66, v6
	ds_read_b128 v[2:5], v44 offset:4160
	v_fma_f32 v6, v65, v8, -v61
	v_mul_f32_e32 v65, v65, v9
	s_waitcnt lgkmcnt(1)
	v_mul_f32_e32 v9, v51, v55
	v_add_f32_e32 v72, v63, v7
	v_mul_f32_e32 v63, v50, v55
	v_mul_f32_e32 v73, v51, v57
	v_fmac_f32_e32 v65, v66, v8
	v_add_f32_e32 v66, v64, v6
	v_fma_f32 v64, v50, v54, -v9
	ds_read2_b64 v[6:9], v0 offset0:32 offset1:48
	v_mul_f32_e32 v74, v50, v57
	v_add_f32_e32 v67, v67, v58
	v_add_f32_e32 v71, v59, v60
	ds_read_b128 v[58:61], v44 offset:80
	v_fmac_f32_e32 v63, v51, v54
	v_fma_f32 v50, v50, v56, -v73
	v_fmac_f32_e32 v74, v51, v56
	v_add_f32_e32 v70, v70, v64
	v_add_f32_e32 v68, v68, v65
	s_waitcnt lgkmcnt(2)
	v_mul_f32_e32 v73, v3, v55
	v_mul_f32_e32 v51, v2, v55
	;; [unrolled: 1-line block ×3, first 2 shown]
	v_add_f32_e32 v50, v69, v50
	v_add_f32_e32 v75, v62, v63
	v_fma_f32 v69, v2, v54, -v73
	v_fmac_f32_e32 v51, v3, v54
	v_mul_f32_e32 v73, v2, v57
	v_fma_f32 v2, v2, v56, -v55
	ds_read_b128 v[62:65], v44 offset:4176
	s_waitcnt lgkmcnt(2)
	v_mul_f32_e32 v54, v53, v7
	v_add_f32_e32 v69, v71, v69
	v_fmac_f32_e32 v73, v3, v56
	v_add_f32_e32 v66, v66, v2
	v_mul_f32_e32 v2, v52, v7
	v_fma_f32 v3, v52, v6, -v54
	ds_read2_b64 v[54:57], v0 offset0:64 offset1:80
	v_mul_f32_e32 v71, v53, v9
	v_add_f32_e32 v67, v67, v74
	v_fmac_f32_e32 v2, v53, v6
	v_add_f32_e32 v70, v70, v3
	v_mul_f32_e32 v3, v52, v9
	v_fma_f32 v52, v52, v8, -v71
	v_mul_f32_e32 v71, v5, v7
	v_mul_f32_e32 v7, v4, v7
	v_add_f32_e32 v51, v72, v51
	v_add_f32_e32 v72, v75, v2
	v_fmac_f32_e32 v3, v53, v8
	v_fma_f32 v2, v4, v6, -v71
	v_fmac_f32_e32 v7, v5, v6
	v_mul_f32_e32 v6, v5, v9
	v_mul_f32_e32 v9, v4, v9
	v_add_f32_e32 v50, v50, v52
	v_add_f32_e32 v52, v67, v3
	;; [unrolled: 1-line block ×3, first 2 shown]
	v_fma_f32 v6, v4, v8, -v6
	v_fmac_f32_e32 v9, v5, v8
	ds_read2_b64 v[2:5], v0 offset0:96 offset1:112
	v_add_f32_e32 v68, v68, v73
	v_add_f32_e32 v7, v51, v7
	s_waitcnt lgkmcnt(1)
	v_mul_f32_e32 v51, v59, v55
	v_mul_f32_e32 v8, v58, v55
	v_add_f32_e32 v6, v66, v6
	v_mul_f32_e32 v66, v59, v57
	v_add_f32_e32 v68, v68, v9
	v_fma_f32 v51, v58, v54, -v51
	v_fmac_f32_e32 v8, v59, v54
	v_mul_f32_e32 v67, v58, v57
	v_fma_f32 v9, v58, v56, -v66
	v_add_f32_e32 v69, v70, v51
	v_add_f32_e32 v58, v72, v8
	v_mul_f32_e32 v8, v63, v55
	v_mul_f32_e32 v51, v62, v55
	v_add_f32_e32 v55, v50, v9
	v_mul_f32_e32 v9, v63, v57
	v_fmac_f32_e32 v67, v59, v56
	v_fma_f32 v8, v62, v54, -v8
	v_fmac_f32_e32 v51, v63, v54
	v_mul_f32_e32 v54, v62, v57
	v_fma_f32 v9, v62, v56, -v9
	s_waitcnt lgkmcnt(0)
	v_mul_f32_e32 v50, v61, v3
	v_add_f32_e32 v59, v52, v67
	v_add_f32_e32 v62, v53, v8
	;; [unrolled: 1-line block ×3, first 2 shown]
	v_fmac_f32_e32 v54, v63, v56
	v_add_f32_e32 v63, v6, v9
	v_fma_f32 v56, v60, v2, -v50
	ds_read_b128 v[6:9], v44 offset:96
	ds_read2_b64 v[50:53], v0 offset0:128 offset1:144
	v_mul_f32_e32 v57, v60, v3
	v_mul_f32_e32 v67, v61, v5
	v_add_f32_e32 v68, v68, v54
	v_mul_f32_e32 v54, v60, v5
	v_add_f32_e32 v69, v69, v56
	v_fmac_f32_e32 v57, v61, v2
	v_fma_f32 v56, v60, v4, -v67
	v_mul_f32_e32 v60, v65, v3
	v_fmac_f32_e32 v54, v61, v4
	v_mul_f32_e32 v3, v64, v3
	v_add_f32_e32 v67, v58, v57
	v_add_f32_e32 v70, v55, v56
	v_fma_f32 v58, v64, v2, -v60
	v_mul_f32_e32 v60, v65, v5
	v_add_f32_e32 v71, v59, v54
	v_fmac_f32_e32 v3, v65, v2
	ds_read_b128 v[54:57], v44 offset:4192
	v_add_f32_e32 v72, v62, v58
	v_fma_f32 v2, v64, v4, -v60
	v_mul_f32_e32 v62, v64, v5
	s_waitcnt lgkmcnt(1)
	v_mul_f32_e32 v5, v7, v51
	v_add_f32_e32 v66, v66, v3
	v_mul_f32_e32 v64, v6, v51
	v_add_f32_e32 v73, v63, v2
	v_fmac_f32_e32 v62, v65, v4
	v_fma_f32 v63, v6, v50, -v5
	ds_read2_b64 v[2:5], v0 offset0:160 offset1:176
	v_mul_f32_e32 v65, v7, v53
	v_mul_f32_e32 v74, v6, v53
	ds_read_b128 v[58:61], v44 offset:112
	v_fmac_f32_e32 v64, v7, v50
	v_add_f32_e32 v69, v69, v63
	v_fma_f32 v6, v6, v52, -v65
	v_fmac_f32_e32 v74, v7, v52
	v_add_f32_e32 v68, v68, v62
	v_add_f32_e32 v67, v67, v64
	s_waitcnt lgkmcnt(2)
	v_mul_f32_e32 v75, v55, v51
	v_mul_f32_e32 v7, v54, v51
	;; [unrolled: 1-line block ×3, first 2 shown]
	v_add_f32_e32 v6, v70, v6
	v_add_f32_e32 v71, v71, v74
	v_fma_f32 v70, v54, v50, -v75
	v_fmac_f32_e32 v7, v55, v50
	v_mul_f32_e32 v74, v54, v53
	v_fma_f32 v50, v54, v52, -v51
	ds_read_b128 v[62:65], v44 offset:4208
	s_waitcnt lgkmcnt(2)
	v_mul_f32_e32 v51, v9, v3
	v_add_f32_e32 v54, v72, v70
	v_fmac_f32_e32 v74, v55, v52
	v_add_f32_e32 v55, v73, v50
	v_add_f32_e32 v7, v66, v7
	v_fma_f32 v70, v8, v2, -v51
	ds_read2_b64 v[50:53], v0 offset0:192 offset1:208
	v_mul_f32_e32 v66, v8, v3
	v_mul_f32_e32 v72, v9, v5
	v_add_f32_e32 v68, v68, v74
	v_add_f32_e32 v69, v69, v70
	v_mul_f32_e32 v70, v8, v5
	v_fmac_f32_e32 v66, v9, v2
	v_fma_f32 v8, v8, v4, -v72
	v_mul_f32_e32 v72, v57, v3
	v_mul_f32_e32 v3, v56, v3
	v_fmac_f32_e32 v70, v9, v4
	v_add_f32_e32 v66, v67, v66
	v_add_f32_e32 v6, v6, v8
	v_fma_f32 v8, v56, v2, -v72
	v_fmac_f32_e32 v3, v57, v2
	v_mul_f32_e32 v2, v57, v5
	v_mul_f32_e32 v67, v56, v5
	v_add_f32_e32 v9, v71, v70
	v_add_f32_e32 v8, v54, v8
	;; [unrolled: 1-line block ×3, first 2 shown]
	v_fma_f32 v54, v56, v4, -v2
	s_waitcnt lgkmcnt(0)
	v_mul_f32_e32 v56, v59, v51
	v_fmac_f32_e32 v67, v57, v4
	ds_read2_b64 v[2:5], v0 offset0:224 offset1:240
	v_mul_f32_e32 v70, v58, v53
	v_add_f32_e32 v54, v55, v54
	v_fma_f32 v55, v58, v50, -v56
	v_mul_f32_e32 v56, v59, v53
	v_mul_f32_e32 v57, v58, v51
	v_fmac_f32_e32 v70, v59, v52
	v_add_f32_e32 v67, v68, v67
	v_add_f32_e32 v55, v69, v55
	v_fma_f32 v56, v58, v52, -v56
	v_mul_f32_e32 v58, v63, v51
	v_mul_f32_e32 v51, v62, v51
	v_fmac_f32_e32 v57, v59, v50
	v_add_f32_e32 v59, v9, v70
	v_add_f32_e32 v56, v6, v56
	v_mul_f32_e32 v6, v63, v53
	v_fma_f32 v9, v62, v50, -v58
	v_fmac_f32_e32 v51, v63, v50
	v_mul_f32_e32 v58, v62, v53
	v_add_f32_e32 v57, v66, v57
	v_fma_f32 v6, v62, v52, -v6
	s_waitcnt lgkmcnt(0)
	v_mul_f32_e32 v50, v61, v3
	v_add_f32_e32 v62, v8, v9
	v_add_f32_e32 v66, v7, v51
	v_fmac_f32_e32 v58, v63, v52
	v_add_f32_e32 v63, v54, v6
	v_fma_f32 v54, v60, v2, -v50
	ds_read_b128 v[6:9], v44 offset:128
	ds_read2_b64 v[50:53], v48 offset1:16
	v_mul_f32_e32 v68, v60, v3
	v_mul_f32_e32 v69, v61, v5
	v_add_f32_e32 v67, v67, v58
	v_mul_f32_e32 v58, v60, v5
	v_add_f32_e32 v70, v55, v54
	v_mul_f32_e32 v55, v65, v3
	v_fmac_f32_e32 v68, v61, v2
	v_fma_f32 v54, v60, v4, -v69
	v_fmac_f32_e32 v58, v61, v4
	v_mul_f32_e32 v3, v64, v3
	v_fma_f32 v60, v64, v2, -v55
	v_mul_f32_e32 v61, v65, v5
	v_add_f32_e32 v68, v57, v68
	v_add_f32_e32 v69, v56, v54
	v_fmac_f32_e32 v3, v65, v2
	ds_read_b128 v[54:57], v44 offset:4224
	v_add_f32_e32 v72, v62, v60
	v_fma_f32 v2, v64, v4, -v61
	v_mul_f32_e32 v62, v64, v5
	s_waitcnt lgkmcnt(1)
	v_mul_f32_e32 v5, v7, v51
	v_add_f32_e32 v66, v66, v3
	v_mul_f32_e32 v64, v6, v51
	v_add_f32_e32 v73, v63, v2
	v_fmac_f32_e32 v62, v65, v4
	v_fma_f32 v63, v6, v50, -v5
	ds_read2_b64 v[2:5], v48 offset0:32 offset1:48
	v_mul_f32_e32 v65, v7, v53
	v_mul_f32_e32 v74, v6, v53
	v_add_f32_e32 v71, v59, v58
	ds_read_b128 v[58:61], v44 offset:144
	v_fmac_f32_e32 v64, v7, v50
	v_fma_f32 v6, v6, v52, -v65
	v_fmac_f32_e32 v74, v7, v52
	v_add_f32_e32 v70, v70, v63
	v_add_f32_e32 v67, v67, v62
	s_waitcnt lgkmcnt(2)
	v_mul_f32_e32 v75, v55, v51
	v_mul_f32_e32 v7, v54, v51
	v_mul_f32_e32 v51, v55, v53
	v_add_f32_e32 v6, v69, v6
	v_add_f32_e32 v71, v71, v74
	v_fma_f32 v69, v54, v50, -v75
	v_fmac_f32_e32 v7, v55, v50
	v_mul_f32_e32 v74, v54, v53
	v_fma_f32 v50, v54, v52, -v51
	v_add_f32_e32 v68, v68, v64
	s_waitcnt lgkmcnt(1)
	v_mul_f32_e32 v51, v9, v3
	v_add_f32_e32 v54, v72, v69
	v_fmac_f32_e32 v74, v55, v52
	v_add_f32_e32 v55, v73, v50
	v_add_f32_e32 v7, v66, v7
	v_fma_f32 v69, v8, v2, -v51
	ds_read2_b64 v[50:53], v48 offset0:64 offset1:80
	v_mul_f32_e32 v66, v8, v3
	v_mul_f32_e32 v72, v9, v5
	ds_read_b128 v[62:65], v44 offset:4240
	v_add_f32_e32 v69, v70, v69
	v_mul_f32_e32 v70, v8, v5
	v_fmac_f32_e32 v66, v9, v2
	v_fma_f32 v8, v8, v4, -v72
	v_mul_f32_e32 v72, v57, v3
	v_mul_f32_e32 v3, v56, v3
	v_fmac_f32_e32 v70, v9, v4
	v_add_f32_e32 v66, v68, v66
	v_add_f32_e32 v6, v6, v8
	v_fma_f32 v8, v56, v2, -v72
	v_fmac_f32_e32 v3, v57, v2
	v_mul_f32_e32 v2, v57, v5
	v_mul_f32_e32 v68, v56, v5
	v_add_f32_e32 v9, v71, v70
	v_add_f32_e32 v8, v54, v8
	;; [unrolled: 1-line block ×3, first 2 shown]
	v_fma_f32 v54, v56, v4, -v2
	s_waitcnt lgkmcnt(1)
	v_mul_f32_e32 v56, v59, v51
	v_fmac_f32_e32 v68, v57, v4
	ds_read2_b64 v[2:5], v48 offset0:96 offset1:112
	v_mul_f32_e32 v70, v58, v53
	v_add_f32_e32 v54, v55, v54
	v_fma_f32 v55, v58, v50, -v56
	v_mul_f32_e32 v56, v59, v53
	v_mul_f32_e32 v57, v58, v51
	v_fmac_f32_e32 v70, v59, v52
	v_add_f32_e32 v67, v67, v74
	v_add_f32_e32 v55, v69, v55
	v_fma_f32 v56, v58, v52, -v56
	s_waitcnt lgkmcnt(1)
	v_mul_f32_e32 v58, v63, v51
	v_mul_f32_e32 v51, v62, v51
	v_fmac_f32_e32 v57, v59, v50
	v_add_f32_e32 v59, v9, v70
	v_add_f32_e32 v56, v6, v56
	v_mul_f32_e32 v6, v63, v53
	v_fma_f32 v9, v62, v50, -v58
	v_fmac_f32_e32 v51, v63, v50
	v_mul_f32_e32 v58, v62, v53
	v_add_f32_e32 v57, v66, v57
	v_fma_f32 v6, v62, v52, -v6
	s_waitcnt lgkmcnt(0)
	v_mul_f32_e32 v50, v61, v3
	v_add_f32_e32 v62, v8, v9
	v_add_f32_e32 v66, v7, v51
	v_fmac_f32_e32 v58, v63, v52
	v_add_f32_e32 v63, v54, v6
	v_fma_f32 v54, v60, v2, -v50
	ds_read_b128 v[6:9], v44 offset:160
	ds_read2_b64 v[50:53], v48 offset0:128 offset1:144
	v_add_f32_e32 v67, v67, v68
	v_mul_f32_e32 v68, v60, v3
	v_mul_f32_e32 v69, v61, v5
	v_add_f32_e32 v70, v55, v54
	v_mul_f32_e32 v55, v65, v3
	v_add_f32_e32 v67, v67, v58
	v_mul_f32_e32 v58, v60, v5
	v_fmac_f32_e32 v68, v61, v2
	v_fma_f32 v54, v60, v4, -v69
	v_mul_f32_e32 v3, v64, v3
	v_fma_f32 v60, v64, v2, -v55
	v_fmac_f32_e32 v58, v61, v4
	v_mul_f32_e32 v61, v65, v5
	v_add_f32_e32 v68, v57, v68
	v_add_f32_e32 v69, v56, v54
	v_fmac_f32_e32 v3, v65, v2
	ds_read_b128 v[54:57], v44 offset:4256
	v_add_f32_e32 v72, v62, v60
	v_fma_f32 v2, v64, v4, -v61
	v_mul_f32_e32 v62, v64, v5
	s_waitcnt lgkmcnt(1)
	v_mul_f32_e32 v5, v7, v51
	v_add_f32_e32 v66, v66, v3
	v_mul_f32_e32 v64, v6, v51
	v_add_f32_e32 v73, v63, v2
	v_fmac_f32_e32 v62, v65, v4
	v_fma_f32 v63, v6, v50, -v5
	ds_read2_b64 v[2:5], v48 offset0:160 offset1:176
	v_mul_f32_e32 v65, v7, v53
	v_mul_f32_e32 v74, v6, v53
	v_add_f32_e32 v71, v59, v58
	ds_read_b128 v[58:61], v44 offset:176
	v_fmac_f32_e32 v64, v7, v50
	v_fma_f32 v6, v6, v52, -v65
	v_fmac_f32_e32 v74, v7, v52
	v_add_f32_e32 v70, v70, v63
	v_add_f32_e32 v67, v67, v62
	s_waitcnt lgkmcnt(2)
	v_mul_f32_e32 v75, v55, v51
	v_mul_f32_e32 v7, v54, v51
	v_mul_f32_e32 v51, v55, v53
	v_add_f32_e32 v6, v69, v6
	v_add_f32_e32 v71, v71, v74
	v_fma_f32 v69, v54, v50, -v75
	v_fmac_f32_e32 v7, v55, v50
	v_mul_f32_e32 v74, v54, v53
	v_fma_f32 v50, v54, v52, -v51
	v_add_f32_e32 v68, v68, v64
	s_waitcnt lgkmcnt(1)
	v_mul_f32_e32 v51, v9, v3
	v_add_f32_e32 v54, v72, v69
	v_fmac_f32_e32 v74, v55, v52
	v_add_f32_e32 v55, v73, v50
	v_add_f32_e32 v7, v66, v7
	v_fma_f32 v69, v8, v2, -v51
	ds_read2_b64 v[50:53], v48 offset0:192 offset1:208
	v_mul_f32_e32 v66, v8, v3
	v_mul_f32_e32 v72, v9, v5
	ds_read_b128 v[62:65], v44 offset:4272
	v_add_f32_e32 v69, v70, v69
	v_mul_f32_e32 v70, v8, v5
	v_fmac_f32_e32 v66, v9, v2
	v_fma_f32 v8, v8, v4, -v72
	v_mul_f32_e32 v72, v57, v3
	v_mul_f32_e32 v3, v56, v3
	v_fmac_f32_e32 v70, v9, v4
	v_add_f32_e32 v66, v68, v66
	v_add_f32_e32 v6, v6, v8
	v_fma_f32 v8, v56, v2, -v72
	v_fmac_f32_e32 v3, v57, v2
	v_mul_f32_e32 v2, v57, v5
	v_mul_f32_e32 v68, v56, v5
	v_add_f32_e32 v9, v71, v70
	v_add_f32_e32 v8, v54, v8
	;; [unrolled: 1-line block ×3, first 2 shown]
	v_fma_f32 v54, v56, v4, -v2
	s_waitcnt lgkmcnt(1)
	v_mul_f32_e32 v56, v59, v51
	v_fmac_f32_e32 v68, v57, v4
	ds_read2_b64 v[2:5], v48 offset0:224 offset1:240
	v_mul_f32_e32 v70, v58, v53
	v_add_f32_e32 v54, v55, v54
	v_fma_f32 v55, v58, v50, -v56
	v_mul_f32_e32 v56, v59, v53
	v_mul_f32_e32 v57, v58, v51
	v_fmac_f32_e32 v70, v59, v52
	v_add_f32_e32 v67, v67, v74
	v_add_f32_e32 v55, v69, v55
	v_fma_f32 v56, v58, v52, -v56
	s_waitcnt lgkmcnt(1)
	v_mul_f32_e32 v58, v63, v51
	v_mul_f32_e32 v51, v62, v51
	v_fmac_f32_e32 v57, v59, v50
	v_add_f32_e32 v59, v9, v70
	v_add_f32_e32 v56, v6, v56
	v_mul_f32_e32 v6, v63, v53
	v_fma_f32 v9, v62, v50, -v58
	v_fmac_f32_e32 v51, v63, v50
	v_mul_f32_e32 v58, v62, v53
	v_add_f32_e32 v57, v66, v57
	v_fma_f32 v6, v62, v52, -v6
	s_waitcnt lgkmcnt(0)
	v_mul_f32_e32 v50, v61, v3
	v_add_f32_e32 v62, v8, v9
	v_add_f32_e32 v66, v7, v51
	v_fmac_f32_e32 v58, v63, v52
	v_add_f32_e32 v63, v54, v6
	v_fma_f32 v54, v60, v2, -v50
	ds_read_b128 v[6:9], v44 offset:192
	ds_read2_b64 v[50:53], v49 offset1:16
	v_add_f32_e32 v67, v67, v68
	v_mul_f32_e32 v68, v60, v3
	v_mul_f32_e32 v69, v61, v5
	v_add_f32_e32 v70, v55, v54
	v_mul_f32_e32 v55, v65, v3
	v_add_f32_e32 v67, v67, v58
	v_mul_f32_e32 v58, v60, v5
	v_fmac_f32_e32 v68, v61, v2
	v_fma_f32 v54, v60, v4, -v69
	v_mul_f32_e32 v3, v64, v3
	v_fma_f32 v60, v64, v2, -v55
	v_fmac_f32_e32 v58, v61, v4
	v_mul_f32_e32 v61, v65, v5
	v_add_f32_e32 v68, v57, v68
	v_add_f32_e32 v69, v56, v54
	v_fmac_f32_e32 v3, v65, v2
	ds_read_b128 v[54:57], v44 offset:4288
	v_add_f32_e32 v72, v62, v60
	v_fma_f32 v2, v64, v4, -v61
	v_mul_f32_e32 v62, v64, v5
	s_waitcnt lgkmcnt(1)
	v_mul_f32_e32 v5, v7, v51
	v_add_f32_e32 v66, v66, v3
	v_mul_f32_e32 v64, v6, v51
	v_add_f32_e32 v73, v63, v2
	v_fmac_f32_e32 v62, v65, v4
	v_fma_f32 v63, v6, v50, -v5
	ds_read2_b64 v[2:5], v49 offset0:32 offset1:48
	v_mul_f32_e32 v65, v7, v53
	v_mul_f32_e32 v74, v6, v53
	v_add_f32_e32 v71, v59, v58
	ds_read_b128 v[58:61], v44 offset:208
	v_fmac_f32_e32 v64, v7, v50
	v_fma_f32 v6, v6, v52, -v65
	v_fmac_f32_e32 v74, v7, v52
	v_add_f32_e32 v70, v70, v63
	v_add_f32_e32 v67, v67, v62
	s_waitcnt lgkmcnt(2)
	v_mul_f32_e32 v75, v55, v51
	v_mul_f32_e32 v7, v54, v51
	v_mul_f32_e32 v51, v55, v53
	v_add_f32_e32 v6, v69, v6
	v_add_f32_e32 v71, v71, v74
	v_fma_f32 v69, v54, v50, -v75
	v_fmac_f32_e32 v7, v55, v50
	v_mul_f32_e32 v74, v54, v53
	v_fma_f32 v50, v54, v52, -v51
	v_add_f32_e32 v68, v68, v64
	s_waitcnt lgkmcnt(1)
	v_mul_f32_e32 v51, v9, v3
	v_add_f32_e32 v54, v72, v69
	v_fmac_f32_e32 v74, v55, v52
	v_add_f32_e32 v55, v73, v50
	v_add_f32_e32 v7, v66, v7
	v_fma_f32 v69, v8, v2, -v51
	ds_read2_b64 v[50:53], v49 offset0:64 offset1:80
	v_mul_f32_e32 v66, v8, v3
	v_mul_f32_e32 v72, v9, v5
	ds_read_b128 v[62:65], v44 offset:4304
	v_add_f32_e32 v69, v70, v69
	v_mul_f32_e32 v70, v8, v5
	v_fmac_f32_e32 v66, v9, v2
	v_fma_f32 v8, v8, v4, -v72
	v_mul_f32_e32 v72, v57, v3
	v_mul_f32_e32 v3, v56, v3
	v_fmac_f32_e32 v70, v9, v4
	v_add_f32_e32 v66, v68, v66
	v_add_f32_e32 v6, v6, v8
	v_fma_f32 v8, v56, v2, -v72
	v_fmac_f32_e32 v3, v57, v2
	v_mul_f32_e32 v2, v57, v5
	v_mul_f32_e32 v68, v56, v5
	v_add_f32_e32 v9, v71, v70
	v_add_f32_e32 v8, v54, v8
	;; [unrolled: 1-line block ×3, first 2 shown]
	v_fma_f32 v54, v56, v4, -v2
	s_waitcnt lgkmcnt(1)
	v_mul_f32_e32 v56, v59, v51
	v_fmac_f32_e32 v68, v57, v4
	ds_read2_b64 v[2:5], v49 offset0:96 offset1:112
	v_mul_f32_e32 v70, v58, v53
	v_add_f32_e32 v54, v55, v54
	v_fma_f32 v55, v58, v50, -v56
	v_mul_f32_e32 v56, v59, v53
	v_mul_f32_e32 v57, v58, v51
	v_fmac_f32_e32 v70, v59, v52
	v_add_f32_e32 v67, v67, v74
	v_add_f32_e32 v55, v69, v55
	v_fma_f32 v56, v58, v52, -v56
	s_waitcnt lgkmcnt(1)
	v_mul_f32_e32 v58, v63, v51
	v_mul_f32_e32 v51, v62, v51
	v_fmac_f32_e32 v57, v59, v50
	v_add_f32_e32 v59, v9, v70
	v_add_f32_e32 v56, v6, v56
	v_mul_f32_e32 v6, v63, v53
	v_fma_f32 v9, v62, v50, -v58
	v_fmac_f32_e32 v51, v63, v50
	v_mul_f32_e32 v58, v62, v53
	v_add_f32_e32 v67, v67, v68
	v_fma_f32 v6, v62, v52, -v6
	s_waitcnt lgkmcnt(0)
	v_mul_f32_e32 v50, v61, v3
	v_add_f32_e32 v57, v66, v57
	v_add_f32_e32 v62, v8, v9
	;; [unrolled: 1-line block ×3, first 2 shown]
	v_fmac_f32_e32 v58, v63, v52
	v_add_f32_e32 v63, v54, v6
	v_fma_f32 v54, v60, v2, -v50
	ds_read_b128 v[6:9], v44 offset:224
	ds_read2_b64 v[50:53], v49 offset0:128 offset1:144
	v_mul_f32_e32 v68, v60, v3
	v_mul_f32_e32 v69, v61, v5
	v_add_f32_e32 v67, v67, v58
	v_mul_f32_e32 v58, v60, v5
	v_fmac_f32_e32 v68, v61, v2
	v_fma_f32 v60, v60, v4, -v69
	v_add_f32_e32 v69, v55, v54
	v_mul_f32_e32 v54, v65, v3
	v_fmac_f32_e32 v58, v61, v4
	v_add_f32_e32 v68, v57, v68
	v_add_f32_e32 v70, v56, v60
	v_mul_f32_e32 v3, v64, v3
	v_fma_f32 v60, v64, v2, -v54
	v_add_f32_e32 v71, v59, v58
	v_mul_f32_e32 v58, v65, v5
	ds_read_b128 v[54:57], v44 offset:4320
	v_fmac_f32_e32 v3, v65, v2
	v_add_f32_e32 v72, v62, v60
	v_mul_f32_e32 v62, v64, v5
	v_fma_f32 v2, v64, v4, -v58
	s_waitcnt lgkmcnt(1)
	v_mul_f32_e32 v5, v7, v51
	v_add_f32_e32 v66, v66, v3
	v_mul_f32_e32 v64, v7, v53
	v_fmac_f32_e32 v62, v65, v4
	v_add_f32_e32 v73, v63, v2
	v_fma_f32 v63, v6, v50, -v5
	ds_read2_b64 v[2:5], v49 offset0:160 offset1:176
	ds_read_b128 v[58:61], v44 offset:240
	v_mul_f32_e32 v74, v6, v51
	v_mul_f32_e32 v75, v6, v53
	v_fma_f32 v6, v6, v52, -v64
	v_add_f32_e32 v69, v69, v63
	v_add_f32_e32 v67, v67, v62
	v_fmac_f32_e32 v74, v7, v50
	v_fmac_f32_e32 v75, v7, v52
	s_waitcnt lgkmcnt(2)
	v_mul_f32_e32 v76, v55, v51
	v_mul_f32_e32 v7, v54, v51
	v_add_f32_e32 v6, v70, v6
	v_mul_f32_e32 v70, v55, v53
	v_add_f32_e32 v68, v68, v74
	v_fma_f32 v51, v54, v50, -v76
	v_fmac_f32_e32 v7, v55, v50
	v_mul_f32_e32 v74, v54, v53
	v_fma_f32 v50, v54, v52, -v70
	ds_read_b128 v[62:65], v44 offset:4336
	v_add_f32_e32 v72, v72, v51
	s_waitcnt lgkmcnt(2)
	v_mul_f32_e32 v51, v9, v3
	v_add_f32_e32 v7, v66, v7
	v_fmac_f32_e32 v74, v55, v52
	v_mul_f32_e32 v54, v8, v3
	v_add_f32_e32 v55, v73, v50
	v_fma_f32 v66, v8, v2, -v51
	ds_read2_b64 v[50:53], v49 offset0:192 offset1:208
	v_mul_f32_e32 v70, v9, v5
	v_fmac_f32_e32 v54, v9, v2
	v_add_f32_e32 v71, v71, v75
	v_add_f32_e32 v66, v69, v66
	v_mul_f32_e32 v69, v8, v5
	v_fma_f32 v8, v8, v4, -v70
	v_add_f32_e32 v54, v68, v54
	v_mul_f32_e32 v68, v57, v3
	v_mul_f32_e32 v3, v56, v3
	v_fmac_f32_e32 v69, v9, v4
	v_add_f32_e32 v6, v6, v8
	v_mul_f32_e32 v8, v57, v5
	v_fma_f32 v9, v56, v2, -v68
	v_fmac_f32_e32 v3, v57, v2
	v_add_f32_e32 v68, v71, v69
	v_mul_f32_e32 v69, v56, v5
	v_fma_f32 v2, v56, v4, -v8
	v_add_f32_e32 v67, v67, v74
	v_add_f32_e32 v8, v72, v9
	v_add_f32_e32 v7, v7, v3
	s_waitcnt lgkmcnt(0)
	v_mul_f32_e32 v9, v59, v51
	v_fmac_f32_e32 v69, v57, v4
	v_add_f32_e32 v55, v55, v2
	ds_read2_b64 v[2:5], v49 offset0:224 offset1:240
	v_mul_f32_e32 v56, v58, v51
	v_fma_f32 v9, v58, v50, -v9
	v_add_f32_e32 v57, v67, v69
	v_mul_f32_e32 v67, v59, v53
	v_mul_f32_e32 v69, v58, v53
	v_fmac_f32_e32 v56, v59, v50
	v_add_f32_e32 v9, v66, v9
	v_mul_f32_e32 v66, v63, v51
	v_fma_f32 v58, v58, v52, -v67
	v_mul_f32_e32 v51, v62, v51
	v_add_f32_e32 v54, v54, v56
	v_fmac_f32_e32 v69, v59, v52
	v_fma_f32 v56, v62, v50, -v66
	v_add_f32_e32 v6, v6, v58
	v_mul_f32_e32 v58, v63, v53
	v_fmac_f32_e32 v51, v63, v50
	v_mul_f32_e32 v50, v62, v53
	v_add_f32_e32 v8, v8, v56
	v_add_f32_e32 v59, v68, v69
	v_fma_f32 v53, v62, v52, -v58
	s_waitcnt lgkmcnt(0)
	v_mul_f32_e32 v56, v61, v3
	v_mul_f32_e32 v58, v60, v3
	v_add_f32_e32 v7, v7, v51
	v_fmac_f32_e32 v50, v63, v52
	v_add_f32_e32 v51, v55, v53
	v_fma_f32 v52, v60, v2, -v56
	v_mul_f32_e32 v53, v61, v5
	v_fmac_f32_e32 v58, v61, v2
	v_mul_f32_e32 v55, v60, v5
	v_add_f32_e32 v50, v57, v50
	v_add_f32_e32 v56, v9, v52
	v_fma_f32 v9, v60, v4, -v53
	v_mul_f32_e32 v52, v65, v3
	v_mul_f32_e32 v3, v64, v3
	;; [unrolled: 1-line block ×4, first 2 shown]
	v_add_f32_e32 v57, v54, v58
	v_fmac_f32_e32 v55, v61, v4
	v_add_f32_e32 v54, v6, v9
	v_fma_f32 v6, v64, v2, -v52
	v_fmac_f32_e32 v3, v65, v2
	v_fma_f32 v2, v64, v4, -v53
	v_fmac_f32_e32 v5, v65, v4
	v_add_f32_e32 v55, v59, v55
	v_add_f32_e32 v52, v8, v6
	;; [unrolled: 1-line block ×5, first 2 shown]
	s_barrier
	buffer_gl0_inv
	s_cbranch_scc1 .LBB91_56
.LBB91_7:                               ;   Parent Loop BB91_4 Depth=1
                                        ; =>  This Inner Loop Header: Depth=2
	v_add_co_u32 v2, s5, v12, s18
	v_add_co_ci_u32_e64 v3, null, s19, v13, s5
	v_cmp_eq_u64_e64 s8, s[18:19], v[24:25]
	v_add_co_u32 v4, s9, v32, v28
	v_cmp_lt_i64_e64 s5, v[2:3], v[22:23]
	v_cmp_le_i64_e64 s6, s[34:35], v[2:3]
	v_add_co_ci_u32_e64 v5, null, v33, v29, s9
	s_and_b32 s49, s47, s8
	s_or_b32 s9, s3, s5
	s_or_b32 s8, s6, s9
	s_nor_b32 s8, s8, s49
	s_and_saveexec_b32 s9, s8
	s_xor_b32 s8, exec_lo, s9
	s_cbranch_execz .LBB91_9
; %bb.8:                                ;   in Loop: Header=BB91_7 Depth=2
	global_load_dwordx2 v[6:7], v[4:5], off
	s_waitcnt vmcnt(0)
	ds_write_b64 v45, v[6:7]
.LBB91_9:                               ;   in Loop: Header=BB91_7 Depth=2
	s_or_saveexec_b32 s8, s8
	s_xor_b32 s27, s49, -1
	s_xor_b32 exec_lo, exec_lo, s8
	s_cbranch_execz .LBB91_15
; %bb.10:                               ;   in Loop: Header=BB91_7 Depth=2
	s_and_saveexec_b32 s9, s27
	s_xor_b32 s9, exec_lo, s9
; %bb.11:                               ;   in Loop: Header=BB91_7 Depth=2
	v_mov_b32_e32 v6, v21
	v_mov_b32_e32 v7, v21
	ds_write_b64 v45, v[6:7]
; %bb.12:                               ;   in Loop: Header=BB91_7 Depth=2
	s_andn2_saveexec_b32 s9, s9
; %bb.13:                               ;   in Loop: Header=BB91_7 Depth=2
	ds_write_b64 v45, v[20:21]
; %bb.14:                               ;   in Loop: Header=BB91_7 Depth=2
	s_or_b32 exec_lo, exec_lo, s9
.LBB91_15:                              ;   in Loop: Header=BB91_7 Depth=2
	s_or_b32 exec_lo, exec_lo, s8
	v_add_co_u32 v6, s8, v2, 16
	v_add_co_ci_u32_e64 v7, null, 0, v3, s8
	v_cmp_eq_u64_e64 s10, s[18:19], v[40:41]
	v_cmp_lt_i64_e64 s9, v[6:7], v[22:23]
	v_cmp_le_i64_e64 s8, s[34:35], v[6:7]
	s_and_b32 s10, s47, s10
	s_or_b32 s9, s3, s9
	s_or_b32 s9, s8, s9
	s_nor_b32 s9, s9, s10
	s_and_saveexec_b32 s50, s9
	s_xor_b32 s50, exec_lo, s50
	s_cbranch_execz .LBB91_17
; %bb.16:                               ;   in Loop: Header=BB91_7 Depth=2
	v_add_co_u32 v6, s9, v30, v28
	v_add_co_ci_u32_e64 v7, null, v31, v29, s9
	global_load_dwordx2 v[6:7], v[6:7], off
	s_waitcnt vmcnt(0)
	ds_write_b64 v45, v[6:7] offset:128
.LBB91_17:                              ;   in Loop: Header=BB91_7 Depth=2
	s_andn2_saveexec_b32 s9, s50
	s_cbranch_execz .LBB91_23
; %bb.18:                               ;   in Loop: Header=BB91_7 Depth=2
	s_xor_b32 s10, s10, -1
	s_and_saveexec_b32 s50, s10
	s_xor_b32 s10, exec_lo, s50
; %bb.19:                               ;   in Loop: Header=BB91_7 Depth=2
	v_mov_b32_e32 v6, v21
	v_mov_b32_e32 v7, v21
	ds_write_b64 v45, v[6:7] offset:128
; %bb.20:                               ;   in Loop: Header=BB91_7 Depth=2
	s_andn2_saveexec_b32 s10, s10
; %bb.21:                               ;   in Loop: Header=BB91_7 Depth=2
	ds_write_b64 v45, v[20:21] offset:128
; %bb.22:                               ;   in Loop: Header=BB91_7 Depth=2
	s_or_b32 exec_lo, exec_lo, s10
.LBB91_23:                              ;   in Loop: Header=BB91_7 Depth=2
	s_or_b32 exec_lo, exec_lo, s9
	v_cmp_eq_u64_e64 s9, s[18:19], v[38:39]
	v_cmp_lt_i64_e64 s10, v[2:3], v[36:37]
	s_and_b32 s9, s47, s9
	s_or_b32 s10, s4, s10
	s_or_b32 s10, s10, s9
	s_nor_b32 s6, s6, s10
	s_and_saveexec_b32 s10, s6
	s_xor_b32 s6, exec_lo, s10
	s_cbranch_execz .LBB91_25
; %bb.24:                               ;   in Loop: Header=BB91_7 Depth=2
	global_load_dwordx2 v[2:3], v[4:5], off offset:128
	s_waitcnt vmcnt(0)
	ds_write_b64 v45, v[2:3] offset:4096
.LBB91_25:                              ;   in Loop: Header=BB91_7 Depth=2
	s_andn2_saveexec_b32 s6, s6
	s_cbranch_execz .LBB91_31
; %bb.26:                               ;   in Loop: Header=BB91_7 Depth=2
	s_xor_b32 s9, s9, -1
	s_and_saveexec_b32 s10, s9
	s_xor_b32 s9, exec_lo, s10
; %bb.27:                               ;   in Loop: Header=BB91_7 Depth=2
	v_mov_b32_e32 v2, v21
	v_mov_b32_e32 v3, v21
	ds_write_b64 v45, v[2:3] offset:4096
; %bb.28:                               ;   in Loop: Header=BB91_7 Depth=2
	s_andn2_saveexec_b32 s9, s9
; %bb.29:                               ;   in Loop: Header=BB91_7 Depth=2
	ds_write_b64 v45, v[20:21] offset:4096
; %bb.30:                               ;   in Loop: Header=BB91_7 Depth=2
	s_or_b32 exec_lo, exec_lo, s9
.LBB91_31:                              ;   in Loop: Header=BB91_7 Depth=2
	s_or_b32 exec_lo, exec_lo, s6
	s_or_b32 s5, s4, s5
	s_or_b32 s5, s8, s5
	s_nor_b32 s5, s5, s49
	s_and_saveexec_b32 s6, s5
	s_xor_b32 s6, exec_lo, s6
	s_cbranch_execz .LBB91_33
; %bb.32:                               ;   in Loop: Header=BB91_7 Depth=2
	v_add_co_u32 v2, s5, v30, v28
	v_add_co_ci_u32_e64 v3, null, v31, v29, s5
	global_load_dwordx2 v[2:3], v[2:3], off offset:128
	s_waitcnt vmcnt(0)
	ds_write_b64 v45, v[2:3] offset:4224
.LBB91_33:                              ;   in Loop: Header=BB91_7 Depth=2
	s_andn2_saveexec_b32 s5, s6
	s_cbranch_execz .LBB91_39
; %bb.34:                               ;   in Loop: Header=BB91_7 Depth=2
	s_and_saveexec_b32 s6, s27
	s_xor_b32 s6, exec_lo, s6
; %bb.35:                               ;   in Loop: Header=BB91_7 Depth=2
	v_mov_b32_e32 v2, v21
	v_mov_b32_e32 v3, v21
	ds_write_b64 v45, v[2:3] offset:4224
; %bb.36:                               ;   in Loop: Header=BB91_7 Depth=2
	s_andn2_saveexec_b32 s6, s6
; %bb.37:                               ;   in Loop: Header=BB91_7 Depth=2
	ds_write_b64 v45, v[20:21] offset:4224
; %bb.38:                               ;   in Loop: Header=BB91_7 Depth=2
	s_or_b32 exec_lo, exec_lo, s6
.LBB91_39:                              ;   in Loop: Header=BB91_7 Depth=2
	s_or_b32 exec_lo, exec_lo, s5
	v_add_co_u32 v2, s5, v16, s18
	v_add_co_ci_u32_e64 v3, null, s19, v17, s5
	v_add_co_u32 v4, s6, v26, v42
	v_add_co_ci_u32_e64 v5, null, v27, v43, s6
	v_cmp_le_i64_e64 s5, s[34:35], v[2:3]
	s_nor_b32 s6, s5, s1
	s_and_saveexec_b32 s8, s6
	s_xor_b32 s6, exec_lo, s8
	s_cbranch_execz .LBB91_41
; %bb.40:                               ;   in Loop: Header=BB91_7 Depth=2
	global_load_dwordx2 v[6:7], v[4:5], off offset:-128
	s_waitcnt vmcnt(0)
	ds_write_b64 v47, v[6:7]
.LBB91_41:                              ;   in Loop: Header=BB91_7 Depth=2
	s_andn2_saveexec_b32 s6, s6
; %bb.42:                               ;   in Loop: Header=BB91_7 Depth=2
	v_mov_b32_e32 v6, v21
	v_mov_b32_e32 v7, v21
	ds_write_b64 v47, v[6:7]
; %bb.43:                               ;   in Loop: Header=BB91_7 Depth=2
	s_or_b32 exec_lo, exec_lo, s6
	s_nor_b32 s5, s5, s2
	s_and_saveexec_b32 s6, s5
	s_xor_b32 s5, exec_lo, s6
	s_cbranch_execz .LBB91_45
; %bb.44:                               ;   in Loop: Header=BB91_7 Depth=2
	global_load_dwordx2 v[4:5], v[4:5], off
	s_waitcnt vmcnt(0)
	ds_write_b64 v47, v[4:5] offset:128
.LBB91_45:                              ;   in Loop: Header=BB91_7 Depth=2
	s_andn2_saveexec_b32 s5, s5
; %bb.46:                               ;   in Loop: Header=BB91_7 Depth=2
	v_mov_b32_e32 v4, v21
	v_mov_b32_e32 v5, v21
	ds_write_b64 v47, v[4:5] offset:128
; %bb.47:                               ;   in Loop: Header=BB91_7 Depth=2
	s_or_b32 exec_lo, exec_lo, s5
	v_cmp_le_i64_e64 s5, s[28:29], v[2:3]
	v_add_co_u32 v2, s6, v34, v42
	v_add_co_ci_u32_e64 v3, null, v35, v43, s6
	s_nor_b32 s6, s5, s1
	s_and_saveexec_b32 s8, s6
	s_xor_b32 s6, exec_lo, s8
	s_cbranch_execz .LBB91_49
; %bb.48:                               ;   in Loop: Header=BB91_7 Depth=2
	global_load_dwordx2 v[4:5], v[2:3], off
	s_waitcnt vmcnt(0)
	ds_write_b64 v47, v[4:5] offset:4096
.LBB91_49:                              ;   in Loop: Header=BB91_7 Depth=2
	s_andn2_saveexec_b32 s6, s6
; %bb.50:                               ;   in Loop: Header=BB91_7 Depth=2
	v_mov_b32_e32 v4, v21
	v_mov_b32_e32 v5, v21
	ds_write_b64 v47, v[4:5] offset:4096
; %bb.51:                               ;   in Loop: Header=BB91_7 Depth=2
	s_or_b32 exec_lo, exec_lo, s6
	s_nor_b32 s5, s5, s2
	s_and_saveexec_b32 s6, s5
	s_xor_b32 s5, exec_lo, s6
	s_cbranch_execz .LBB91_53
; %bb.52:                               ;   in Loop: Header=BB91_7 Depth=2
	global_load_dwordx2 v[2:3], v[2:3], off offset:128
	s_waitcnt vmcnt(0)
	ds_write_b64 v47, v[2:3] offset:4224
.LBB91_53:                              ;   in Loop: Header=BB91_7 Depth=2
	s_andn2_saveexec_b32 s5, s5
	s_cbranch_execz .LBB91_6
; %bb.54:                               ;   in Loop: Header=BB91_7 Depth=2
	v_mov_b32_e32 v2, v21
	v_mov_b32_e32 v3, v21
	ds_write_b64 v47, v[2:3] offset:4224
	s_branch .LBB91_6
.LBB91_55:                              ;   in Loop: Header=BB91_4 Depth=1
	v_mov_b32_e32 v56, 0
	v_mov_b32_e32 v57, 0
	v_mov_b32_e32 v54, 0
	v_mov_b32_e32 v55, 0
	v_mov_b32_e32 v52, 0
	v_mov_b32_e32 v53, 0
	v_mov_b32_e32 v51, 0
	v_mov_b32_e32 v50, 0
.LBB91_56:                              ;   in Loop: Header=BB91_4 Depth=1
	v_mul_lo_u32 v4, s41, v22
	v_mul_lo_u32 v5, s40, v23
	v_mad_u64_u32 v[2:3], null, s40, v22, 0
	v_cmp_gt_i32_e64 s3, s30, v22
	v_add3_u32 v3, v3, v5, v4
	v_lshlrev_b64 v[2:3], 3, v[2:3]
	v_add_co_u32 v2, s4, s45, v2
	v_add_co_ci_u32_e64 v3, null, s46, v3, s4
	s_and_b32 s4, vcc_lo, s3
	s_and_saveexec_b32 s5, s4
	s_cbranch_execz .LBB91_58
; %bb.57:                               ;   in Loop: Header=BB91_4 Depth=1
	v_add_co_u32 v4, s4, v2, v14
	v_add_co_ci_u32_e64 v5, null, v3, v15, s4
	v_mul_f32_e32 v8, s11, v57
	v_mul_f32_e32 v9, s31, v57
	global_load_dwordx2 v[6:7], v[4:5], off
	v_fma_f32 v8, v56, s31, -v8
	v_fmac_f32_e32 v9, s11, v56
	s_waitcnt vmcnt(0)
	v_add_f32_e32 v6, v6, v8
	v_add_f32_e32 v7, v9, v7
	global_store_dwordx2 v[4:5], v[6:7], off
.LBB91_58:                              ;   in Loop: Header=BB91_4 Depth=1
	s_or_b32 exec_lo, exec_lo, s5
	s_and_b32 s3, s0, s3
	s_and_saveexec_b32 s4, s3
	s_cbranch_execz .LBB91_60
; %bb.59:                               ;   in Loop: Header=BB91_4 Depth=1
	v_lshlrev_b64 v[4:5], 3, v[10:11]
	v_mul_f32_e32 v6, s11, v55
	v_mul_f32_e32 v7, s31, v55
	v_fma_f32 v6, v54, s31, -v6
	v_add_co_u32 v2, s3, v2, v4
	v_add_co_ci_u32_e64 v3, null, v3, v5, s3
	v_fmac_f32_e32 v7, s11, v54
	global_load_dwordx2 v[4:5], v[2:3], off
	s_waitcnt vmcnt(0)
	v_add_f32_e32 v4, v4, v6
	v_add_f32_e32 v5, v7, v5
	global_store_dwordx2 v[2:3], v[4:5], off
.LBB91_60:                              ;   in Loop: Header=BB91_4 Depth=1
	s_or_b32 exec_lo, exec_lo, s4
	v_add_nc_u32_e32 v4, 16, v22
	v_ashrrev_i32_e32 v5, 31, v4
	v_mul_lo_u32 v6, s41, v4
	v_mad_u64_u32 v[2:3], null, s40, v4, 0
	v_cmp_gt_i32_e64 s3, s30, v4
	v_mul_lo_u32 v5, s40, v5
	v_add3_u32 v3, v3, v5, v6
	v_lshlrev_b64 v[2:3], 3, v[2:3]
	v_add_co_u32 v2, s4, s45, v2
	v_add_co_ci_u32_e64 v3, null, s46, v3, s4
	s_and_b32 s4, vcc_lo, s3
	s_and_saveexec_b32 s5, s4
	s_cbranch_execz .LBB91_62
; %bb.61:                               ;   in Loop: Header=BB91_4 Depth=1
	v_add_co_u32 v4, s4, v2, v14
	v_add_co_ci_u32_e64 v5, null, v3, v15, s4
	v_mul_f32_e32 v8, s11, v53
	v_mul_f32_e32 v9, s31, v53
	global_load_dwordx2 v[6:7], v[4:5], off
	v_fma_f32 v8, v52, s31, -v8
	v_fmac_f32_e32 v9, s11, v52
	s_waitcnt vmcnt(0)
	v_add_f32_e32 v6, v6, v8
	v_add_f32_e32 v7, v9, v7
	global_store_dwordx2 v[4:5], v[6:7], off
.LBB91_62:                              ;   in Loop: Header=BB91_4 Depth=1
	s_or_b32 exec_lo, exec_lo, s5
	s_and_b32 s3, s0, s3
	s_and_saveexec_b32 s4, s3
	s_cbranch_execz .LBB91_3
; %bb.63:                               ;   in Loop: Header=BB91_4 Depth=1
	v_lshlrev_b64 v[4:5], 3, v[10:11]
	v_mul_f32_e32 v6, s11, v50
	v_mul_f32_e32 v7, s31, v50
	v_fma_f32 v6, v51, s31, -v6
	v_add_co_u32 v2, s3, v2, v4
	v_add_co_ci_u32_e64 v3, null, v3, v5, s3
	v_fmac_f32_e32 v7, s11, v51
	global_load_dwordx2 v[4:5], v[2:3], off
	s_waitcnt vmcnt(0)
	v_add_f32_e32 v4, v4, v6
	v_add_f32_e32 v5, v7, v5
	global_store_dwordx2 v[2:3], v[4:5], off
	s_branch .LBB91_3
.LBB91_64:
	s_endpgm
	.section	.rodata,"a",@progbits
	.p2align	6, 0x0
	.amdhsa_kernel _ZL30rocblas_trmm_outofplace_kernelI19rocblas_complex_numIfELi32ELi2ELb0ELb1ELb1ELb0ES1_KS1_S1_Ev17rocblas_diagonal_iiT6_lPT7_lllS6_lllPT8_llli
		.amdhsa_group_segment_fixed_size 16384
		.amdhsa_private_segment_fixed_size 0
		.amdhsa_kernarg_size 392
		.amdhsa_user_sgpr_count 6
		.amdhsa_user_sgpr_private_segment_buffer 1
		.amdhsa_user_sgpr_dispatch_ptr 0
		.amdhsa_user_sgpr_queue_ptr 0
		.amdhsa_user_sgpr_kernarg_segment_ptr 1
		.amdhsa_user_sgpr_dispatch_id 0
		.amdhsa_user_sgpr_flat_scratch_init 0
		.amdhsa_user_sgpr_private_segment_size 0
		.amdhsa_wavefront_size32 1
		.amdhsa_uses_dynamic_stack 0
		.amdhsa_system_sgpr_private_segment_wavefront_offset 0
		.amdhsa_system_sgpr_workgroup_id_x 1
		.amdhsa_system_sgpr_workgroup_id_y 1
		.amdhsa_system_sgpr_workgroup_id_z 1
		.amdhsa_system_sgpr_workgroup_info 0
		.amdhsa_system_vgpr_workitem_id 1
		.amdhsa_next_free_vgpr 88
		.amdhsa_next_free_sgpr 51
		.amdhsa_reserve_vcc 1
		.amdhsa_reserve_flat_scratch 0
		.amdhsa_float_round_mode_32 0
		.amdhsa_float_round_mode_16_64 0
		.amdhsa_float_denorm_mode_32 3
		.amdhsa_float_denorm_mode_16_64 3
		.amdhsa_dx10_clamp 1
		.amdhsa_ieee_mode 1
		.amdhsa_fp16_overflow 0
		.amdhsa_workgroup_processor_mode 1
		.amdhsa_memory_ordered 1
		.amdhsa_forward_progress 1
		.amdhsa_shared_vgpr_count 0
		.amdhsa_exception_fp_ieee_invalid_op 0
		.amdhsa_exception_fp_denorm_src 0
		.amdhsa_exception_fp_ieee_div_zero 0
		.amdhsa_exception_fp_ieee_overflow 0
		.amdhsa_exception_fp_ieee_underflow 0
		.amdhsa_exception_fp_ieee_inexact 0
		.amdhsa_exception_int_div_zero 0
	.end_amdhsa_kernel
	.section	.text._ZL30rocblas_trmm_outofplace_kernelI19rocblas_complex_numIfELi32ELi2ELb0ELb1ELb1ELb0ES1_KS1_S1_Ev17rocblas_diagonal_iiT6_lPT7_lllS6_lllPT8_llli,"axG",@progbits,_ZL30rocblas_trmm_outofplace_kernelI19rocblas_complex_numIfELi32ELi2ELb0ELb1ELb1ELb0ES1_KS1_S1_Ev17rocblas_diagonal_iiT6_lPT7_lllS6_lllPT8_llli,comdat
.Lfunc_end91:
	.size	_ZL30rocblas_trmm_outofplace_kernelI19rocblas_complex_numIfELi32ELi2ELb0ELb1ELb1ELb0ES1_KS1_S1_Ev17rocblas_diagonal_iiT6_lPT7_lllS6_lllPT8_llli, .Lfunc_end91-_ZL30rocblas_trmm_outofplace_kernelI19rocblas_complex_numIfELi32ELi2ELb0ELb1ELb1ELb0ES1_KS1_S1_Ev17rocblas_diagonal_iiT6_lPT7_lllS6_lllPT8_llli
                                        ; -- End function
	.set _ZL30rocblas_trmm_outofplace_kernelI19rocblas_complex_numIfELi32ELi2ELb0ELb1ELb1ELb0ES1_KS1_S1_Ev17rocblas_diagonal_iiT6_lPT7_lllS6_lllPT8_llli.num_vgpr, 88
	.set _ZL30rocblas_trmm_outofplace_kernelI19rocblas_complex_numIfELi32ELi2ELb0ELb1ELb1ELb0ES1_KS1_S1_Ev17rocblas_diagonal_iiT6_lPT7_lllS6_lllPT8_llli.num_agpr, 0
	.set _ZL30rocblas_trmm_outofplace_kernelI19rocblas_complex_numIfELi32ELi2ELb0ELb1ELb1ELb0ES1_KS1_S1_Ev17rocblas_diagonal_iiT6_lPT7_lllS6_lllPT8_llli.numbered_sgpr, 51
	.set _ZL30rocblas_trmm_outofplace_kernelI19rocblas_complex_numIfELi32ELi2ELb0ELb1ELb1ELb0ES1_KS1_S1_Ev17rocblas_diagonal_iiT6_lPT7_lllS6_lllPT8_llli.num_named_barrier, 0
	.set _ZL30rocblas_trmm_outofplace_kernelI19rocblas_complex_numIfELi32ELi2ELb0ELb1ELb1ELb0ES1_KS1_S1_Ev17rocblas_diagonal_iiT6_lPT7_lllS6_lllPT8_llli.private_seg_size, 0
	.set _ZL30rocblas_trmm_outofplace_kernelI19rocblas_complex_numIfELi32ELi2ELb0ELb1ELb1ELb0ES1_KS1_S1_Ev17rocblas_diagonal_iiT6_lPT7_lllS6_lllPT8_llli.uses_vcc, 1
	.set _ZL30rocblas_trmm_outofplace_kernelI19rocblas_complex_numIfELi32ELi2ELb0ELb1ELb1ELb0ES1_KS1_S1_Ev17rocblas_diagonal_iiT6_lPT7_lllS6_lllPT8_llli.uses_flat_scratch, 0
	.set _ZL30rocblas_trmm_outofplace_kernelI19rocblas_complex_numIfELi32ELi2ELb0ELb1ELb1ELb0ES1_KS1_S1_Ev17rocblas_diagonal_iiT6_lPT7_lllS6_lllPT8_llli.has_dyn_sized_stack, 0
	.set _ZL30rocblas_trmm_outofplace_kernelI19rocblas_complex_numIfELi32ELi2ELb0ELb1ELb1ELb0ES1_KS1_S1_Ev17rocblas_diagonal_iiT6_lPT7_lllS6_lllPT8_llli.has_recursion, 0
	.set _ZL30rocblas_trmm_outofplace_kernelI19rocblas_complex_numIfELi32ELi2ELb0ELb1ELb1ELb0ES1_KS1_S1_Ev17rocblas_diagonal_iiT6_lPT7_lllS6_lllPT8_llli.has_indirect_call, 0
	.section	.AMDGPU.csdata,"",@progbits
; Kernel info:
; codeLenInByte = 6536
; TotalNumSgprs: 53
; NumVgprs: 88
; ScratchSize: 0
; MemoryBound: 1
; FloatMode: 240
; IeeeMode: 1
; LDSByteSize: 16384 bytes/workgroup (compile time only)
; SGPRBlocks: 0
; VGPRBlocks: 10
; NumSGPRsForWavesPerEU: 53
; NumVGPRsForWavesPerEU: 88
; Occupancy: 10
; WaveLimiterHint : 0
; COMPUTE_PGM_RSRC2:SCRATCH_EN: 0
; COMPUTE_PGM_RSRC2:USER_SGPR: 6
; COMPUTE_PGM_RSRC2:TRAP_HANDLER: 0
; COMPUTE_PGM_RSRC2:TGID_X_EN: 1
; COMPUTE_PGM_RSRC2:TGID_Y_EN: 1
; COMPUTE_PGM_RSRC2:TGID_Z_EN: 1
; COMPUTE_PGM_RSRC2:TIDIG_COMP_CNT: 1
	.section	.text._ZL30rocblas_trmm_outofplace_kernelI19rocblas_complex_numIfELi32ELi2ELb0ELb0ELb1ELb1EPKS1_S2_S1_Ev17rocblas_diagonal_iiT6_lPT7_lllS7_lllPT8_llli,"axG",@progbits,_ZL30rocblas_trmm_outofplace_kernelI19rocblas_complex_numIfELi32ELi2ELb0ELb0ELb1ELb1EPKS1_S2_S1_Ev17rocblas_diagonal_iiT6_lPT7_lllS7_lllPT8_llli,comdat
	.globl	_ZL30rocblas_trmm_outofplace_kernelI19rocblas_complex_numIfELi32ELi2ELb0ELb0ELb1ELb1EPKS1_S2_S1_Ev17rocblas_diagonal_iiT6_lPT7_lllS7_lllPT8_llli ; -- Begin function _ZL30rocblas_trmm_outofplace_kernelI19rocblas_complex_numIfELi32ELi2ELb0ELb0ELb1ELb1EPKS1_S2_S1_Ev17rocblas_diagonal_iiT6_lPT7_lllS7_lllPT8_llli
	.p2align	8
	.type	_ZL30rocblas_trmm_outofplace_kernelI19rocblas_complex_numIfELi32ELi2ELb0ELb0ELb1ELb1EPKS1_S2_S1_Ev17rocblas_diagonal_iiT6_lPT7_lllS7_lllPT8_llli,@function
_ZL30rocblas_trmm_outofplace_kernelI19rocblas_complex_numIfELi32ELi2ELb0ELb0ELb1ELb1EPKS1_S2_S1_Ev17rocblas_diagonal_iiT6_lPT7_lllS7_lllPT8_llli: ; @_ZL30rocblas_trmm_outofplace_kernelI19rocblas_complex_numIfELi32ELi2ELb0ELb0ELb1ELb1EPKS1_S2_S1_Ev17rocblas_diagonal_iiT6_lPT7_lllS7_lllPT8_llli
; %bb.0:
	s_load_dwordx16 s[12:27], s[4:5], 0x10
	s_waitcnt lgkmcnt(0)
	s_mul_i32 s0, s15, s8
	s_mul_hi_u32 s1, s14, s8
	s_add_i32 s1, s1, s0
	s_mul_i32 s0, s14, s8
	s_lshl_b64 s[0:1], s[0:1], 3
	s_add_u32 s0, s12, s0
	s_addc_u32 s1, s13, s1
	s_load_dwordx2 s[34:35], s[0:1], 0x0
	s_waitcnt lgkmcnt(0)
	s_or_b32 s0, s34, s35
	s_bitset0_b32 s0, 31
	s_cmp_eq_u32 s0, 0
	s_cbranch_scc1 .LBB92_63
; %bb.1:
	s_load_dwordx4 s[12:15], s[4:5], 0x0
	s_waitcnt lgkmcnt(0)
	s_add_i32 s0, s14, -1
	s_ashr_i32 s1, s0, 31
	s_lshr_b32 s1, s1, 27
	s_add_i32 s0, s0, s1
	s_ashr_i32 s11, s0, 5
	s_cmp_gt_i32 s7, s11
	s_cbranch_scc1 .LBB92_63
; %bb.2:
	s_clause 0x1
	s_load_dwordx8 s[36:43], s[4:5], 0x50
	s_load_dwordx4 s[28:31], s[4:5], 0x70
	s_mul_i32 s1, s23, s8
	s_mul_hi_u32 s2, s22, s8
	s_mul_i32 s0, s22, s8
	s_add_i32 s1, s2, s1
	v_mad_u64_u32 v[2:3], null, s20, v0, 0
	s_lshl_b64 s[0:1], s[0:1], 3
	s_load_dword s33, s[4:5], 0x8c
	s_add_u32 s9, s16, s0
	s_addc_u32 s10, s17, s1
	s_lshl_b64 s[2:3], s[18:19], 3
	v_lshlrev_b32_e32 v47, 8, v1
	s_add_u32 s15, s9, s2
	s_addc_u32 s10, s10, s3
	v_mad_u64_u32 v[3:4], null, s21, v0, v[3:4]
	v_lshl_add_u32 v4, s6, 5, v0
	v_lshlrev_b32_e32 v8, 3, v0
	s_waitcnt lgkmcnt(0)
	s_mul_i32 s5, s39, s8
	s_mul_hi_u32 s9, s38, s8
	s_mul_i32 s4, s38, s8
	s_add_i32 s5, s9, s5
	s_mul_i32 s9, s31, s8
	s_lshl_b64 s[4:5], s[4:5], 3
	s_mul_hi_u32 s18, s30, s8
	s_add_u32 s19, s24, s4
	s_addc_u32 s22, s25, s5
	s_lshl_b64 s[4:5], s[26:27], 3
	v_ashrrev_i32_e32 v5, 31, v4
	s_add_u32 s19, s19, s4
	s_mul_i32 s8, s30, s8
	s_addc_u32 s22, s22, s5
	s_add_i32 s9, s18, s9
	v_lshlrev_b64 v[2:3], 3, v[2:3]
	s_lshl_b64 s[4:5], s[8:9], 3
	v_lshlrev_b64 v[16:17], 3, v[4:5]
	s_add_u32 s6, s40, s4
	s_addc_u32 s8, s41, s5
	s_lshl_b64 s[4:5], s[42:43], 3
	v_add_co_u32 v18, vcc_lo, s15, v2
	s_add_u32 s26, s6, s4
	s_addc_u32 s27, s8, s5
	v_add_co_ci_u32_e64 v19, null, s10, v3, vcc_lo
	s_cmpk_eq_i32 s12, 0x84
	v_add_co_u32 v20, vcc_lo, s19, v16
	v_add_co_ci_u32_e64 v21, null, s22, v17, vcc_lo
	s_cselect_b32 s30, -1, 0
	s_ashr_i32 s4, s13, 31
	v_sub_co_u32 v2, vcc_lo, s13, v4
	v_sub_co_ci_u32_e64 v3, null, s4, v5, vcc_lo
	v_mad_u64_u32 v[5:6], null, s36, v1, 0
	v_add_nc_u32_e32 v7, 16, v4
	s_ashr_i32 s15, s14, 31
	s_lshl_b64 s[18:19], s[20:21], 8
	s_lshl_b64 s[22:23], s[36:37], 8
	s_add_u32 s24, s14, -16
	v_add_nc_u32_e32 v48, v47, v8
	v_or_b32_e32 v49, 0x2000, v8
	s_addc_u32 s25, s15, -1
	s_lshl_b32 s31, s33, 5
	v_add_nc_u32_e32 v10, 0x80, v8
	v_mad_u64_u32 v[8:9], null, s37, v1, v[6:7]
	s_add_u32 s2, s16, s2
	v_lshl_add_u32 v11, v1, 3, 0x80
	s_addc_u32 s3, s17, s3
	s_add_u32 s0, s2, s0
	s_addc_u32 s1, s3, s1
	v_cmp_gt_i64_e32 vcc_lo, 1, v[2:3]
	v_mad_u64_u32 v[22:23], null, s20, v10, s[0:1]
	v_mad_u64_u32 v[24:25], null, s36, v11, 0
	v_mov_b32_e32 v6, v8
	v_cmp_gt_i32_e64 s1, s13, v4
	v_cmp_gt_i64_e64 s0, 17, v[2:3]
	v_ashrrev_i32_e32 v8, 31, v7
	v_mov_b32_e32 v2, v23
	v_lshlrev_b64 v[4:5], 3, v[5:6]
	v_mov_b32_e32 v3, v25
	v_sub_co_u32 v51, s3, 0, v0
	v_sub_co_ci_u32_e64 v52, null, 0, 0, s3
	v_mad_u64_u32 v[9:10], null, s21, v10, v[2:3]
	v_mad_u64_u32 v[2:3], null, s37, v11, v[3:4]
	v_add_co_u32 v53, s3, 0x80, v4
	v_lshlrev_b64 v[27:28], 3, v[7:8]
	v_mov_b32_e32 v15, 0
	v_add_nc_u32_e32 v50, v49, v47
	v_cmp_gt_i32_e64 s2, s13, v7
	v_lshl_add_u32 v25, s7, 5, v1
	v_mov_b32_e32 v23, v9
	v_add_co_ci_u32_e64 v54, null, 0, v5, s3
	v_mov_b32_e32 v55, v2
	v_mov_b32_e32 v14, 1.0
	v_add_nc_u32_e32 v56, 0x800, v49
	v_add_nc_u32_e32 v57, 0x1000, v49
	;; [unrolled: 1-line block ×3, first 2 shown]
	s_branch .LBB92_4
.LBB92_3:                               ;   in Loop: Header=BB92_4 Depth=1
	s_or_b32 exec_lo, exec_lo, s4
	v_add_nc_u32_e32 v25, s31, v25
	s_add_i32 s7, s33, s7
	s_cmp_le_i32 s7, s11
	s_cbranch_scc0 .LBB92_63
.LBB92_4:                               ; =>This Loop Header: Depth=1
                                        ;     Child Loop BB92_7 Depth 2
	s_lshl_b32 s16, s7, 5
	v_mov_b32_e32 v64, v15
	v_add_nc_u32_e32 v29, s16, v1
	v_mov_b32_e32 v65, v15
	v_mov_b32_e32 v62, v15
	;; [unrolled: 1-line block ×4, first 2 shown]
	v_ashrrev_i32_e32 v30, 31, v29
	v_mov_b32_e32 v61, v15
	v_mov_b32_e32 v59, v15
	;; [unrolled: 1-line block ×3, first 2 shown]
	s_cmp_lt_i32 s7, 0
	s_cbranch_scc1 .LBB92_55
; %bb.5:                                ;   in Loop: Header=BB92_4 Depth=1
	v_ashrrev_i32_e32 v26, 31, v25
	v_add_co_u32 v31, s3, v29, 16
	v_add_co_ci_u32_e64 v32, null, 0, v30, s3
	v_add_co_u32 v33, s3, v51, v25
	v_add_co_ci_u32_e64 v34, null, v52, v26, s3
	v_lshlrev_b64 v[35:36], 3, v[25:26]
	v_add_co_u32 v37, s5, v33, 16
	v_add_co_ci_u32_e64 v38, null, 0, v34, s5
	v_add_co_u32 v39, s5, v33, -16
	v_cmp_le_i64_e64 s4, s[14:15], v[31:32]
	v_mov_b32_e32 v42, v21
	v_mov_b32_e32 v44, v19
	;; [unrolled: 1-line block ×3, first 2 shown]
	v_cmp_le_i32_e64 s3, s14, v29
	v_add_co_ci_u32_e64 v40, null, -1, v34, s5
	v_mov_b32_e32 v26, 0
	v_mov_b32_e32 v41, v20
	;; [unrolled: 1-line block ×11, first 2 shown]
	s_mov_b64 s[12:13], 0
	s_branch .LBB92_7
.LBB92_6:                               ;   in Loop: Header=BB92_7 Depth=2
	s_or_b32 exec_lo, exec_lo, s5
	s_waitcnt lgkmcnt(0)
	s_barrier
	buffer_gl0_inv
	ds_read_b128 v[66:69], v47
	ds_read_b128 v[10:13], v47 offset:16
	ds_read_b128 v[6:9], v47 offset:32
	;; [unrolled: 1-line block ×3, first 2 shown]
	ds_read2_b64 v[70:73], v49 offset1:16
	v_add_co_u32 v45, s5, v45, s18
	v_add_co_ci_u32_e64 v46, null, s19, v46, s5
	v_add_co_u32 v43, s5, v43, s18
	v_add_co_ci_u32_e64 v44, null, s19, v44, s5
	v_add_co_u32 v41, s5, v41, s22
	s_add_u32 s12, s12, 32
	v_add_co_ci_u32_e64 v42, null, s23, v42, s5
	s_addc_u32 s13, s13, 0
	s_sub_i32 s6, s12, 32
	s_cmp_ge_i32 s6, s16
	s_waitcnt lgkmcnt(0)
	v_mul_f32_e32 v74, v67, v71
	v_mul_f32_e32 v75, v66, v71
	v_fma_f32 v74, v66, v70, -v74
	v_fmac_f32_e32 v75, v67, v70
	v_add_f32_e32 v74, v64, v74
	v_add_f32_e32 v75, v65, v75
	v_mul_f32_e32 v64, v67, v73
	v_mul_f32_e32 v65, v66, v73
	v_fma_f32 v64, v66, v72, -v64
	v_fmac_f32_e32 v65, v67, v72
	v_add_f32_e32 v66, v62, v64
	v_add_f32_e32 v67, v63, v65
	ds_read_b128 v[62:65], v47 offset:4096
	s_waitcnt lgkmcnt(0)
	v_mul_f32_e32 v76, v63, v71
	v_mul_f32_e32 v71, v62, v71
	v_fma_f32 v76, v62, v70, -v76
	v_fmac_f32_e32 v71, v63, v70
	v_add_f32_e32 v70, v60, v76
	v_add_f32_e32 v71, v61, v71
	v_mul_f32_e32 v60, v63, v73
	v_mul_f32_e32 v61, v62, v73
	v_fma_f32 v60, v62, v72, -v60
	v_fmac_f32_e32 v61, v63, v72
	v_add_f32_e32 v63, v59, v60
	v_add_f32_e32 v26, v26, v61
	ds_read2_b64 v[59:62], v49 offset0:32 offset1:48
	s_waitcnt lgkmcnt(0)
	v_mul_f32_e32 v72, v69, v60
	v_mul_f32_e32 v73, v68, v60
	v_fma_f32 v72, v68, v59, -v72
	v_fmac_f32_e32 v73, v69, v59
	v_add_f32_e32 v72, v74, v72
	v_mul_f32_e32 v74, v69, v62
	v_add_f32_e32 v73, v75, v73
	v_fma_f32 v74, v68, v61, -v74
	v_mul_f32_e32 v68, v68, v62
	v_add_f32_e32 v66, v66, v74
	v_fmac_f32_e32 v68, v69, v61
	v_add_f32_e32 v67, v67, v68
	v_mul_f32_e32 v68, v65, v60
	v_mul_f32_e32 v60, v64, v60
	v_fma_f32 v68, v64, v59, -v68
	v_fmac_f32_e32 v60, v65, v59
	v_mul_f32_e32 v59, v65, v62
	v_add_f32_e32 v68, v70, v68
	v_add_f32_e32 v69, v71, v60
	v_mul_f32_e32 v60, v64, v62
	v_fma_f32 v59, v64, v61, -v59
	v_fmac_f32_e32 v60, v65, v61
	v_add_f32_e32 v70, v63, v59
	v_add_f32_e32 v26, v26, v60
	ds_read2_b64 v[59:62], v49 offset0:64 offset1:80
	s_waitcnt lgkmcnt(0)
	v_mul_f32_e32 v63, v11, v60
	v_mul_f32_e32 v64, v10, v60
	v_fma_f32 v63, v10, v59, -v63
	v_fmac_f32_e32 v64, v11, v59
	v_add_f32_e32 v71, v72, v63
	v_mul_f32_e32 v63, v11, v62
	v_add_f32_e32 v72, v73, v64
	v_fma_f32 v63, v10, v61, -v63
	v_mul_f32_e32 v10, v10, v62
	v_fmac_f32_e32 v10, v11, v61
	v_add_f32_e32 v11, v66, v63
	ds_read_b128 v[63:66], v47 offset:4112
	v_add_f32_e32 v10, v67, v10
	s_waitcnt lgkmcnt(0)
	v_mul_f32_e32 v67, v64, v60
	v_mul_f32_e32 v60, v63, v60
	v_fma_f32 v67, v63, v59, -v67
	v_fmac_f32_e32 v60, v64, v59
	v_mul_f32_e32 v59, v64, v62
	v_add_f32_e32 v67, v68, v67
	v_add_f32_e32 v68, v69, v60
	v_mul_f32_e32 v60, v63, v62
	v_fma_f32 v59, v63, v61, -v59
	v_fmac_f32_e32 v60, v64, v61
	v_add_f32_e32 v63, v70, v59
	v_add_f32_e32 v26, v26, v60
	ds_read2_b64 v[59:62], v49 offset0:96 offset1:112
	s_waitcnt lgkmcnt(0)
	v_mul_f32_e32 v64, v13, v60
	v_mul_f32_e32 v70, v13, v62
	;; [unrolled: 1-line block ×3, first 2 shown]
	v_fma_f32 v64, v12, v59, -v64
	v_fma_f32 v70, v12, v61, -v70
	v_mul_f32_e32 v12, v12, v62
	v_fmac_f32_e32 v69, v13, v59
	v_add_f32_e32 v64, v71, v64
	v_add_f32_e32 v70, v11, v70
	v_fmac_f32_e32 v12, v13, v61
	v_mul_f32_e32 v11, v65, v60
	v_add_f32_e32 v69, v72, v69
	v_add_f32_e32 v71, v10, v12
	v_mul_f32_e32 v10, v66, v60
	v_fmac_f32_e32 v11, v66, v59
	v_fma_f32 v10, v65, v59, -v10
	v_add_f32_e32 v68, v68, v11
	v_mul_f32_e32 v11, v65, v62
	v_add_f32_e32 v67, v67, v10
	v_mul_f32_e32 v10, v66, v62
	v_fmac_f32_e32 v11, v66, v61
	v_fma_f32 v10, v65, v61, -v10
	v_add_f32_e32 v26, v26, v11
	v_add_f32_e32 v63, v63, v10
	ds_read2_b64 v[10:13], v49 offset0:128 offset1:144
	s_waitcnt lgkmcnt(0)
	v_mul_f32_e32 v59, v7, v11
	v_mul_f32_e32 v60, v6, v11
	v_fma_f32 v59, v6, v10, -v59
	v_fmac_f32_e32 v60, v7, v10
	v_add_f32_e32 v64, v64, v59
	v_mul_f32_e32 v59, v7, v13
	v_add_f32_e32 v65, v69, v60
	v_fma_f32 v59, v6, v12, -v59
	v_mul_f32_e32 v6, v6, v13
	v_fmac_f32_e32 v6, v7, v12
	v_add_f32_e32 v7, v70, v59
	ds_read_b128 v[59:62], v47 offset:4128
	v_add_f32_e32 v6, v71, v6
	s_waitcnt lgkmcnt(0)
	v_mul_f32_e32 v66, v60, v11
	v_mul_f32_e32 v11, v59, v11
	v_fma_f32 v66, v59, v10, -v66
	v_fmac_f32_e32 v11, v60, v10
	v_mul_f32_e32 v10, v60, v13
	v_add_f32_e32 v66, v67, v66
	v_add_f32_e32 v67, v68, v11
	v_mul_f32_e32 v11, v59, v13
	v_fma_f32 v10, v59, v12, -v10
	v_fmac_f32_e32 v11, v60, v12
	v_add_f32_e32 v59, v63, v10
	v_add_f32_e32 v26, v26, v11
	ds_read2_b64 v[10:13], v49 offset0:160 offset1:176
	s_waitcnt lgkmcnt(0)
	v_mul_f32_e32 v60, v9, v11
	v_mul_f32_e32 v63, v8, v11
	v_fma_f32 v60, v8, v10, -v60
	v_fmac_f32_e32 v63, v9, v10
	v_add_f32_e32 v60, v64, v60
	v_mul_f32_e32 v64, v9, v13
	v_add_f32_e32 v63, v65, v63
	v_fma_f32 v64, v8, v12, -v64
	v_mul_f32_e32 v8, v8, v13
	v_add_f32_e32 v64, v7, v64
	v_fmac_f32_e32 v8, v9, v12
	v_mul_f32_e32 v7, v61, v11
	v_add_f32_e32 v65, v6, v8
	v_mul_f32_e32 v6, v62, v11
	v_fmac_f32_e32 v7, v62, v10
	v_fma_f32 v6, v61, v10, -v6
	v_add_f32_e32 v67, v67, v7
	v_mul_f32_e32 v7, v61, v13
	v_add_f32_e32 v66, v66, v6
	v_mul_f32_e32 v6, v62, v13
	v_fmac_f32_e32 v7, v62, v12
	v_fma_f32 v6, v61, v12, -v6
	v_add_f32_e32 v26, v26, v7
	v_add_f32_e32 v59, v59, v6
	ds_read2_b64 v[6:9], v49 offset0:192 offset1:208
	s_waitcnt lgkmcnt(0)
	v_mul_f32_e32 v10, v3, v7
	v_mul_f32_e32 v11, v2, v7
	v_fma_f32 v10, v2, v6, -v10
	v_fmac_f32_e32 v11, v3, v6
	v_add_f32_e32 v60, v60, v10
	v_mul_f32_e32 v10, v3, v9
	v_add_f32_e32 v61, v63, v11
	v_fma_f32 v10, v2, v8, -v10
	v_mul_f32_e32 v2, v2, v9
	v_fmac_f32_e32 v2, v3, v8
	v_add_f32_e32 v3, v64, v10
	ds_read_b128 v[10:13], v47 offset:4144
	v_add_f32_e32 v2, v65, v2
	s_waitcnt lgkmcnt(0)
	v_mul_f32_e32 v62, v11, v7
	v_mul_f32_e32 v7, v10, v7
	v_fma_f32 v62, v10, v6, -v62
	v_fmac_f32_e32 v7, v11, v6
	v_mul_f32_e32 v6, v11, v9
	v_add_f32_e32 v62, v66, v62
	v_add_f32_e32 v63, v67, v7
	v_mul_f32_e32 v7, v10, v9
	v_fma_f32 v6, v10, v8, -v6
	v_fmac_f32_e32 v7, v11, v8
	v_add_f32_e32 v10, v59, v6
	v_add_f32_e32 v11, v26, v7
	ds_read2_b64 v[6:9], v49 offset0:224 offset1:240
	s_waitcnt lgkmcnt(0)
	v_mul_f32_e32 v26, v5, v7
	v_mul_f32_e32 v59, v4, v7
	v_fma_f32 v26, v4, v6, -v26
	v_fmac_f32_e32 v59, v5, v6
	v_add_f32_e32 v26, v60, v26
	v_mul_f32_e32 v60, v5, v9
	v_add_f32_e32 v59, v61, v59
	v_fma_f32 v60, v4, v8, -v60
	v_mul_f32_e32 v4, v4, v9
	v_add_f32_e32 v60, v3, v60
	v_fmac_f32_e32 v4, v5, v8
	v_mul_f32_e32 v3, v12, v7
	v_add_f32_e32 v61, v2, v4
	v_mul_f32_e32 v2, v13, v7
	v_fmac_f32_e32 v3, v13, v6
	v_fma_f32 v2, v12, v6, -v2
	v_add_f32_e32 v63, v63, v3
	v_mul_f32_e32 v3, v12, v9
	v_add_f32_e32 v62, v62, v2
	v_mul_f32_e32 v2, v13, v9
	v_fmac_f32_e32 v3, v13, v8
	v_fma_f32 v2, v12, v8, -v2
	v_add_f32_e32 v65, v11, v3
	v_add_f32_e32 v64, v10, v2
	ds_read_b128 v[2:5], v47 offset:64
	ds_read2_b64 v[6:9], v56 offset1:16
	s_waitcnt lgkmcnt(0)
	v_mul_f32_e32 v10, v3, v7
	v_mul_f32_e32 v11, v2, v7
	v_fma_f32 v10, v2, v6, -v10
	v_fmac_f32_e32 v11, v3, v6
	v_add_f32_e32 v26, v26, v10
	v_mul_f32_e32 v10, v3, v9
	v_add_f32_e32 v59, v59, v11
	v_fma_f32 v10, v2, v8, -v10
	v_mul_f32_e32 v2, v2, v9
	v_fmac_f32_e32 v2, v3, v8
	v_add_f32_e32 v3, v60, v10
	ds_read_b128 v[10:13], v47 offset:4160
	v_add_f32_e32 v2, v61, v2
	s_waitcnt lgkmcnt(0)
	v_mul_f32_e32 v60, v11, v7
	v_mul_f32_e32 v7, v10, v7
	v_fma_f32 v60, v10, v6, -v60
	v_fmac_f32_e32 v7, v11, v6
	v_mul_f32_e32 v6, v11, v9
	v_add_f32_e32 v60, v62, v60
	v_add_f32_e32 v61, v63, v7
	v_mul_f32_e32 v7, v10, v9
	v_fma_f32 v6, v10, v8, -v6
	v_fmac_f32_e32 v7, v11, v8
	v_add_f32_e32 v10, v64, v6
	v_add_f32_e32 v11, v65, v7
	ds_read2_b64 v[6:9], v56 offset0:32 offset1:48
	s_waitcnt lgkmcnt(0)
	v_mul_f32_e32 v62, v5, v7
	v_mul_f32_e32 v63, v4, v7
	v_fma_f32 v62, v4, v6, -v62
	v_fmac_f32_e32 v63, v5, v6
	v_add_f32_e32 v26, v26, v62
	v_mul_f32_e32 v62, v5, v9
	v_add_f32_e32 v59, v59, v63
	v_fma_f32 v62, v4, v8, -v62
	v_mul_f32_e32 v4, v4, v9
	v_add_f32_e32 v62, v3, v62
	v_fmac_f32_e32 v4, v5, v8
	v_mul_f32_e32 v3, v12, v7
	v_add_f32_e32 v63, v2, v4
	v_mul_f32_e32 v2, v13, v7
	v_fmac_f32_e32 v3, v13, v6
	v_fma_f32 v2, v12, v6, -v2
	v_add_f32_e32 v61, v61, v3
	v_mul_f32_e32 v3, v12, v9
	v_add_f32_e32 v60, v60, v2
	v_mul_f32_e32 v2, v13, v9
	v_fmac_f32_e32 v3, v13, v8
	v_fma_f32 v2, v12, v8, -v2
	v_add_f32_e32 v65, v11, v3
	v_add_f32_e32 v64, v10, v2
	ds_read_b128 v[2:5], v47 offset:80
	ds_read2_b64 v[6:9], v56 offset0:64 offset1:80
	s_waitcnt lgkmcnt(0)
	v_mul_f32_e32 v10, v3, v7
	v_mul_f32_e32 v11, v2, v7
	v_fma_f32 v10, v2, v6, -v10
	v_fmac_f32_e32 v11, v3, v6
	v_add_f32_e32 v26, v26, v10
	v_mul_f32_e32 v10, v3, v9
	v_add_f32_e32 v59, v59, v11
	v_fma_f32 v10, v2, v8, -v10
	v_mul_f32_e32 v2, v2, v9
	v_fmac_f32_e32 v2, v3, v8
	v_add_f32_e32 v3, v62, v10
	ds_read_b128 v[10:13], v47 offset:4176
	v_add_f32_e32 v2, v63, v2
	s_waitcnt lgkmcnt(0)
	v_mul_f32_e32 v62, v11, v7
	v_mul_f32_e32 v7, v10, v7
	v_fma_f32 v62, v10, v6, -v62
	v_fmac_f32_e32 v7, v11, v6
	v_mul_f32_e32 v6, v11, v9
	v_add_f32_e32 v60, v60, v62
	v_add_f32_e32 v61, v61, v7
	v_mul_f32_e32 v7, v10, v9
	v_fma_f32 v6, v10, v8, -v6
	v_fmac_f32_e32 v7, v11, v8
	v_add_f32_e32 v10, v64, v6
	v_add_f32_e32 v11, v65, v7
	ds_read2_b64 v[6:9], v56 offset0:96 offset1:112
	s_waitcnt lgkmcnt(0)
	v_mul_f32_e32 v62, v5, v7
	v_mul_f32_e32 v63, v4, v7
	v_fma_f32 v62, v4, v6, -v62
	v_fmac_f32_e32 v63, v5, v6
	v_add_f32_e32 v26, v26, v62
	v_mul_f32_e32 v62, v5, v9
	v_add_f32_e32 v59, v59, v63
	v_fma_f32 v62, v4, v8, -v62
	v_mul_f32_e32 v4, v4, v9
	v_add_f32_e32 v62, v3, v62
	v_fmac_f32_e32 v4, v5, v8
	v_mul_f32_e32 v3, v12, v7
	v_add_f32_e32 v63, v2, v4
	v_mul_f32_e32 v2, v13, v7
	v_fmac_f32_e32 v3, v13, v6
	v_fma_f32 v2, v12, v6, -v2
	v_add_f32_e32 v61, v61, v3
	v_mul_f32_e32 v3, v12, v9
	v_add_f32_e32 v60, v60, v2
	v_mul_f32_e32 v2, v13, v9
	v_fmac_f32_e32 v3, v13, v8
	v_fma_f32 v2, v12, v8, -v2
	v_add_f32_e32 v65, v11, v3
	v_add_f32_e32 v64, v10, v2
	ds_read_b128 v[2:5], v47 offset:96
	ds_read2_b64 v[6:9], v56 offset0:128 offset1:144
	;; [unrolled: 55-line block ×3, first 2 shown]
	s_waitcnt lgkmcnt(0)
	v_mul_f32_e32 v10, v3, v7
	v_mul_f32_e32 v11, v2, v7
	v_fma_f32 v10, v2, v6, -v10
	v_fmac_f32_e32 v11, v3, v6
	v_add_f32_e32 v26, v26, v10
	v_mul_f32_e32 v10, v3, v9
	v_add_f32_e32 v59, v59, v11
	v_fma_f32 v10, v2, v8, -v10
	v_mul_f32_e32 v2, v2, v9
	v_fmac_f32_e32 v2, v3, v8
	v_add_f32_e32 v3, v62, v10
	ds_read_b128 v[10:13], v47 offset:4208
	v_add_f32_e32 v2, v63, v2
	s_waitcnt lgkmcnt(0)
	v_mul_f32_e32 v62, v11, v7
	v_mul_f32_e32 v7, v10, v7
	v_fma_f32 v62, v10, v6, -v62
	v_fmac_f32_e32 v7, v11, v6
	v_mul_f32_e32 v6, v11, v9
	v_add_f32_e32 v60, v60, v62
	v_add_f32_e32 v61, v61, v7
	v_mul_f32_e32 v7, v10, v9
	v_fma_f32 v6, v10, v8, -v6
	v_fmac_f32_e32 v7, v11, v8
	v_add_f32_e32 v10, v64, v6
	v_add_f32_e32 v11, v65, v7
	ds_read2_b64 v[6:9], v56 offset0:224 offset1:240
	s_waitcnt lgkmcnt(0)
	v_mul_f32_e32 v62, v5, v7
	v_mul_f32_e32 v63, v4, v7
	v_fma_f32 v62, v4, v6, -v62
	v_fmac_f32_e32 v63, v5, v6
	v_add_f32_e32 v26, v26, v62
	v_mul_f32_e32 v62, v5, v9
	v_add_f32_e32 v59, v59, v63
	v_fma_f32 v62, v4, v8, -v62
	v_mul_f32_e32 v4, v4, v9
	v_add_f32_e32 v62, v3, v62
	v_fmac_f32_e32 v4, v5, v8
	v_mul_f32_e32 v3, v12, v7
	v_add_f32_e32 v63, v2, v4
	v_mul_f32_e32 v2, v13, v7
	v_fmac_f32_e32 v3, v13, v6
	v_fma_f32 v2, v12, v6, -v2
	v_add_f32_e32 v61, v61, v3
	v_mul_f32_e32 v3, v12, v9
	v_add_f32_e32 v60, v60, v2
	v_mul_f32_e32 v2, v13, v9
	v_fmac_f32_e32 v3, v13, v8
	v_fma_f32 v2, v12, v8, -v2
	v_add_f32_e32 v65, v11, v3
	v_add_f32_e32 v64, v10, v2
	ds_read_b128 v[2:5], v47 offset:128
	ds_read2_b64 v[6:9], v57 offset1:16
	s_waitcnt lgkmcnt(0)
	v_mul_f32_e32 v10, v3, v7
	v_mul_f32_e32 v11, v2, v7
	v_fma_f32 v10, v2, v6, -v10
	v_fmac_f32_e32 v11, v3, v6
	v_add_f32_e32 v26, v26, v10
	v_mul_f32_e32 v10, v3, v9
	v_add_f32_e32 v59, v59, v11
	v_fma_f32 v10, v2, v8, -v10
	v_mul_f32_e32 v2, v2, v9
	v_fmac_f32_e32 v2, v3, v8
	v_add_f32_e32 v3, v62, v10
	ds_read_b128 v[10:13], v47 offset:4224
	v_add_f32_e32 v2, v63, v2
	s_waitcnt lgkmcnt(0)
	v_mul_f32_e32 v62, v11, v7
	v_mul_f32_e32 v7, v10, v7
	v_fma_f32 v62, v10, v6, -v62
	v_fmac_f32_e32 v7, v11, v6
	v_mul_f32_e32 v6, v11, v9
	v_add_f32_e32 v60, v60, v62
	v_add_f32_e32 v61, v61, v7
	v_mul_f32_e32 v7, v10, v9
	v_fma_f32 v6, v10, v8, -v6
	v_fmac_f32_e32 v7, v11, v8
	v_add_f32_e32 v10, v64, v6
	v_add_f32_e32 v11, v65, v7
	ds_read2_b64 v[6:9], v57 offset0:32 offset1:48
	s_waitcnt lgkmcnt(0)
	v_mul_f32_e32 v62, v5, v7
	v_mul_f32_e32 v63, v4, v7
	v_fma_f32 v62, v4, v6, -v62
	v_fmac_f32_e32 v63, v5, v6
	v_add_f32_e32 v26, v26, v62
	v_mul_f32_e32 v62, v5, v9
	v_add_f32_e32 v59, v59, v63
	v_fma_f32 v62, v4, v8, -v62
	v_mul_f32_e32 v4, v4, v9
	v_add_f32_e32 v62, v3, v62
	v_fmac_f32_e32 v4, v5, v8
	v_mul_f32_e32 v3, v12, v7
	v_add_f32_e32 v63, v2, v4
	v_mul_f32_e32 v2, v13, v7
	v_fmac_f32_e32 v3, v13, v6
	v_fma_f32 v2, v12, v6, -v2
	v_add_f32_e32 v61, v61, v3
	v_mul_f32_e32 v3, v12, v9
	v_add_f32_e32 v60, v60, v2
	v_mul_f32_e32 v2, v13, v9
	v_fmac_f32_e32 v3, v13, v8
	v_fma_f32 v2, v12, v8, -v2
	v_add_f32_e32 v65, v11, v3
	v_add_f32_e32 v64, v10, v2
	ds_read_b128 v[2:5], v47 offset:144
	ds_read2_b64 v[6:9], v57 offset0:64 offset1:80
	s_waitcnt lgkmcnt(0)
	v_mul_f32_e32 v10, v3, v7
	v_mul_f32_e32 v11, v2, v7
	v_fma_f32 v10, v2, v6, -v10
	v_fmac_f32_e32 v11, v3, v6
	v_add_f32_e32 v26, v26, v10
	v_mul_f32_e32 v10, v3, v9
	v_add_f32_e32 v59, v59, v11
	v_fma_f32 v10, v2, v8, -v10
	v_mul_f32_e32 v2, v2, v9
	v_fmac_f32_e32 v2, v3, v8
	v_add_f32_e32 v3, v62, v10
	ds_read_b128 v[10:13], v47 offset:4240
	v_add_f32_e32 v2, v63, v2
	s_waitcnt lgkmcnt(0)
	v_mul_f32_e32 v62, v11, v7
	v_mul_f32_e32 v7, v10, v7
	v_fma_f32 v62, v10, v6, -v62
	v_fmac_f32_e32 v7, v11, v6
	v_mul_f32_e32 v6, v11, v9
	v_add_f32_e32 v60, v60, v62
	v_add_f32_e32 v61, v61, v7
	v_mul_f32_e32 v7, v10, v9
	v_fma_f32 v6, v10, v8, -v6
	v_fmac_f32_e32 v7, v11, v8
	v_add_f32_e32 v10, v64, v6
	v_add_f32_e32 v11, v65, v7
	ds_read2_b64 v[6:9], v57 offset0:96 offset1:112
	s_waitcnt lgkmcnt(0)
	v_mul_f32_e32 v62, v5, v7
	v_mul_f32_e32 v63, v4, v7
	v_fma_f32 v62, v4, v6, -v62
	v_fmac_f32_e32 v63, v5, v6
	v_add_f32_e32 v26, v26, v62
	v_mul_f32_e32 v62, v5, v9
	v_add_f32_e32 v59, v59, v63
	v_fma_f32 v62, v4, v8, -v62
	v_mul_f32_e32 v4, v4, v9
	v_add_f32_e32 v62, v3, v62
	v_fmac_f32_e32 v4, v5, v8
	v_mul_f32_e32 v3, v12, v7
	v_add_f32_e32 v63, v2, v4
	v_mul_f32_e32 v2, v13, v7
	v_fmac_f32_e32 v3, v13, v6
	v_fma_f32 v2, v12, v6, -v2
	v_add_f32_e32 v61, v61, v3
	v_mul_f32_e32 v3, v12, v9
	v_add_f32_e32 v60, v60, v2
	v_mul_f32_e32 v2, v13, v9
	v_fmac_f32_e32 v3, v13, v8
	v_fma_f32 v2, v12, v8, -v2
	v_add_f32_e32 v65, v11, v3
	v_add_f32_e32 v64, v10, v2
	ds_read_b128 v[2:5], v47 offset:160
	ds_read2_b64 v[6:9], v57 offset0:128 offset1:144
	;; [unrolled: 55-line block ×3, first 2 shown]
	s_waitcnt lgkmcnt(0)
	v_mul_f32_e32 v10, v3, v7
	v_mul_f32_e32 v11, v2, v7
	v_fma_f32 v10, v2, v6, -v10
	v_fmac_f32_e32 v11, v3, v6
	v_add_f32_e32 v26, v26, v10
	v_mul_f32_e32 v10, v3, v9
	v_add_f32_e32 v59, v59, v11
	v_fma_f32 v10, v2, v8, -v10
	v_mul_f32_e32 v2, v2, v9
	v_fmac_f32_e32 v2, v3, v8
	v_add_f32_e32 v3, v62, v10
	ds_read_b128 v[10:13], v47 offset:4272
	v_add_f32_e32 v2, v63, v2
	s_waitcnt lgkmcnt(0)
	v_mul_f32_e32 v62, v11, v7
	v_mul_f32_e32 v7, v10, v7
	v_fma_f32 v62, v10, v6, -v62
	v_fmac_f32_e32 v7, v11, v6
	v_mul_f32_e32 v6, v11, v9
	v_add_f32_e32 v60, v60, v62
	v_add_f32_e32 v61, v61, v7
	v_mul_f32_e32 v7, v10, v9
	v_fma_f32 v6, v10, v8, -v6
	v_fmac_f32_e32 v7, v11, v8
	v_add_f32_e32 v10, v64, v6
	v_add_f32_e32 v11, v65, v7
	ds_read2_b64 v[6:9], v57 offset0:224 offset1:240
	s_waitcnt lgkmcnt(0)
	v_mul_f32_e32 v62, v5, v7
	v_mul_f32_e32 v63, v4, v7
	v_fma_f32 v62, v4, v6, -v62
	v_fmac_f32_e32 v63, v5, v6
	v_add_f32_e32 v26, v26, v62
	v_mul_f32_e32 v62, v5, v9
	v_add_f32_e32 v59, v59, v63
	v_fma_f32 v62, v4, v8, -v62
	v_mul_f32_e32 v4, v4, v9
	v_add_f32_e32 v62, v3, v62
	v_fmac_f32_e32 v4, v5, v8
	v_mul_f32_e32 v3, v12, v7
	v_add_f32_e32 v63, v2, v4
	v_mul_f32_e32 v2, v13, v7
	v_fmac_f32_e32 v3, v13, v6
	v_fma_f32 v2, v12, v6, -v2
	v_add_f32_e32 v61, v61, v3
	v_mul_f32_e32 v3, v12, v9
	v_add_f32_e32 v60, v60, v2
	v_mul_f32_e32 v2, v13, v9
	v_fmac_f32_e32 v3, v13, v8
	v_fma_f32 v2, v12, v8, -v2
	v_add_f32_e32 v65, v11, v3
	v_add_f32_e32 v64, v10, v2
	ds_read_b128 v[2:5], v47 offset:192
	ds_read2_b64 v[6:9], v58 offset1:16
	s_waitcnt lgkmcnt(0)
	v_mul_f32_e32 v10, v3, v7
	v_mul_f32_e32 v11, v2, v7
	v_fma_f32 v10, v2, v6, -v10
	v_fmac_f32_e32 v11, v3, v6
	v_add_f32_e32 v26, v26, v10
	v_mul_f32_e32 v10, v3, v9
	v_add_f32_e32 v59, v59, v11
	v_fma_f32 v10, v2, v8, -v10
	v_mul_f32_e32 v2, v2, v9
	v_fmac_f32_e32 v2, v3, v8
	v_add_f32_e32 v3, v62, v10
	ds_read_b128 v[10:13], v47 offset:4288
	v_add_f32_e32 v2, v63, v2
	s_waitcnt lgkmcnt(0)
	v_mul_f32_e32 v62, v11, v7
	v_mul_f32_e32 v7, v10, v7
	v_fma_f32 v62, v10, v6, -v62
	v_fmac_f32_e32 v7, v11, v6
	v_mul_f32_e32 v6, v11, v9
	v_add_f32_e32 v60, v60, v62
	v_add_f32_e32 v61, v61, v7
	v_mul_f32_e32 v7, v10, v9
	v_fma_f32 v6, v10, v8, -v6
	v_fmac_f32_e32 v7, v11, v8
	v_add_f32_e32 v10, v64, v6
	v_add_f32_e32 v11, v65, v7
	ds_read2_b64 v[6:9], v58 offset0:32 offset1:48
	s_waitcnt lgkmcnt(0)
	v_mul_f32_e32 v62, v5, v7
	v_mul_f32_e32 v63, v4, v7
	v_fma_f32 v62, v4, v6, -v62
	v_fmac_f32_e32 v63, v5, v6
	v_add_f32_e32 v26, v26, v62
	v_mul_f32_e32 v62, v5, v9
	v_add_f32_e32 v59, v59, v63
	v_fma_f32 v62, v4, v8, -v62
	v_mul_f32_e32 v4, v4, v9
	v_add_f32_e32 v62, v3, v62
	v_fmac_f32_e32 v4, v5, v8
	v_mul_f32_e32 v3, v12, v7
	v_add_f32_e32 v63, v2, v4
	v_mul_f32_e32 v2, v13, v7
	v_fmac_f32_e32 v3, v13, v6
	v_fma_f32 v2, v12, v6, -v2
	v_add_f32_e32 v61, v61, v3
	v_mul_f32_e32 v3, v12, v9
	v_add_f32_e32 v60, v60, v2
	v_mul_f32_e32 v2, v13, v9
	v_fmac_f32_e32 v3, v13, v8
	v_fma_f32 v2, v12, v8, -v2
	v_add_f32_e32 v65, v11, v3
	v_add_f32_e32 v64, v10, v2
	ds_read_b128 v[2:5], v47 offset:208
	ds_read2_b64 v[6:9], v58 offset0:64 offset1:80
	s_waitcnt lgkmcnt(0)
	v_mul_f32_e32 v10, v3, v7
	v_mul_f32_e32 v11, v2, v7
	v_fma_f32 v10, v2, v6, -v10
	v_fmac_f32_e32 v11, v3, v6
	v_add_f32_e32 v26, v26, v10
	v_mul_f32_e32 v10, v3, v9
	v_add_f32_e32 v59, v59, v11
	v_fma_f32 v10, v2, v8, -v10
	v_mul_f32_e32 v2, v2, v9
	v_fmac_f32_e32 v2, v3, v8
	v_add_f32_e32 v3, v62, v10
	ds_read_b128 v[10:13], v47 offset:4304
	v_add_f32_e32 v2, v63, v2
	s_waitcnt lgkmcnt(0)
	v_mul_f32_e32 v62, v11, v7
	v_mul_f32_e32 v7, v10, v7
	v_fma_f32 v62, v10, v6, -v62
	v_fmac_f32_e32 v7, v11, v6
	v_mul_f32_e32 v6, v11, v9
	v_add_f32_e32 v60, v60, v62
	v_add_f32_e32 v61, v61, v7
	v_mul_f32_e32 v7, v10, v9
	v_fma_f32 v6, v10, v8, -v6
	v_fmac_f32_e32 v7, v11, v8
	v_add_f32_e32 v10, v64, v6
	v_add_f32_e32 v11, v65, v7
	ds_read2_b64 v[6:9], v58 offset0:96 offset1:112
	s_waitcnt lgkmcnt(0)
	v_mul_f32_e32 v62, v5, v7
	v_mul_f32_e32 v63, v4, v7
	v_fma_f32 v62, v4, v6, -v62
	v_fmac_f32_e32 v63, v5, v6
	v_add_f32_e32 v26, v26, v62
	v_mul_f32_e32 v62, v5, v9
	v_add_f32_e32 v59, v59, v63
	v_fma_f32 v62, v4, v8, -v62
	v_mul_f32_e32 v4, v4, v9
	v_add_f32_e32 v62, v3, v62
	v_fmac_f32_e32 v4, v5, v8
	v_mul_f32_e32 v3, v12, v7
	v_add_f32_e32 v63, v2, v4
	v_mul_f32_e32 v2, v13, v7
	v_fmac_f32_e32 v3, v13, v6
	v_fma_f32 v2, v12, v6, -v2
	v_add_f32_e32 v61, v61, v3
	v_mul_f32_e32 v3, v12, v9
	v_add_f32_e32 v60, v60, v2
	v_mul_f32_e32 v2, v13, v9
	v_fmac_f32_e32 v3, v13, v8
	v_fma_f32 v2, v12, v8, -v2
	v_add_f32_e32 v65, v11, v3
	v_add_f32_e32 v64, v10, v2
	ds_read_b128 v[2:5], v47 offset:224
	ds_read2_b64 v[6:9], v58 offset0:128 offset1:144
	;; [unrolled: 55-line block ×3, first 2 shown]
	s_waitcnt lgkmcnt(0)
	v_mul_f32_e32 v10, v3, v7
	v_mul_f32_e32 v11, v2, v7
	v_fma_f32 v10, v2, v6, -v10
	v_fmac_f32_e32 v11, v3, v6
	v_add_f32_e32 v26, v26, v10
	v_mul_f32_e32 v10, v3, v9
	v_add_f32_e32 v59, v59, v11
	v_fma_f32 v10, v2, v8, -v10
	v_mul_f32_e32 v2, v2, v9
	v_fmac_f32_e32 v2, v3, v8
	v_add_f32_e32 v3, v62, v10
	ds_read_b128 v[10:13], v47 offset:4336
	v_add_f32_e32 v2, v63, v2
	s_waitcnt lgkmcnt(0)
	v_mul_f32_e32 v62, v11, v7
	v_mul_f32_e32 v7, v10, v7
	v_fma_f32 v62, v10, v6, -v62
	v_fmac_f32_e32 v7, v11, v6
	v_mul_f32_e32 v6, v11, v9
	v_add_f32_e32 v60, v60, v62
	v_add_f32_e32 v61, v61, v7
	v_mul_f32_e32 v7, v10, v9
	v_fma_f32 v6, v10, v8, -v6
	v_fmac_f32_e32 v7, v11, v8
	v_add_f32_e32 v10, v64, v6
	v_add_f32_e32 v11, v65, v7
	ds_read2_b64 v[6:9], v58 offset0:224 offset1:240
	s_waitcnt lgkmcnt(0)
	s_barrier
	buffer_gl0_inv
	v_mul_f32_e32 v62, v5, v7
	v_mul_f32_e32 v63, v4, v7
	v_fma_f32 v62, v4, v6, -v62
	v_fmac_f32_e32 v63, v5, v6
	v_add_f32_e32 v64, v26, v62
	v_mul_f32_e32 v26, v5, v9
	v_add_f32_e32 v65, v59, v63
	v_fma_f32 v26, v4, v8, -v26
	v_mul_f32_e32 v4, v4, v9
	v_add_f32_e32 v62, v3, v26
	v_fmac_f32_e32 v4, v5, v8
	v_mul_f32_e32 v3, v12, v7
	v_add_f32_e32 v63, v2, v4
	v_mul_f32_e32 v2, v13, v7
	v_fmac_f32_e32 v3, v13, v6
	v_fma_f32 v2, v12, v6, -v2
	v_add_f32_e32 v61, v61, v3
	v_mul_f32_e32 v3, v12, v9
	v_add_f32_e32 v60, v60, v2
	v_mul_f32_e32 v2, v13, v9
	v_fmac_f32_e32 v3, v13, v8
	v_fma_f32 v2, v12, v8, -v2
	v_add_f32_e32 v26, v11, v3
	v_add_f32_e32 v59, v10, v2
	s_cbranch_scc1 .LBB92_55
.LBB92_7:                               ;   Parent Loop BB92_4 Depth=1
                                        ; =>  This Inner Loop Header: Depth=2
	v_add_co_u32 v2, s5, v0, s12
	v_add_co_ci_u32_e64 v3, null, 0, s13, s5
	v_cmp_eq_u64_e64 s8, s[12:13], v[33:34]
	v_cmp_gt_i64_e64 s5, v[2:3], v[29:30]
	v_cmp_le_i64_e64 s6, s[14:15], v[2:3]
	s_and_b32 s20, s30, s8
	v_add_co_u32 v4, s8, v43, v35
	s_or_b32 s9, s3, s5
	v_add_co_ci_u32_e64 v5, null, v44, v36, s8
	s_or_b32 s8, s9, s20
	s_nor_b32 s8, s6, s8
	s_and_saveexec_b32 s9, s8
	s_xor_b32 s8, exec_lo, s9
	s_cbranch_execz .LBB92_9
; %bb.8:                                ;   in Loop: Header=BB92_7 Depth=2
	global_load_dwordx2 v[6:7], v[4:5], off
	s_waitcnt vmcnt(0)
	v_xor_b32_e32 v7, 0x80000000, v7
	ds_write_b64 v48, v[6:7]
.LBB92_9:                               ;   in Loop: Header=BB92_7 Depth=2
	s_or_saveexec_b32 s8, s8
	s_xor_b32 s17, s20, -1
	s_xor_b32 exec_lo, exec_lo, s8
	s_cbranch_execz .LBB92_15
; %bb.10:                               ;   in Loop: Header=BB92_7 Depth=2
	s_and_saveexec_b32 s9, s17
	s_xor_b32 s9, exec_lo, s9
; %bb.11:                               ;   in Loop: Header=BB92_7 Depth=2
	v_mov_b32_e32 v6, v15
	v_mov_b32_e32 v7, v15
	ds_write_b64 v48, v[6:7]
; %bb.12:                               ;   in Loop: Header=BB92_7 Depth=2
	s_andn2_saveexec_b32 s9, s9
; %bb.13:                               ;   in Loop: Header=BB92_7 Depth=2
	ds_write_b64 v48, v[14:15]
; %bb.14:                               ;   in Loop: Header=BB92_7 Depth=2
	s_or_b32 exec_lo, exec_lo, s9
.LBB92_15:                              ;   in Loop: Header=BB92_7 Depth=2
	s_or_b32 exec_lo, exec_lo, s8
	v_add_co_u32 v6, s8, v2, 16
	v_add_co_ci_u32_e64 v7, null, 0, v3, s8
	v_cmp_eq_u64_e64 s9, s[12:13], v[39:40]
	v_cmp_gt_i64_e64 s10, v[6:7], v[29:30]
	v_cmp_le_i64_e64 s8, s[14:15], v[6:7]
	s_and_b32 s21, s30, s9
	s_or_b32 s9, s3, s10
	s_or_b32 s9, s9, s21
	s_nor_b32 s9, s8, s9
	s_and_saveexec_b32 s10, s9
	s_xor_b32 s10, exec_lo, s10
	s_cbranch_execz .LBB92_17
; %bb.16:                               ;   in Loop: Header=BB92_7 Depth=2
	v_add_co_u32 v6, s9, v45, v35
	v_add_co_ci_u32_e64 v7, null, v46, v36, s9
	global_load_dwordx2 v[6:7], v[6:7], off
	s_waitcnt vmcnt(0)
	v_xor_b32_e32 v7, 0x80000000, v7
	ds_write_b64 v48, v[6:7] offset:128
.LBB92_17:                              ;   in Loop: Header=BB92_7 Depth=2
	s_andn2_saveexec_b32 s9, s10
	s_cbranch_execz .LBB92_23
; %bb.18:                               ;   in Loop: Header=BB92_7 Depth=2
	s_xor_b32 s10, s21, -1
	s_and_saveexec_b32 s21, s10
	s_xor_b32 s10, exec_lo, s21
; %bb.19:                               ;   in Loop: Header=BB92_7 Depth=2
	v_mov_b32_e32 v6, v15
	v_mov_b32_e32 v7, v15
	ds_write_b64 v48, v[6:7] offset:128
; %bb.20:                               ;   in Loop: Header=BB92_7 Depth=2
	s_andn2_saveexec_b32 s10, s10
; %bb.21:                               ;   in Loop: Header=BB92_7 Depth=2
	ds_write_b64 v48, v[14:15] offset:128
; %bb.22:                               ;   in Loop: Header=BB92_7 Depth=2
	s_or_b32 exec_lo, exec_lo, s10
.LBB92_23:                              ;   in Loop: Header=BB92_7 Depth=2
	s_or_b32 exec_lo, exec_lo, s9
	v_cmp_eq_u64_e64 s9, s[12:13], v[37:38]
	v_cmp_gt_i64_e64 s10, v[2:3], v[31:32]
	s_and_b32 s9, s30, s9
	s_or_b32 s10, s4, s10
	s_or_b32 s10, s10, s9
	s_nor_b32 s6, s6, s10
	s_and_saveexec_b32 s10, s6
	s_xor_b32 s6, exec_lo, s10
	s_cbranch_execz .LBB92_25
; %bb.24:                               ;   in Loop: Header=BB92_7 Depth=2
	global_load_dwordx2 v[2:3], v[4:5], off offset:128
	s_waitcnt vmcnt(0)
	v_xor_b32_e32 v3, 0x80000000, v3
	ds_write_b64 v48, v[2:3] offset:4096
.LBB92_25:                              ;   in Loop: Header=BB92_7 Depth=2
	s_andn2_saveexec_b32 s6, s6
	s_cbranch_execz .LBB92_31
; %bb.26:                               ;   in Loop: Header=BB92_7 Depth=2
	s_xor_b32 s9, s9, -1
	s_and_saveexec_b32 s10, s9
	s_xor_b32 s9, exec_lo, s10
; %bb.27:                               ;   in Loop: Header=BB92_7 Depth=2
	v_mov_b32_e32 v2, v15
	v_mov_b32_e32 v3, v15
	ds_write_b64 v48, v[2:3] offset:4096
; %bb.28:                               ;   in Loop: Header=BB92_7 Depth=2
	s_andn2_saveexec_b32 s9, s9
; %bb.29:                               ;   in Loop: Header=BB92_7 Depth=2
	ds_write_b64 v48, v[14:15] offset:4096
; %bb.30:                               ;   in Loop: Header=BB92_7 Depth=2
	s_or_b32 exec_lo, exec_lo, s9
.LBB92_31:                              ;   in Loop: Header=BB92_7 Depth=2
	s_or_b32 exec_lo, exec_lo, s6
	s_or_b32 s5, s4, s5
	s_or_b32 s5, s5, s20
	s_nor_b32 s5, s8, s5
	s_and_saveexec_b32 s6, s5
	s_xor_b32 s6, exec_lo, s6
	s_cbranch_execz .LBB92_33
; %bb.32:                               ;   in Loop: Header=BB92_7 Depth=2
	v_add_co_u32 v2, s5, v45, v35
	v_add_co_ci_u32_e64 v3, null, v46, v36, s5
	global_load_dwordx2 v[2:3], v[2:3], off offset:128
	s_waitcnt vmcnt(0)
	v_xor_b32_e32 v3, 0x80000000, v3
	ds_write_b64 v48, v[2:3] offset:4224
.LBB92_33:                              ;   in Loop: Header=BB92_7 Depth=2
	s_andn2_saveexec_b32 s5, s6
	s_cbranch_execz .LBB92_39
; %bb.34:                               ;   in Loop: Header=BB92_7 Depth=2
	s_and_saveexec_b32 s6, s17
	s_xor_b32 s6, exec_lo, s6
; %bb.35:                               ;   in Loop: Header=BB92_7 Depth=2
	v_mov_b32_e32 v2, v15
	v_mov_b32_e32 v3, v15
	ds_write_b64 v48, v[2:3] offset:4224
; %bb.36:                               ;   in Loop: Header=BB92_7 Depth=2
	s_andn2_saveexec_b32 s6, s6
; %bb.37:                               ;   in Loop: Header=BB92_7 Depth=2
	ds_write_b64 v48, v[14:15] offset:4224
; %bb.38:                               ;   in Loop: Header=BB92_7 Depth=2
	s_or_b32 exec_lo, exec_lo, s6
.LBB92_39:                              ;   in Loop: Header=BB92_7 Depth=2
	s_or_b32 exec_lo, exec_lo, s5
	v_add_co_u32 v2, s5, v1, s12
	v_add_co_ci_u32_e64 v3, null, 0, s13, s5
	v_add_co_u32 v4, s6, v41, v53
	v_add_co_ci_u32_e64 v5, null, v42, v54, s6
	v_cmp_le_i64_e64 s5, s[14:15], v[2:3]
	s_nor_b32 s6, s5, vcc_lo
	s_and_saveexec_b32 s8, s6
	s_xor_b32 s6, exec_lo, s8
	s_cbranch_execz .LBB92_41
; %bb.40:                               ;   in Loop: Header=BB92_7 Depth=2
	global_load_dwordx2 v[6:7], v[4:5], off offset:-128
	s_waitcnt vmcnt(0)
	ds_write_b64 v50, v[6:7]
.LBB92_41:                              ;   in Loop: Header=BB92_7 Depth=2
	s_andn2_saveexec_b32 s6, s6
; %bb.42:                               ;   in Loop: Header=BB92_7 Depth=2
	v_mov_b32_e32 v6, v15
	v_mov_b32_e32 v7, v15
	ds_write_b64 v50, v[6:7]
; %bb.43:                               ;   in Loop: Header=BB92_7 Depth=2
	s_or_b32 exec_lo, exec_lo, s6
	s_nor_b32 s5, s5, s0
	s_and_saveexec_b32 s6, s5
	s_xor_b32 s5, exec_lo, s6
	s_cbranch_execz .LBB92_45
; %bb.44:                               ;   in Loop: Header=BB92_7 Depth=2
	global_load_dwordx2 v[4:5], v[4:5], off
	s_waitcnt vmcnt(0)
	ds_write_b64 v50, v[4:5] offset:128
.LBB92_45:                              ;   in Loop: Header=BB92_7 Depth=2
	s_andn2_saveexec_b32 s5, s5
; %bb.46:                               ;   in Loop: Header=BB92_7 Depth=2
	v_mov_b32_e32 v4, v15
	v_mov_b32_e32 v5, v15
	ds_write_b64 v50, v[4:5] offset:128
; %bb.47:                               ;   in Loop: Header=BB92_7 Depth=2
	s_or_b32 exec_lo, exec_lo, s5
	v_cmp_le_i64_e64 s5, s[24:25], v[2:3]
	v_add_co_u32 v2, s6, v41, v24
	v_add_co_ci_u32_e64 v3, null, v42, v55, s6
	s_nor_b32 s6, s5, vcc_lo
	s_and_saveexec_b32 s8, s6
	s_xor_b32 s6, exec_lo, s8
	s_cbranch_execz .LBB92_49
; %bb.48:                               ;   in Loop: Header=BB92_7 Depth=2
	global_load_dwordx2 v[4:5], v[2:3], off
	s_waitcnt vmcnt(0)
	ds_write_b64 v50, v[4:5] offset:4096
.LBB92_49:                              ;   in Loop: Header=BB92_7 Depth=2
	s_andn2_saveexec_b32 s6, s6
; %bb.50:                               ;   in Loop: Header=BB92_7 Depth=2
	v_mov_b32_e32 v4, v15
	v_mov_b32_e32 v5, v15
	ds_write_b64 v50, v[4:5] offset:4096
; %bb.51:                               ;   in Loop: Header=BB92_7 Depth=2
	s_or_b32 exec_lo, exec_lo, s6
	s_nor_b32 s5, s5, s0
	s_and_saveexec_b32 s6, s5
	s_xor_b32 s5, exec_lo, s6
	s_cbranch_execz .LBB92_53
; %bb.52:                               ;   in Loop: Header=BB92_7 Depth=2
	global_load_dwordx2 v[2:3], v[2:3], off offset:128
	s_waitcnt vmcnt(0)
	ds_write_b64 v50, v[2:3] offset:4224
.LBB92_53:                              ;   in Loop: Header=BB92_7 Depth=2
	s_andn2_saveexec_b32 s5, s5
	s_cbranch_execz .LBB92_6
; %bb.54:                               ;   in Loop: Header=BB92_7 Depth=2
	v_mov_b32_e32 v2, v15
	v_mov_b32_e32 v3, v15
	ds_write_b64 v50, v[2:3] offset:4224
	s_branch .LBB92_6
.LBB92_55:                              ;   in Loop: Header=BB92_4 Depth=1
	v_mul_lo_u32 v4, s29, v29
	v_mul_lo_u32 v5, s28, v30
	v_mad_u64_u32 v[2:3], null, s28, v29, 0
	v_cmp_gt_i32_e64 s3, s14, v29
	v_add3_u32 v3, v3, v5, v4
	v_lshlrev_b64 v[2:3], 3, v[2:3]
	v_add_co_u32 v2, s4, s26, v2
	v_add_co_ci_u32_e64 v3, null, s27, v3, s4
	s_and_b32 s4, s1, s3
	s_and_saveexec_b32 s5, s4
	s_cbranch_execz .LBB92_57
; %bb.56:                               ;   in Loop: Header=BB92_4 Depth=1
	v_add_co_u32 v4, s4, v2, v16
	v_add_co_ci_u32_e64 v5, null, v3, v17, s4
	v_mul_f32_e32 v8, s35, v65
	v_mul_f32_e32 v9, s34, v65
	global_load_dwordx2 v[6:7], v[4:5], off
	v_fma_f32 v8, v64, s34, -v8
	v_fmac_f32_e32 v9, s35, v64
	s_waitcnt vmcnt(0)
	v_add_f32_e32 v6, v6, v8
	v_add_f32_e32 v7, v9, v7
	global_store_dwordx2 v[4:5], v[6:7], off
.LBB92_57:                              ;   in Loop: Header=BB92_4 Depth=1
	s_or_b32 exec_lo, exec_lo, s5
	s_and_b32 s3, s2, s3
	s_and_saveexec_b32 s4, s3
	s_cbranch_execz .LBB92_59
; %bb.58:                               ;   in Loop: Header=BB92_4 Depth=1
	v_add_co_u32 v2, s3, v2, v27
	v_add_co_ci_u32_e64 v3, null, v3, v28, s3
	v_mul_f32_e32 v6, s35, v63
	v_mul_f32_e32 v7, s34, v63
	global_load_dwordx2 v[4:5], v[2:3], off
	v_fma_f32 v6, v62, s34, -v6
	v_fmac_f32_e32 v7, s35, v62
	s_waitcnt vmcnt(0)
	v_add_f32_e32 v4, v4, v6
	v_add_f32_e32 v5, v7, v5
	global_store_dwordx2 v[2:3], v[4:5], off
.LBB92_59:                              ;   in Loop: Header=BB92_4 Depth=1
	s_or_b32 exec_lo, exec_lo, s4
	v_add_nc_u32_e32 v4, 16, v29
	v_ashrrev_i32_e32 v5, 31, v4
	v_mul_lo_u32 v6, s29, v4
	v_mad_u64_u32 v[2:3], null, s28, v4, 0
	v_cmp_gt_i32_e64 s3, s14, v4
	v_mul_lo_u32 v5, s28, v5
	v_add3_u32 v3, v3, v5, v6
	v_lshlrev_b64 v[2:3], 3, v[2:3]
	v_add_co_u32 v2, s4, s26, v2
	v_add_co_ci_u32_e64 v3, null, s27, v3, s4
	s_and_b32 s4, s1, s3
	s_and_saveexec_b32 s5, s4
	s_cbranch_execz .LBB92_61
; %bb.60:                               ;   in Loop: Header=BB92_4 Depth=1
	v_add_co_u32 v4, s4, v2, v16
	v_add_co_ci_u32_e64 v5, null, v3, v17, s4
	v_mul_f32_e32 v8, s35, v61
	v_mul_f32_e32 v9, s34, v61
	global_load_dwordx2 v[6:7], v[4:5], off
	v_fma_f32 v8, v60, s34, -v8
	v_fmac_f32_e32 v9, s35, v60
	s_waitcnt vmcnt(0)
	v_add_f32_e32 v6, v6, v8
	v_add_f32_e32 v7, v9, v7
	global_store_dwordx2 v[4:5], v[6:7], off
.LBB92_61:                              ;   in Loop: Header=BB92_4 Depth=1
	s_or_b32 exec_lo, exec_lo, s5
	s_and_b32 s3, s2, s3
	s_and_saveexec_b32 s4, s3
	s_cbranch_execz .LBB92_3
; %bb.62:                               ;   in Loop: Header=BB92_4 Depth=1
	v_add_co_u32 v2, s3, v2, v27
	v_add_co_ci_u32_e64 v3, null, v3, v28, s3
	v_mul_f32_e32 v6, s35, v26
	v_mul_f32_e32 v7, s34, v26
	global_load_dwordx2 v[4:5], v[2:3], off
	v_fma_f32 v6, v59, s34, -v6
	v_fmac_f32_e32 v7, s35, v59
	s_waitcnt vmcnt(0)
	v_add_f32_e32 v4, v4, v6
	v_add_f32_e32 v5, v7, v5
	global_store_dwordx2 v[2:3], v[4:5], off
	s_branch .LBB92_3
.LBB92_63:
	s_endpgm
	.section	.rodata,"a",@progbits
	.p2align	6, 0x0
	.amdhsa_kernel _ZL30rocblas_trmm_outofplace_kernelI19rocblas_complex_numIfELi32ELi2ELb0ELb0ELb1ELb1EPKS1_S2_S1_Ev17rocblas_diagonal_iiT6_lPT7_lllS7_lllPT8_llli
		.amdhsa_group_segment_fixed_size 16384
		.amdhsa_private_segment_fixed_size 0
		.amdhsa_kernarg_size 392
		.amdhsa_user_sgpr_count 6
		.amdhsa_user_sgpr_private_segment_buffer 1
		.amdhsa_user_sgpr_dispatch_ptr 0
		.amdhsa_user_sgpr_queue_ptr 0
		.amdhsa_user_sgpr_kernarg_segment_ptr 1
		.amdhsa_user_sgpr_dispatch_id 0
		.amdhsa_user_sgpr_flat_scratch_init 0
		.amdhsa_user_sgpr_private_segment_size 0
		.amdhsa_wavefront_size32 1
		.amdhsa_uses_dynamic_stack 0
		.amdhsa_system_sgpr_private_segment_wavefront_offset 0
		.amdhsa_system_sgpr_workgroup_id_x 1
		.amdhsa_system_sgpr_workgroup_id_y 1
		.amdhsa_system_sgpr_workgroup_id_z 1
		.amdhsa_system_sgpr_workgroup_info 0
		.amdhsa_system_vgpr_workitem_id 1
		.amdhsa_next_free_vgpr 77
		.amdhsa_next_free_sgpr 44
		.amdhsa_reserve_vcc 1
		.amdhsa_reserve_flat_scratch 0
		.amdhsa_float_round_mode_32 0
		.amdhsa_float_round_mode_16_64 0
		.amdhsa_float_denorm_mode_32 3
		.amdhsa_float_denorm_mode_16_64 3
		.amdhsa_dx10_clamp 1
		.amdhsa_ieee_mode 1
		.amdhsa_fp16_overflow 0
		.amdhsa_workgroup_processor_mode 1
		.amdhsa_memory_ordered 1
		.amdhsa_forward_progress 1
		.amdhsa_shared_vgpr_count 0
		.amdhsa_exception_fp_ieee_invalid_op 0
		.amdhsa_exception_fp_denorm_src 0
		.amdhsa_exception_fp_ieee_div_zero 0
		.amdhsa_exception_fp_ieee_overflow 0
		.amdhsa_exception_fp_ieee_underflow 0
		.amdhsa_exception_fp_ieee_inexact 0
		.amdhsa_exception_int_div_zero 0
	.end_amdhsa_kernel
	.section	.text._ZL30rocblas_trmm_outofplace_kernelI19rocblas_complex_numIfELi32ELi2ELb0ELb0ELb1ELb1EPKS1_S2_S1_Ev17rocblas_diagonal_iiT6_lPT7_lllS7_lllPT8_llli,"axG",@progbits,_ZL30rocblas_trmm_outofplace_kernelI19rocblas_complex_numIfELi32ELi2ELb0ELb0ELb1ELb1EPKS1_S2_S1_Ev17rocblas_diagonal_iiT6_lPT7_lllS7_lllPT8_llli,comdat
.Lfunc_end92:
	.size	_ZL30rocblas_trmm_outofplace_kernelI19rocblas_complex_numIfELi32ELi2ELb0ELb0ELb1ELb1EPKS1_S2_S1_Ev17rocblas_diagonal_iiT6_lPT7_lllS7_lllPT8_llli, .Lfunc_end92-_ZL30rocblas_trmm_outofplace_kernelI19rocblas_complex_numIfELi32ELi2ELb0ELb0ELb1ELb1EPKS1_S2_S1_Ev17rocblas_diagonal_iiT6_lPT7_lllS7_lllPT8_llli
                                        ; -- End function
	.set _ZL30rocblas_trmm_outofplace_kernelI19rocblas_complex_numIfELi32ELi2ELb0ELb0ELb1ELb1EPKS1_S2_S1_Ev17rocblas_diagonal_iiT6_lPT7_lllS7_lllPT8_llli.num_vgpr, 77
	.set _ZL30rocblas_trmm_outofplace_kernelI19rocblas_complex_numIfELi32ELi2ELb0ELb0ELb1ELb1EPKS1_S2_S1_Ev17rocblas_diagonal_iiT6_lPT7_lllS7_lllPT8_llli.num_agpr, 0
	.set _ZL30rocblas_trmm_outofplace_kernelI19rocblas_complex_numIfELi32ELi2ELb0ELb0ELb1ELb1EPKS1_S2_S1_Ev17rocblas_diagonal_iiT6_lPT7_lllS7_lllPT8_llli.numbered_sgpr, 44
	.set _ZL30rocblas_trmm_outofplace_kernelI19rocblas_complex_numIfELi32ELi2ELb0ELb0ELb1ELb1EPKS1_S2_S1_Ev17rocblas_diagonal_iiT6_lPT7_lllS7_lllPT8_llli.num_named_barrier, 0
	.set _ZL30rocblas_trmm_outofplace_kernelI19rocblas_complex_numIfELi32ELi2ELb0ELb0ELb1ELb1EPKS1_S2_S1_Ev17rocblas_diagonal_iiT6_lPT7_lllS7_lllPT8_llli.private_seg_size, 0
	.set _ZL30rocblas_trmm_outofplace_kernelI19rocblas_complex_numIfELi32ELi2ELb0ELb0ELb1ELb1EPKS1_S2_S1_Ev17rocblas_diagonal_iiT6_lPT7_lllS7_lllPT8_llli.uses_vcc, 1
	.set _ZL30rocblas_trmm_outofplace_kernelI19rocblas_complex_numIfELi32ELi2ELb0ELb0ELb1ELb1EPKS1_S2_S1_Ev17rocblas_diagonal_iiT6_lPT7_lllS7_lllPT8_llli.uses_flat_scratch, 0
	.set _ZL30rocblas_trmm_outofplace_kernelI19rocblas_complex_numIfELi32ELi2ELb0ELb0ELb1ELb1EPKS1_S2_S1_Ev17rocblas_diagonal_iiT6_lPT7_lllS7_lllPT8_llli.has_dyn_sized_stack, 0
	.set _ZL30rocblas_trmm_outofplace_kernelI19rocblas_complex_numIfELi32ELi2ELb0ELb0ELb1ELb1EPKS1_S2_S1_Ev17rocblas_diagonal_iiT6_lPT7_lllS7_lllPT8_llli.has_recursion, 0
	.set _ZL30rocblas_trmm_outofplace_kernelI19rocblas_complex_numIfELi32ELi2ELb0ELb0ELb1ELb1EPKS1_S2_S1_Ev17rocblas_diagonal_iiT6_lPT7_lllS7_lllPT8_llli.has_indirect_call, 0
	.section	.AMDGPU.csdata,"",@progbits
; Kernel info:
; codeLenInByte = 6620
; TotalNumSgprs: 46
; NumVgprs: 77
; ScratchSize: 0
; MemoryBound: 0
; FloatMode: 240
; IeeeMode: 1
; LDSByteSize: 16384 bytes/workgroup (compile time only)
; SGPRBlocks: 0
; VGPRBlocks: 9
; NumSGPRsForWavesPerEU: 46
; NumVGPRsForWavesPerEU: 77
; Occupancy: 12
; WaveLimiterHint : 0
; COMPUTE_PGM_RSRC2:SCRATCH_EN: 0
; COMPUTE_PGM_RSRC2:USER_SGPR: 6
; COMPUTE_PGM_RSRC2:TRAP_HANDLER: 0
; COMPUTE_PGM_RSRC2:TGID_X_EN: 1
; COMPUTE_PGM_RSRC2:TGID_Y_EN: 1
; COMPUTE_PGM_RSRC2:TGID_Z_EN: 1
; COMPUTE_PGM_RSRC2:TIDIG_COMP_CNT: 1
	.section	.text._ZL30rocblas_trmm_outofplace_kernelI19rocblas_complex_numIfELi32ELi2ELb0ELb0ELb1ELb1ES1_KS1_S1_Ev17rocblas_diagonal_iiT6_lPT7_lllS6_lllPT8_llli,"axG",@progbits,_ZL30rocblas_trmm_outofplace_kernelI19rocblas_complex_numIfELi32ELi2ELb0ELb0ELb1ELb1ES1_KS1_S1_Ev17rocblas_diagonal_iiT6_lPT7_lllS6_lllPT8_llli,comdat
	.globl	_ZL30rocblas_trmm_outofplace_kernelI19rocblas_complex_numIfELi32ELi2ELb0ELb0ELb1ELb1ES1_KS1_S1_Ev17rocblas_diagonal_iiT6_lPT7_lllS6_lllPT8_llli ; -- Begin function _ZL30rocblas_trmm_outofplace_kernelI19rocblas_complex_numIfELi32ELi2ELb0ELb0ELb1ELb1ES1_KS1_S1_Ev17rocblas_diagonal_iiT6_lPT7_lllS6_lllPT8_llli
	.p2align	8
	.type	_ZL30rocblas_trmm_outofplace_kernelI19rocblas_complex_numIfELi32ELi2ELb0ELb0ELb1ELb1ES1_KS1_S1_Ev17rocblas_diagonal_iiT6_lPT7_lllS6_lllPT8_llli,@function
_ZL30rocblas_trmm_outofplace_kernelI19rocblas_complex_numIfELi32ELi2ELb0ELb0ELb1ELb1ES1_KS1_S1_Ev17rocblas_diagonal_iiT6_lPT7_lllS6_lllPT8_llli: ; @_ZL30rocblas_trmm_outofplace_kernelI19rocblas_complex_numIfELi32ELi2ELb0ELb0ELb1ELb1ES1_KS1_S1_Ev17rocblas_diagonal_iiT6_lPT7_lllS6_lllPT8_llli
; %bb.0:
	s_clause 0x1
	s_load_dwordx4 s[28:31], s[4:5], 0x0
	s_load_dword s11, s[4:5], 0x10
	s_waitcnt lgkmcnt(0)
	s_or_b32 s0, s31, s11
	s_bitset0_b32 s0, 31
	s_cmp_eq_u32 s0, 0
	s_cbranch_scc1 .LBB93_63
; %bb.1:
	s_add_i32 s0, s30, -1
	s_ashr_i32 s1, s0, 31
	s_lshr_b32 s1, s1, 27
	s_add_i32 s0, s0, s1
	s_ashr_i32 s33, s0, 5
	s_cmp_gt_i32 s7, s33
	s_cbranch_scc1 .LBB93_63
; %bb.2:
	s_clause 0x1
	s_load_dwordx16 s[12:27], s[4:5], 0x20
	s_load_dwordx8 s[36:43], s[4:5], 0x60
	v_lshl_add_u32 v2, s6, 5, v0
	v_lshlrev_b32_e32 v8, 3, v0
	v_lshlrev_b32_e32 v47, 8, v1
	v_lshl_add_u32 v10, v1, 3, 0x80
	v_mov_b32_e32 v15, 0
	v_mov_b32_e32 v14, 1.0
	v_add_nc_u32_e32 v9, 0x80, v8
	v_add_nc_u32_e32 v48, v47, v8
	v_or_b32_e32 v49, 0x2000, v8
	v_add_nc_u32_e32 v50, v49, v47
	v_add_nc_u32_e32 v56, 0x800, v49
	;; [unrolled: 1-line block ×4, first 2 shown]
	s_waitcnt lgkmcnt(0)
	v_mad_u64_u32 v[4:5], null, s16, v0, 0
	s_mul_i32 s1, s19, s8
	s_mul_hi_u32 s2, s18, s8
	s_mul_i32 s0, s18, s8
	s_add_i32 s1, s2, s1
	s_mul_i32 s3, s27, s8
	s_lshl_b64 s[0:1], s[0:1], 3
	v_mov_b32_e32 v3, v5
	s_add_u32 s10, s12, s0
	s_addc_u32 s18, s13, s1
	s_lshl_b64 s[44:45], s[14:15], 3
	s_mul_hi_u32 s6, s26, s8
	s_add_u32 s10, s10, s44
	s_mul_i32 s2, s26, s8
	s_addc_u32 s14, s18, s45
	s_add_i32 s3, s6, s3
	v_mad_u64_u32 v[5:6], null, s17, v0, v[3:4]
	s_load_dword s26, s[4:5], 0x8c
	s_lshl_b64 s[2:3], s[2:3], 3
	s_mul_i32 s9, s43, s8
	s_add_u32 s15, s20, s2
	s_addc_u32 s18, s21, s3
	s_lshl_b64 s[2:3], s[22:23], 3
	s_mul_hi_u32 s6, s42, s8
	v_ashrrev_i32_e32 v3, 31, v2
	s_add_u32 s15, s15, s2
	s_mul_i32 s8, s42, s8
	s_addc_u32 s18, s18, s3
	s_add_i32 s9, s6, s9
	v_lshlrev_b64 v[4:5], 3, v[4:5]
	s_lshl_b64 s[2:3], s[8:9], 3
	v_lshlrev_b64 v[16:17], 3, v[2:3]
	s_add_u32 s4, s36, s2
	s_addc_u32 s5, s37, s3
	s_lshl_b64 s[2:3], s[38:39], 3
	v_add_co_u32 v18, vcc_lo, s10, v4
	s_add_u32 s27, s4, s2
	s_addc_u32 s34, s5, s3
	s_cmpk_eq_i32 s28, 0x84
	v_add_co_ci_u32_e64 v19, null, s14, v5, vcc_lo
	v_add_co_u32 v20, vcc_lo, s15, v16
	v_add_co_ci_u32_e64 v21, null, s18, v17, vcc_lo
	s_cselect_b32 s28, -1, 0
	s_ashr_i32 s15, s30, 31
	s_ashr_i32 s2, s29, 31
	s_lshl_b64 s[18:19], s[16:17], 8
	s_lshl_b64 s[20:21], s[24:25], 8
	v_mad_u64_u32 v[6:7], null, s24, v1, 0
	v_sub_co_u32 v4, vcc_lo, s29, v2
	s_add_u32 s22, s30, -16
	s_addc_u32 s23, s15, -1
	s_waitcnt lgkmcnt(0)
	s_lshl_b32 s35, s26, 5
	v_sub_co_ci_u32_e64 v5, null, s2, v3, vcc_lo
	s_add_u32 s2, s12, s44
	s_addc_u32 s3, s13, s45
	s_add_u32 s0, s2, s0
	s_addc_u32 s1, s3, s1
	v_mad_u64_u32 v[7:8], null, s25, v1, v[7:8]
	v_mad_u64_u32 v[22:23], null, s16, v9, s[0:1]
	;; [unrolled: 1-line block ×3, first 2 shown]
	v_add_nc_u32_e32 v3, 16, v2
	v_cmp_gt_i32_e64 s1, s29, v2
	v_lshlrev_b64 v[6:7], 3, v[6:7]
	v_cmp_gt_i64_e32 vcc_lo, 1, v[4:5]
	v_mov_b32_e32 v2, v23
	v_cmp_gt_i64_e64 s0, 17, v[4:5]
	v_mov_b32_e32 v5, v25
	v_ashrrev_i32_e32 v4, 31, v3
	v_sub_co_u32 v51, s3, 0, v0
	v_mad_u64_u32 v[8:9], null, s17, v9, v[2:3]
	v_mad_u64_u32 v[9:10], null, s25, v10, v[5:6]
	v_sub_co_ci_u32_e64 v52, null, 0, 0, s3
	v_add_co_u32 v53, s3, 0x80, v6
	v_lshlrev_b64 v[27:28], 3, v[3:4]
	v_cmp_gt_i32_e64 s2, s29, v3
	v_lshl_add_u32 v25, s7, 5, v1
	v_mov_b32_e32 v23, v8
	v_add_co_ci_u32_e64 v54, null, 0, v7, s3
	v_mov_b32_e32 v55, v9
	s_mov_b32 s14, s30
	s_branch .LBB93_4
.LBB93_3:                               ;   in Loop: Header=BB93_4 Depth=1
	s_or_b32 exec_lo, exec_lo, s4
	v_add_nc_u32_e32 v25, s35, v25
	s_add_i32 s7, s26, s7
	s_cmp_le_i32 s7, s33
	s_cbranch_scc0 .LBB93_63
.LBB93_4:                               ; =>This Loop Header: Depth=1
                                        ;     Child Loop BB93_7 Depth 2
	s_lshl_b32 s16, s7, 5
	v_mov_b32_e32 v64, v15
	v_add_nc_u32_e32 v29, s16, v1
	v_mov_b32_e32 v65, v15
	v_mov_b32_e32 v62, v15
	v_mov_b32_e32 v63, v15
	v_mov_b32_e32 v60, v15
	v_ashrrev_i32_e32 v30, 31, v29
	v_mov_b32_e32 v61, v15
	v_mov_b32_e32 v59, v15
	;; [unrolled: 1-line block ×3, first 2 shown]
	s_cmp_lt_i32 s7, 0
	s_cbranch_scc1 .LBB93_55
; %bb.5:                                ;   in Loop: Header=BB93_4 Depth=1
	v_ashrrev_i32_e32 v26, 31, v25
	v_add_co_u32 v31, s3, v29, 16
	v_add_co_ci_u32_e64 v32, null, 0, v30, s3
	v_add_co_u32 v33, s3, v51, v25
	v_add_co_ci_u32_e64 v34, null, v52, v26, s3
	v_lshlrev_b64 v[35:36], 3, v[25:26]
	v_add_co_u32 v37, s5, v33, 16
	v_add_co_ci_u32_e64 v38, null, 0, v34, s5
	v_add_co_u32 v39, s5, v33, -16
	v_cmp_le_i64_e64 s4, s[14:15], v[31:32]
	v_mov_b32_e32 v42, v21
	v_mov_b32_e32 v44, v19
	;; [unrolled: 1-line block ×3, first 2 shown]
	v_cmp_le_i32_e64 s3, s30, v29
	v_add_co_ci_u32_e64 v40, null, -1, v34, s5
	v_mov_b32_e32 v26, 0
	v_mov_b32_e32 v41, v20
	;; [unrolled: 1-line block ×11, first 2 shown]
	s_mov_b64 s[12:13], 0
	s_branch .LBB93_7
.LBB93_6:                               ;   in Loop: Header=BB93_7 Depth=2
	s_or_b32 exec_lo, exec_lo, s5
	s_waitcnt lgkmcnt(0)
	s_barrier
	buffer_gl0_inv
	ds_read_b128 v[66:69], v47
	ds_read_b128 v[10:13], v47 offset:16
	ds_read_b128 v[6:9], v47 offset:32
	;; [unrolled: 1-line block ×3, first 2 shown]
	ds_read2_b64 v[70:73], v49 offset1:16
	v_add_co_u32 v45, s5, v45, s18
	v_add_co_ci_u32_e64 v46, null, s19, v46, s5
	v_add_co_u32 v43, s5, v43, s18
	v_add_co_ci_u32_e64 v44, null, s19, v44, s5
	v_add_co_u32 v41, s5, v41, s20
	s_add_u32 s12, s12, 32
	v_add_co_ci_u32_e64 v42, null, s21, v42, s5
	s_addc_u32 s13, s13, 0
	s_sub_i32 s6, s12, 32
	s_cmp_ge_i32 s6, s16
	s_waitcnt lgkmcnt(0)
	v_mul_f32_e32 v74, v67, v71
	v_mul_f32_e32 v75, v66, v71
	v_fma_f32 v74, v66, v70, -v74
	v_fmac_f32_e32 v75, v67, v70
	v_add_f32_e32 v74, v64, v74
	v_add_f32_e32 v75, v65, v75
	v_mul_f32_e32 v64, v67, v73
	v_mul_f32_e32 v65, v66, v73
	v_fma_f32 v64, v66, v72, -v64
	v_fmac_f32_e32 v65, v67, v72
	v_add_f32_e32 v66, v62, v64
	v_add_f32_e32 v67, v63, v65
	ds_read_b128 v[62:65], v47 offset:4096
	s_waitcnt lgkmcnt(0)
	v_mul_f32_e32 v76, v63, v71
	v_mul_f32_e32 v71, v62, v71
	v_fma_f32 v76, v62, v70, -v76
	v_fmac_f32_e32 v71, v63, v70
	v_add_f32_e32 v70, v60, v76
	v_add_f32_e32 v71, v61, v71
	v_mul_f32_e32 v60, v63, v73
	v_mul_f32_e32 v61, v62, v73
	v_fma_f32 v60, v62, v72, -v60
	v_fmac_f32_e32 v61, v63, v72
	v_add_f32_e32 v63, v59, v60
	v_add_f32_e32 v26, v26, v61
	ds_read2_b64 v[59:62], v49 offset0:32 offset1:48
	s_waitcnt lgkmcnt(0)
	v_mul_f32_e32 v72, v69, v60
	v_mul_f32_e32 v73, v68, v60
	v_fma_f32 v72, v68, v59, -v72
	v_fmac_f32_e32 v73, v69, v59
	v_add_f32_e32 v72, v74, v72
	v_mul_f32_e32 v74, v69, v62
	v_add_f32_e32 v73, v75, v73
	v_fma_f32 v74, v68, v61, -v74
	v_mul_f32_e32 v68, v68, v62
	v_add_f32_e32 v66, v66, v74
	v_fmac_f32_e32 v68, v69, v61
	v_add_f32_e32 v67, v67, v68
	v_mul_f32_e32 v68, v65, v60
	v_mul_f32_e32 v60, v64, v60
	v_fma_f32 v68, v64, v59, -v68
	v_fmac_f32_e32 v60, v65, v59
	v_mul_f32_e32 v59, v65, v62
	v_add_f32_e32 v68, v70, v68
	v_add_f32_e32 v69, v71, v60
	v_mul_f32_e32 v60, v64, v62
	v_fma_f32 v59, v64, v61, -v59
	v_fmac_f32_e32 v60, v65, v61
	v_add_f32_e32 v70, v63, v59
	v_add_f32_e32 v26, v26, v60
	ds_read2_b64 v[59:62], v49 offset0:64 offset1:80
	s_waitcnt lgkmcnt(0)
	v_mul_f32_e32 v63, v11, v60
	v_mul_f32_e32 v64, v10, v60
	v_fma_f32 v63, v10, v59, -v63
	v_fmac_f32_e32 v64, v11, v59
	v_add_f32_e32 v71, v72, v63
	v_mul_f32_e32 v63, v11, v62
	v_add_f32_e32 v72, v73, v64
	v_fma_f32 v63, v10, v61, -v63
	v_mul_f32_e32 v10, v10, v62
	v_fmac_f32_e32 v10, v11, v61
	v_add_f32_e32 v11, v66, v63
	ds_read_b128 v[63:66], v47 offset:4112
	v_add_f32_e32 v10, v67, v10
	s_waitcnt lgkmcnt(0)
	v_mul_f32_e32 v67, v64, v60
	v_mul_f32_e32 v60, v63, v60
	v_fma_f32 v67, v63, v59, -v67
	v_fmac_f32_e32 v60, v64, v59
	v_mul_f32_e32 v59, v64, v62
	v_add_f32_e32 v67, v68, v67
	v_add_f32_e32 v68, v69, v60
	v_mul_f32_e32 v60, v63, v62
	v_fma_f32 v59, v63, v61, -v59
	v_fmac_f32_e32 v60, v64, v61
	v_add_f32_e32 v63, v70, v59
	v_add_f32_e32 v26, v26, v60
	ds_read2_b64 v[59:62], v49 offset0:96 offset1:112
	s_waitcnt lgkmcnt(0)
	v_mul_f32_e32 v64, v13, v60
	v_mul_f32_e32 v70, v13, v62
	;; [unrolled: 1-line block ×3, first 2 shown]
	v_fma_f32 v64, v12, v59, -v64
	v_fma_f32 v70, v12, v61, -v70
	v_mul_f32_e32 v12, v12, v62
	v_fmac_f32_e32 v69, v13, v59
	v_add_f32_e32 v64, v71, v64
	v_add_f32_e32 v70, v11, v70
	v_fmac_f32_e32 v12, v13, v61
	v_mul_f32_e32 v11, v65, v60
	v_add_f32_e32 v69, v72, v69
	v_add_f32_e32 v71, v10, v12
	v_mul_f32_e32 v10, v66, v60
	v_fmac_f32_e32 v11, v66, v59
	v_fma_f32 v10, v65, v59, -v10
	v_add_f32_e32 v68, v68, v11
	v_mul_f32_e32 v11, v65, v62
	v_add_f32_e32 v67, v67, v10
	v_mul_f32_e32 v10, v66, v62
	v_fmac_f32_e32 v11, v66, v61
	v_fma_f32 v10, v65, v61, -v10
	v_add_f32_e32 v26, v26, v11
	v_add_f32_e32 v63, v63, v10
	ds_read2_b64 v[10:13], v49 offset0:128 offset1:144
	s_waitcnt lgkmcnt(0)
	v_mul_f32_e32 v59, v7, v11
	v_mul_f32_e32 v60, v6, v11
	v_fma_f32 v59, v6, v10, -v59
	v_fmac_f32_e32 v60, v7, v10
	v_add_f32_e32 v64, v64, v59
	v_mul_f32_e32 v59, v7, v13
	v_add_f32_e32 v65, v69, v60
	v_fma_f32 v59, v6, v12, -v59
	v_mul_f32_e32 v6, v6, v13
	v_fmac_f32_e32 v6, v7, v12
	v_add_f32_e32 v7, v70, v59
	ds_read_b128 v[59:62], v47 offset:4128
	v_add_f32_e32 v6, v71, v6
	s_waitcnt lgkmcnt(0)
	v_mul_f32_e32 v66, v60, v11
	v_mul_f32_e32 v11, v59, v11
	v_fma_f32 v66, v59, v10, -v66
	v_fmac_f32_e32 v11, v60, v10
	v_mul_f32_e32 v10, v60, v13
	v_add_f32_e32 v66, v67, v66
	v_add_f32_e32 v67, v68, v11
	v_mul_f32_e32 v11, v59, v13
	v_fma_f32 v10, v59, v12, -v10
	v_fmac_f32_e32 v11, v60, v12
	v_add_f32_e32 v59, v63, v10
	v_add_f32_e32 v26, v26, v11
	ds_read2_b64 v[10:13], v49 offset0:160 offset1:176
	s_waitcnt lgkmcnt(0)
	v_mul_f32_e32 v60, v9, v11
	v_mul_f32_e32 v63, v8, v11
	v_fma_f32 v60, v8, v10, -v60
	v_fmac_f32_e32 v63, v9, v10
	v_add_f32_e32 v60, v64, v60
	v_mul_f32_e32 v64, v9, v13
	v_add_f32_e32 v63, v65, v63
	v_fma_f32 v64, v8, v12, -v64
	v_mul_f32_e32 v8, v8, v13
	v_add_f32_e32 v64, v7, v64
	v_fmac_f32_e32 v8, v9, v12
	v_mul_f32_e32 v7, v61, v11
	v_add_f32_e32 v65, v6, v8
	v_mul_f32_e32 v6, v62, v11
	v_fmac_f32_e32 v7, v62, v10
	v_fma_f32 v6, v61, v10, -v6
	v_add_f32_e32 v67, v67, v7
	v_mul_f32_e32 v7, v61, v13
	v_add_f32_e32 v66, v66, v6
	v_mul_f32_e32 v6, v62, v13
	v_fmac_f32_e32 v7, v62, v12
	v_fma_f32 v6, v61, v12, -v6
	v_add_f32_e32 v26, v26, v7
	v_add_f32_e32 v59, v59, v6
	ds_read2_b64 v[6:9], v49 offset0:192 offset1:208
	s_waitcnt lgkmcnt(0)
	v_mul_f32_e32 v10, v3, v7
	v_mul_f32_e32 v11, v2, v7
	v_fma_f32 v10, v2, v6, -v10
	v_fmac_f32_e32 v11, v3, v6
	v_add_f32_e32 v60, v60, v10
	v_mul_f32_e32 v10, v3, v9
	v_add_f32_e32 v61, v63, v11
	v_fma_f32 v10, v2, v8, -v10
	v_mul_f32_e32 v2, v2, v9
	v_fmac_f32_e32 v2, v3, v8
	v_add_f32_e32 v3, v64, v10
	ds_read_b128 v[10:13], v47 offset:4144
	v_add_f32_e32 v2, v65, v2
	s_waitcnt lgkmcnt(0)
	v_mul_f32_e32 v62, v11, v7
	v_mul_f32_e32 v7, v10, v7
	v_fma_f32 v62, v10, v6, -v62
	v_fmac_f32_e32 v7, v11, v6
	v_mul_f32_e32 v6, v11, v9
	v_add_f32_e32 v62, v66, v62
	v_add_f32_e32 v63, v67, v7
	v_mul_f32_e32 v7, v10, v9
	v_fma_f32 v6, v10, v8, -v6
	v_fmac_f32_e32 v7, v11, v8
	v_add_f32_e32 v10, v59, v6
	v_add_f32_e32 v11, v26, v7
	ds_read2_b64 v[6:9], v49 offset0:224 offset1:240
	s_waitcnt lgkmcnt(0)
	v_mul_f32_e32 v26, v5, v7
	v_mul_f32_e32 v59, v4, v7
	v_fma_f32 v26, v4, v6, -v26
	v_fmac_f32_e32 v59, v5, v6
	v_add_f32_e32 v26, v60, v26
	v_mul_f32_e32 v60, v5, v9
	v_add_f32_e32 v59, v61, v59
	v_fma_f32 v60, v4, v8, -v60
	v_mul_f32_e32 v4, v4, v9
	v_add_f32_e32 v60, v3, v60
	v_fmac_f32_e32 v4, v5, v8
	v_mul_f32_e32 v3, v12, v7
	v_add_f32_e32 v61, v2, v4
	v_mul_f32_e32 v2, v13, v7
	v_fmac_f32_e32 v3, v13, v6
	v_fma_f32 v2, v12, v6, -v2
	v_add_f32_e32 v63, v63, v3
	v_mul_f32_e32 v3, v12, v9
	v_add_f32_e32 v62, v62, v2
	v_mul_f32_e32 v2, v13, v9
	v_fmac_f32_e32 v3, v13, v8
	v_fma_f32 v2, v12, v8, -v2
	v_add_f32_e32 v65, v11, v3
	v_add_f32_e32 v64, v10, v2
	ds_read_b128 v[2:5], v47 offset:64
	ds_read2_b64 v[6:9], v56 offset1:16
	s_waitcnt lgkmcnt(0)
	v_mul_f32_e32 v10, v3, v7
	v_mul_f32_e32 v11, v2, v7
	v_fma_f32 v10, v2, v6, -v10
	v_fmac_f32_e32 v11, v3, v6
	v_add_f32_e32 v26, v26, v10
	v_mul_f32_e32 v10, v3, v9
	v_add_f32_e32 v59, v59, v11
	v_fma_f32 v10, v2, v8, -v10
	v_mul_f32_e32 v2, v2, v9
	v_fmac_f32_e32 v2, v3, v8
	v_add_f32_e32 v3, v60, v10
	ds_read_b128 v[10:13], v47 offset:4160
	v_add_f32_e32 v2, v61, v2
	s_waitcnt lgkmcnt(0)
	v_mul_f32_e32 v60, v11, v7
	v_mul_f32_e32 v7, v10, v7
	v_fma_f32 v60, v10, v6, -v60
	v_fmac_f32_e32 v7, v11, v6
	v_mul_f32_e32 v6, v11, v9
	v_add_f32_e32 v60, v62, v60
	v_add_f32_e32 v61, v63, v7
	v_mul_f32_e32 v7, v10, v9
	v_fma_f32 v6, v10, v8, -v6
	v_fmac_f32_e32 v7, v11, v8
	v_add_f32_e32 v10, v64, v6
	v_add_f32_e32 v11, v65, v7
	ds_read2_b64 v[6:9], v56 offset0:32 offset1:48
	s_waitcnt lgkmcnt(0)
	v_mul_f32_e32 v62, v5, v7
	v_mul_f32_e32 v63, v4, v7
	v_fma_f32 v62, v4, v6, -v62
	v_fmac_f32_e32 v63, v5, v6
	v_add_f32_e32 v26, v26, v62
	v_mul_f32_e32 v62, v5, v9
	v_add_f32_e32 v59, v59, v63
	v_fma_f32 v62, v4, v8, -v62
	v_mul_f32_e32 v4, v4, v9
	v_add_f32_e32 v62, v3, v62
	v_fmac_f32_e32 v4, v5, v8
	v_mul_f32_e32 v3, v12, v7
	v_add_f32_e32 v63, v2, v4
	v_mul_f32_e32 v2, v13, v7
	v_fmac_f32_e32 v3, v13, v6
	v_fma_f32 v2, v12, v6, -v2
	v_add_f32_e32 v61, v61, v3
	v_mul_f32_e32 v3, v12, v9
	v_add_f32_e32 v60, v60, v2
	v_mul_f32_e32 v2, v13, v9
	v_fmac_f32_e32 v3, v13, v8
	v_fma_f32 v2, v12, v8, -v2
	v_add_f32_e32 v65, v11, v3
	v_add_f32_e32 v64, v10, v2
	ds_read_b128 v[2:5], v47 offset:80
	ds_read2_b64 v[6:9], v56 offset0:64 offset1:80
	s_waitcnt lgkmcnt(0)
	v_mul_f32_e32 v10, v3, v7
	v_mul_f32_e32 v11, v2, v7
	v_fma_f32 v10, v2, v6, -v10
	v_fmac_f32_e32 v11, v3, v6
	v_add_f32_e32 v26, v26, v10
	v_mul_f32_e32 v10, v3, v9
	v_add_f32_e32 v59, v59, v11
	v_fma_f32 v10, v2, v8, -v10
	v_mul_f32_e32 v2, v2, v9
	v_fmac_f32_e32 v2, v3, v8
	v_add_f32_e32 v3, v62, v10
	ds_read_b128 v[10:13], v47 offset:4176
	v_add_f32_e32 v2, v63, v2
	s_waitcnt lgkmcnt(0)
	v_mul_f32_e32 v62, v11, v7
	v_mul_f32_e32 v7, v10, v7
	v_fma_f32 v62, v10, v6, -v62
	v_fmac_f32_e32 v7, v11, v6
	v_mul_f32_e32 v6, v11, v9
	v_add_f32_e32 v60, v60, v62
	v_add_f32_e32 v61, v61, v7
	v_mul_f32_e32 v7, v10, v9
	v_fma_f32 v6, v10, v8, -v6
	v_fmac_f32_e32 v7, v11, v8
	v_add_f32_e32 v10, v64, v6
	v_add_f32_e32 v11, v65, v7
	ds_read2_b64 v[6:9], v56 offset0:96 offset1:112
	s_waitcnt lgkmcnt(0)
	v_mul_f32_e32 v62, v5, v7
	v_mul_f32_e32 v63, v4, v7
	v_fma_f32 v62, v4, v6, -v62
	v_fmac_f32_e32 v63, v5, v6
	v_add_f32_e32 v26, v26, v62
	v_mul_f32_e32 v62, v5, v9
	v_add_f32_e32 v59, v59, v63
	v_fma_f32 v62, v4, v8, -v62
	v_mul_f32_e32 v4, v4, v9
	v_add_f32_e32 v62, v3, v62
	v_fmac_f32_e32 v4, v5, v8
	v_mul_f32_e32 v3, v12, v7
	v_add_f32_e32 v63, v2, v4
	v_mul_f32_e32 v2, v13, v7
	v_fmac_f32_e32 v3, v13, v6
	v_fma_f32 v2, v12, v6, -v2
	v_add_f32_e32 v61, v61, v3
	v_mul_f32_e32 v3, v12, v9
	v_add_f32_e32 v60, v60, v2
	v_mul_f32_e32 v2, v13, v9
	v_fmac_f32_e32 v3, v13, v8
	v_fma_f32 v2, v12, v8, -v2
	v_add_f32_e32 v65, v11, v3
	v_add_f32_e32 v64, v10, v2
	ds_read_b128 v[2:5], v47 offset:96
	ds_read2_b64 v[6:9], v56 offset0:128 offset1:144
	;; [unrolled: 55-line block ×3, first 2 shown]
	s_waitcnt lgkmcnt(0)
	v_mul_f32_e32 v10, v3, v7
	v_mul_f32_e32 v11, v2, v7
	v_fma_f32 v10, v2, v6, -v10
	v_fmac_f32_e32 v11, v3, v6
	v_add_f32_e32 v26, v26, v10
	v_mul_f32_e32 v10, v3, v9
	v_add_f32_e32 v59, v59, v11
	v_fma_f32 v10, v2, v8, -v10
	v_mul_f32_e32 v2, v2, v9
	v_fmac_f32_e32 v2, v3, v8
	v_add_f32_e32 v3, v62, v10
	ds_read_b128 v[10:13], v47 offset:4208
	v_add_f32_e32 v2, v63, v2
	s_waitcnt lgkmcnt(0)
	v_mul_f32_e32 v62, v11, v7
	v_mul_f32_e32 v7, v10, v7
	v_fma_f32 v62, v10, v6, -v62
	v_fmac_f32_e32 v7, v11, v6
	v_mul_f32_e32 v6, v11, v9
	v_add_f32_e32 v60, v60, v62
	v_add_f32_e32 v61, v61, v7
	v_mul_f32_e32 v7, v10, v9
	v_fma_f32 v6, v10, v8, -v6
	v_fmac_f32_e32 v7, v11, v8
	v_add_f32_e32 v10, v64, v6
	v_add_f32_e32 v11, v65, v7
	ds_read2_b64 v[6:9], v56 offset0:224 offset1:240
	s_waitcnt lgkmcnt(0)
	v_mul_f32_e32 v62, v5, v7
	v_mul_f32_e32 v63, v4, v7
	v_fma_f32 v62, v4, v6, -v62
	v_fmac_f32_e32 v63, v5, v6
	v_add_f32_e32 v26, v26, v62
	v_mul_f32_e32 v62, v5, v9
	v_add_f32_e32 v59, v59, v63
	v_fma_f32 v62, v4, v8, -v62
	v_mul_f32_e32 v4, v4, v9
	v_add_f32_e32 v62, v3, v62
	v_fmac_f32_e32 v4, v5, v8
	v_mul_f32_e32 v3, v12, v7
	v_add_f32_e32 v63, v2, v4
	v_mul_f32_e32 v2, v13, v7
	v_fmac_f32_e32 v3, v13, v6
	v_fma_f32 v2, v12, v6, -v2
	v_add_f32_e32 v61, v61, v3
	v_mul_f32_e32 v3, v12, v9
	v_add_f32_e32 v60, v60, v2
	v_mul_f32_e32 v2, v13, v9
	v_fmac_f32_e32 v3, v13, v8
	v_fma_f32 v2, v12, v8, -v2
	v_add_f32_e32 v65, v11, v3
	v_add_f32_e32 v64, v10, v2
	ds_read_b128 v[2:5], v47 offset:128
	ds_read2_b64 v[6:9], v57 offset1:16
	s_waitcnt lgkmcnt(0)
	v_mul_f32_e32 v10, v3, v7
	v_mul_f32_e32 v11, v2, v7
	v_fma_f32 v10, v2, v6, -v10
	v_fmac_f32_e32 v11, v3, v6
	v_add_f32_e32 v26, v26, v10
	v_mul_f32_e32 v10, v3, v9
	v_add_f32_e32 v59, v59, v11
	v_fma_f32 v10, v2, v8, -v10
	v_mul_f32_e32 v2, v2, v9
	v_fmac_f32_e32 v2, v3, v8
	v_add_f32_e32 v3, v62, v10
	ds_read_b128 v[10:13], v47 offset:4224
	v_add_f32_e32 v2, v63, v2
	s_waitcnt lgkmcnt(0)
	v_mul_f32_e32 v62, v11, v7
	v_mul_f32_e32 v7, v10, v7
	v_fma_f32 v62, v10, v6, -v62
	v_fmac_f32_e32 v7, v11, v6
	v_mul_f32_e32 v6, v11, v9
	v_add_f32_e32 v60, v60, v62
	v_add_f32_e32 v61, v61, v7
	v_mul_f32_e32 v7, v10, v9
	v_fma_f32 v6, v10, v8, -v6
	v_fmac_f32_e32 v7, v11, v8
	v_add_f32_e32 v10, v64, v6
	v_add_f32_e32 v11, v65, v7
	ds_read2_b64 v[6:9], v57 offset0:32 offset1:48
	s_waitcnt lgkmcnt(0)
	v_mul_f32_e32 v62, v5, v7
	v_mul_f32_e32 v63, v4, v7
	v_fma_f32 v62, v4, v6, -v62
	v_fmac_f32_e32 v63, v5, v6
	v_add_f32_e32 v26, v26, v62
	v_mul_f32_e32 v62, v5, v9
	v_add_f32_e32 v59, v59, v63
	v_fma_f32 v62, v4, v8, -v62
	v_mul_f32_e32 v4, v4, v9
	v_add_f32_e32 v62, v3, v62
	v_fmac_f32_e32 v4, v5, v8
	v_mul_f32_e32 v3, v12, v7
	v_add_f32_e32 v63, v2, v4
	v_mul_f32_e32 v2, v13, v7
	v_fmac_f32_e32 v3, v13, v6
	v_fma_f32 v2, v12, v6, -v2
	v_add_f32_e32 v61, v61, v3
	v_mul_f32_e32 v3, v12, v9
	v_add_f32_e32 v60, v60, v2
	v_mul_f32_e32 v2, v13, v9
	v_fmac_f32_e32 v3, v13, v8
	v_fma_f32 v2, v12, v8, -v2
	v_add_f32_e32 v65, v11, v3
	v_add_f32_e32 v64, v10, v2
	ds_read_b128 v[2:5], v47 offset:144
	ds_read2_b64 v[6:9], v57 offset0:64 offset1:80
	s_waitcnt lgkmcnt(0)
	v_mul_f32_e32 v10, v3, v7
	v_mul_f32_e32 v11, v2, v7
	v_fma_f32 v10, v2, v6, -v10
	v_fmac_f32_e32 v11, v3, v6
	v_add_f32_e32 v26, v26, v10
	v_mul_f32_e32 v10, v3, v9
	v_add_f32_e32 v59, v59, v11
	v_fma_f32 v10, v2, v8, -v10
	v_mul_f32_e32 v2, v2, v9
	v_fmac_f32_e32 v2, v3, v8
	v_add_f32_e32 v3, v62, v10
	ds_read_b128 v[10:13], v47 offset:4240
	v_add_f32_e32 v2, v63, v2
	s_waitcnt lgkmcnt(0)
	v_mul_f32_e32 v62, v11, v7
	v_mul_f32_e32 v7, v10, v7
	v_fma_f32 v62, v10, v6, -v62
	v_fmac_f32_e32 v7, v11, v6
	v_mul_f32_e32 v6, v11, v9
	v_add_f32_e32 v60, v60, v62
	v_add_f32_e32 v61, v61, v7
	v_mul_f32_e32 v7, v10, v9
	v_fma_f32 v6, v10, v8, -v6
	v_fmac_f32_e32 v7, v11, v8
	v_add_f32_e32 v10, v64, v6
	v_add_f32_e32 v11, v65, v7
	ds_read2_b64 v[6:9], v57 offset0:96 offset1:112
	s_waitcnt lgkmcnt(0)
	v_mul_f32_e32 v62, v5, v7
	v_mul_f32_e32 v63, v4, v7
	v_fma_f32 v62, v4, v6, -v62
	v_fmac_f32_e32 v63, v5, v6
	v_add_f32_e32 v26, v26, v62
	v_mul_f32_e32 v62, v5, v9
	v_add_f32_e32 v59, v59, v63
	v_fma_f32 v62, v4, v8, -v62
	v_mul_f32_e32 v4, v4, v9
	v_add_f32_e32 v62, v3, v62
	v_fmac_f32_e32 v4, v5, v8
	v_mul_f32_e32 v3, v12, v7
	v_add_f32_e32 v63, v2, v4
	v_mul_f32_e32 v2, v13, v7
	v_fmac_f32_e32 v3, v13, v6
	v_fma_f32 v2, v12, v6, -v2
	v_add_f32_e32 v61, v61, v3
	v_mul_f32_e32 v3, v12, v9
	v_add_f32_e32 v60, v60, v2
	v_mul_f32_e32 v2, v13, v9
	v_fmac_f32_e32 v3, v13, v8
	v_fma_f32 v2, v12, v8, -v2
	v_add_f32_e32 v65, v11, v3
	v_add_f32_e32 v64, v10, v2
	ds_read_b128 v[2:5], v47 offset:160
	ds_read2_b64 v[6:9], v57 offset0:128 offset1:144
	;; [unrolled: 55-line block ×3, first 2 shown]
	s_waitcnt lgkmcnt(0)
	v_mul_f32_e32 v10, v3, v7
	v_mul_f32_e32 v11, v2, v7
	v_fma_f32 v10, v2, v6, -v10
	v_fmac_f32_e32 v11, v3, v6
	v_add_f32_e32 v26, v26, v10
	v_mul_f32_e32 v10, v3, v9
	v_add_f32_e32 v59, v59, v11
	v_fma_f32 v10, v2, v8, -v10
	v_mul_f32_e32 v2, v2, v9
	v_fmac_f32_e32 v2, v3, v8
	v_add_f32_e32 v3, v62, v10
	ds_read_b128 v[10:13], v47 offset:4272
	v_add_f32_e32 v2, v63, v2
	s_waitcnt lgkmcnt(0)
	v_mul_f32_e32 v62, v11, v7
	v_mul_f32_e32 v7, v10, v7
	v_fma_f32 v62, v10, v6, -v62
	v_fmac_f32_e32 v7, v11, v6
	v_mul_f32_e32 v6, v11, v9
	v_add_f32_e32 v60, v60, v62
	v_add_f32_e32 v61, v61, v7
	v_mul_f32_e32 v7, v10, v9
	v_fma_f32 v6, v10, v8, -v6
	v_fmac_f32_e32 v7, v11, v8
	v_add_f32_e32 v10, v64, v6
	v_add_f32_e32 v11, v65, v7
	ds_read2_b64 v[6:9], v57 offset0:224 offset1:240
	s_waitcnt lgkmcnt(0)
	v_mul_f32_e32 v62, v5, v7
	v_mul_f32_e32 v63, v4, v7
	v_fma_f32 v62, v4, v6, -v62
	v_fmac_f32_e32 v63, v5, v6
	v_add_f32_e32 v26, v26, v62
	v_mul_f32_e32 v62, v5, v9
	v_add_f32_e32 v59, v59, v63
	v_fma_f32 v62, v4, v8, -v62
	v_mul_f32_e32 v4, v4, v9
	v_add_f32_e32 v62, v3, v62
	v_fmac_f32_e32 v4, v5, v8
	v_mul_f32_e32 v3, v12, v7
	v_add_f32_e32 v63, v2, v4
	v_mul_f32_e32 v2, v13, v7
	v_fmac_f32_e32 v3, v13, v6
	v_fma_f32 v2, v12, v6, -v2
	v_add_f32_e32 v61, v61, v3
	v_mul_f32_e32 v3, v12, v9
	v_add_f32_e32 v60, v60, v2
	v_mul_f32_e32 v2, v13, v9
	v_fmac_f32_e32 v3, v13, v8
	v_fma_f32 v2, v12, v8, -v2
	v_add_f32_e32 v65, v11, v3
	v_add_f32_e32 v64, v10, v2
	ds_read_b128 v[2:5], v47 offset:192
	ds_read2_b64 v[6:9], v58 offset1:16
	s_waitcnt lgkmcnt(0)
	v_mul_f32_e32 v10, v3, v7
	v_mul_f32_e32 v11, v2, v7
	v_fma_f32 v10, v2, v6, -v10
	v_fmac_f32_e32 v11, v3, v6
	v_add_f32_e32 v26, v26, v10
	v_mul_f32_e32 v10, v3, v9
	v_add_f32_e32 v59, v59, v11
	v_fma_f32 v10, v2, v8, -v10
	v_mul_f32_e32 v2, v2, v9
	v_fmac_f32_e32 v2, v3, v8
	v_add_f32_e32 v3, v62, v10
	ds_read_b128 v[10:13], v47 offset:4288
	v_add_f32_e32 v2, v63, v2
	s_waitcnt lgkmcnt(0)
	v_mul_f32_e32 v62, v11, v7
	v_mul_f32_e32 v7, v10, v7
	v_fma_f32 v62, v10, v6, -v62
	v_fmac_f32_e32 v7, v11, v6
	v_mul_f32_e32 v6, v11, v9
	v_add_f32_e32 v60, v60, v62
	v_add_f32_e32 v61, v61, v7
	v_mul_f32_e32 v7, v10, v9
	v_fma_f32 v6, v10, v8, -v6
	v_fmac_f32_e32 v7, v11, v8
	v_add_f32_e32 v10, v64, v6
	v_add_f32_e32 v11, v65, v7
	ds_read2_b64 v[6:9], v58 offset0:32 offset1:48
	s_waitcnt lgkmcnt(0)
	v_mul_f32_e32 v62, v5, v7
	v_mul_f32_e32 v63, v4, v7
	v_fma_f32 v62, v4, v6, -v62
	v_fmac_f32_e32 v63, v5, v6
	v_add_f32_e32 v26, v26, v62
	v_mul_f32_e32 v62, v5, v9
	v_add_f32_e32 v59, v59, v63
	v_fma_f32 v62, v4, v8, -v62
	v_mul_f32_e32 v4, v4, v9
	v_add_f32_e32 v62, v3, v62
	v_fmac_f32_e32 v4, v5, v8
	v_mul_f32_e32 v3, v12, v7
	v_add_f32_e32 v63, v2, v4
	v_mul_f32_e32 v2, v13, v7
	v_fmac_f32_e32 v3, v13, v6
	v_fma_f32 v2, v12, v6, -v2
	v_add_f32_e32 v61, v61, v3
	v_mul_f32_e32 v3, v12, v9
	v_add_f32_e32 v60, v60, v2
	v_mul_f32_e32 v2, v13, v9
	v_fmac_f32_e32 v3, v13, v8
	v_fma_f32 v2, v12, v8, -v2
	v_add_f32_e32 v65, v11, v3
	v_add_f32_e32 v64, v10, v2
	ds_read_b128 v[2:5], v47 offset:208
	ds_read2_b64 v[6:9], v58 offset0:64 offset1:80
	s_waitcnt lgkmcnt(0)
	v_mul_f32_e32 v10, v3, v7
	v_mul_f32_e32 v11, v2, v7
	v_fma_f32 v10, v2, v6, -v10
	v_fmac_f32_e32 v11, v3, v6
	v_add_f32_e32 v26, v26, v10
	v_mul_f32_e32 v10, v3, v9
	v_add_f32_e32 v59, v59, v11
	v_fma_f32 v10, v2, v8, -v10
	v_mul_f32_e32 v2, v2, v9
	v_fmac_f32_e32 v2, v3, v8
	v_add_f32_e32 v3, v62, v10
	ds_read_b128 v[10:13], v47 offset:4304
	v_add_f32_e32 v2, v63, v2
	s_waitcnt lgkmcnt(0)
	v_mul_f32_e32 v62, v11, v7
	v_mul_f32_e32 v7, v10, v7
	v_fma_f32 v62, v10, v6, -v62
	v_fmac_f32_e32 v7, v11, v6
	v_mul_f32_e32 v6, v11, v9
	v_add_f32_e32 v60, v60, v62
	v_add_f32_e32 v61, v61, v7
	v_mul_f32_e32 v7, v10, v9
	v_fma_f32 v6, v10, v8, -v6
	v_fmac_f32_e32 v7, v11, v8
	v_add_f32_e32 v10, v64, v6
	v_add_f32_e32 v11, v65, v7
	ds_read2_b64 v[6:9], v58 offset0:96 offset1:112
	s_waitcnt lgkmcnt(0)
	v_mul_f32_e32 v62, v5, v7
	v_mul_f32_e32 v63, v4, v7
	v_fma_f32 v62, v4, v6, -v62
	v_fmac_f32_e32 v63, v5, v6
	v_add_f32_e32 v26, v26, v62
	v_mul_f32_e32 v62, v5, v9
	v_add_f32_e32 v59, v59, v63
	v_fma_f32 v62, v4, v8, -v62
	v_mul_f32_e32 v4, v4, v9
	v_add_f32_e32 v62, v3, v62
	v_fmac_f32_e32 v4, v5, v8
	v_mul_f32_e32 v3, v12, v7
	v_add_f32_e32 v63, v2, v4
	v_mul_f32_e32 v2, v13, v7
	v_fmac_f32_e32 v3, v13, v6
	v_fma_f32 v2, v12, v6, -v2
	v_add_f32_e32 v61, v61, v3
	v_mul_f32_e32 v3, v12, v9
	v_add_f32_e32 v60, v60, v2
	v_mul_f32_e32 v2, v13, v9
	v_fmac_f32_e32 v3, v13, v8
	v_fma_f32 v2, v12, v8, -v2
	v_add_f32_e32 v65, v11, v3
	v_add_f32_e32 v64, v10, v2
	ds_read_b128 v[2:5], v47 offset:224
	ds_read2_b64 v[6:9], v58 offset0:128 offset1:144
	;; [unrolled: 55-line block ×3, first 2 shown]
	s_waitcnt lgkmcnt(0)
	v_mul_f32_e32 v10, v3, v7
	v_mul_f32_e32 v11, v2, v7
	v_fma_f32 v10, v2, v6, -v10
	v_fmac_f32_e32 v11, v3, v6
	v_add_f32_e32 v26, v26, v10
	v_mul_f32_e32 v10, v3, v9
	v_add_f32_e32 v59, v59, v11
	v_fma_f32 v10, v2, v8, -v10
	v_mul_f32_e32 v2, v2, v9
	v_fmac_f32_e32 v2, v3, v8
	v_add_f32_e32 v3, v62, v10
	ds_read_b128 v[10:13], v47 offset:4336
	v_add_f32_e32 v2, v63, v2
	s_waitcnt lgkmcnt(0)
	v_mul_f32_e32 v62, v11, v7
	v_mul_f32_e32 v7, v10, v7
	v_fma_f32 v62, v10, v6, -v62
	v_fmac_f32_e32 v7, v11, v6
	v_mul_f32_e32 v6, v11, v9
	v_add_f32_e32 v60, v60, v62
	v_add_f32_e32 v61, v61, v7
	v_mul_f32_e32 v7, v10, v9
	v_fma_f32 v6, v10, v8, -v6
	v_fmac_f32_e32 v7, v11, v8
	v_add_f32_e32 v10, v64, v6
	v_add_f32_e32 v11, v65, v7
	ds_read2_b64 v[6:9], v58 offset0:224 offset1:240
	s_waitcnt lgkmcnt(0)
	s_barrier
	buffer_gl0_inv
	v_mul_f32_e32 v62, v5, v7
	v_mul_f32_e32 v63, v4, v7
	v_fma_f32 v62, v4, v6, -v62
	v_fmac_f32_e32 v63, v5, v6
	v_add_f32_e32 v64, v26, v62
	v_mul_f32_e32 v26, v5, v9
	v_add_f32_e32 v65, v59, v63
	v_fma_f32 v26, v4, v8, -v26
	v_mul_f32_e32 v4, v4, v9
	v_add_f32_e32 v62, v3, v26
	v_fmac_f32_e32 v4, v5, v8
	v_mul_f32_e32 v3, v12, v7
	v_add_f32_e32 v63, v2, v4
	v_mul_f32_e32 v2, v13, v7
	v_fmac_f32_e32 v3, v13, v6
	v_fma_f32 v2, v12, v6, -v2
	v_add_f32_e32 v61, v61, v3
	v_mul_f32_e32 v3, v12, v9
	v_add_f32_e32 v60, v60, v2
	v_mul_f32_e32 v2, v13, v9
	v_fmac_f32_e32 v3, v13, v8
	v_fma_f32 v2, v12, v8, -v2
	v_add_f32_e32 v26, v11, v3
	v_add_f32_e32 v59, v10, v2
	s_cbranch_scc1 .LBB93_55
.LBB93_7:                               ;   Parent Loop BB93_4 Depth=1
                                        ; =>  This Inner Loop Header: Depth=2
	v_add_co_u32 v2, s5, v0, s12
	v_add_co_ci_u32_e64 v3, null, 0, s13, s5
	v_cmp_eq_u64_e64 s8, s[12:13], v[33:34]
	v_cmp_gt_i64_e64 s5, v[2:3], v[29:30]
	v_cmp_le_i64_e64 s6, s[14:15], v[2:3]
	s_and_b32 s24, s28, s8
	v_add_co_u32 v4, s8, v43, v35
	s_or_b32 s9, s3, s5
	v_add_co_ci_u32_e64 v5, null, v44, v36, s8
	s_or_b32 s8, s9, s24
	s_nor_b32 s8, s6, s8
	s_and_saveexec_b32 s9, s8
	s_xor_b32 s8, exec_lo, s9
	s_cbranch_execz .LBB93_9
; %bb.8:                                ;   in Loop: Header=BB93_7 Depth=2
	global_load_dwordx2 v[6:7], v[4:5], off
	s_waitcnt vmcnt(0)
	v_xor_b32_e32 v7, 0x80000000, v7
	ds_write_b64 v48, v[6:7]
.LBB93_9:                               ;   in Loop: Header=BB93_7 Depth=2
	s_or_saveexec_b32 s8, s8
	s_xor_b32 s17, s24, -1
	s_xor_b32 exec_lo, exec_lo, s8
	s_cbranch_execz .LBB93_15
; %bb.10:                               ;   in Loop: Header=BB93_7 Depth=2
	s_and_saveexec_b32 s9, s17
	s_xor_b32 s9, exec_lo, s9
; %bb.11:                               ;   in Loop: Header=BB93_7 Depth=2
	v_mov_b32_e32 v6, v15
	v_mov_b32_e32 v7, v15
	ds_write_b64 v48, v[6:7]
; %bb.12:                               ;   in Loop: Header=BB93_7 Depth=2
	s_andn2_saveexec_b32 s9, s9
; %bb.13:                               ;   in Loop: Header=BB93_7 Depth=2
	ds_write_b64 v48, v[14:15]
; %bb.14:                               ;   in Loop: Header=BB93_7 Depth=2
	s_or_b32 exec_lo, exec_lo, s9
.LBB93_15:                              ;   in Loop: Header=BB93_7 Depth=2
	s_or_b32 exec_lo, exec_lo, s8
	v_add_co_u32 v6, s8, v2, 16
	v_add_co_ci_u32_e64 v7, null, 0, v3, s8
	v_cmp_eq_u64_e64 s9, s[12:13], v[39:40]
	v_cmp_gt_i64_e64 s10, v[6:7], v[29:30]
	v_cmp_le_i64_e64 s8, s[14:15], v[6:7]
	s_and_b32 s25, s28, s9
	s_or_b32 s9, s3, s10
	s_or_b32 s9, s9, s25
	s_nor_b32 s9, s8, s9
	s_and_saveexec_b32 s10, s9
	s_xor_b32 s10, exec_lo, s10
	s_cbranch_execz .LBB93_17
; %bb.16:                               ;   in Loop: Header=BB93_7 Depth=2
	v_add_co_u32 v6, s9, v45, v35
	v_add_co_ci_u32_e64 v7, null, v46, v36, s9
	global_load_dwordx2 v[6:7], v[6:7], off
	s_waitcnt vmcnt(0)
	v_xor_b32_e32 v7, 0x80000000, v7
	ds_write_b64 v48, v[6:7] offset:128
.LBB93_17:                              ;   in Loop: Header=BB93_7 Depth=2
	s_andn2_saveexec_b32 s9, s10
	s_cbranch_execz .LBB93_23
; %bb.18:                               ;   in Loop: Header=BB93_7 Depth=2
	s_xor_b32 s10, s25, -1
	s_and_saveexec_b32 s25, s10
	s_xor_b32 s10, exec_lo, s25
; %bb.19:                               ;   in Loop: Header=BB93_7 Depth=2
	v_mov_b32_e32 v6, v15
	v_mov_b32_e32 v7, v15
	ds_write_b64 v48, v[6:7] offset:128
; %bb.20:                               ;   in Loop: Header=BB93_7 Depth=2
	s_andn2_saveexec_b32 s10, s10
; %bb.21:                               ;   in Loop: Header=BB93_7 Depth=2
	ds_write_b64 v48, v[14:15] offset:128
; %bb.22:                               ;   in Loop: Header=BB93_7 Depth=2
	s_or_b32 exec_lo, exec_lo, s10
.LBB93_23:                              ;   in Loop: Header=BB93_7 Depth=2
	s_or_b32 exec_lo, exec_lo, s9
	v_cmp_eq_u64_e64 s9, s[12:13], v[37:38]
	v_cmp_gt_i64_e64 s10, v[2:3], v[31:32]
	s_and_b32 s9, s28, s9
	s_or_b32 s10, s4, s10
	s_or_b32 s10, s10, s9
	s_nor_b32 s6, s6, s10
	s_and_saveexec_b32 s10, s6
	s_xor_b32 s6, exec_lo, s10
	s_cbranch_execz .LBB93_25
; %bb.24:                               ;   in Loop: Header=BB93_7 Depth=2
	global_load_dwordx2 v[2:3], v[4:5], off offset:128
	s_waitcnt vmcnt(0)
	v_xor_b32_e32 v3, 0x80000000, v3
	ds_write_b64 v48, v[2:3] offset:4096
.LBB93_25:                              ;   in Loop: Header=BB93_7 Depth=2
	s_andn2_saveexec_b32 s6, s6
	s_cbranch_execz .LBB93_31
; %bb.26:                               ;   in Loop: Header=BB93_7 Depth=2
	s_xor_b32 s9, s9, -1
	s_and_saveexec_b32 s10, s9
	s_xor_b32 s9, exec_lo, s10
; %bb.27:                               ;   in Loop: Header=BB93_7 Depth=2
	v_mov_b32_e32 v2, v15
	v_mov_b32_e32 v3, v15
	ds_write_b64 v48, v[2:3] offset:4096
; %bb.28:                               ;   in Loop: Header=BB93_7 Depth=2
	s_andn2_saveexec_b32 s9, s9
; %bb.29:                               ;   in Loop: Header=BB93_7 Depth=2
	ds_write_b64 v48, v[14:15] offset:4096
; %bb.30:                               ;   in Loop: Header=BB93_7 Depth=2
	s_or_b32 exec_lo, exec_lo, s9
.LBB93_31:                              ;   in Loop: Header=BB93_7 Depth=2
	s_or_b32 exec_lo, exec_lo, s6
	s_or_b32 s5, s4, s5
	s_or_b32 s5, s5, s24
	s_nor_b32 s5, s8, s5
	s_and_saveexec_b32 s6, s5
	s_xor_b32 s6, exec_lo, s6
	s_cbranch_execz .LBB93_33
; %bb.32:                               ;   in Loop: Header=BB93_7 Depth=2
	v_add_co_u32 v2, s5, v45, v35
	v_add_co_ci_u32_e64 v3, null, v46, v36, s5
	global_load_dwordx2 v[2:3], v[2:3], off offset:128
	s_waitcnt vmcnt(0)
	v_xor_b32_e32 v3, 0x80000000, v3
	ds_write_b64 v48, v[2:3] offset:4224
.LBB93_33:                              ;   in Loop: Header=BB93_7 Depth=2
	s_andn2_saveexec_b32 s5, s6
	s_cbranch_execz .LBB93_39
; %bb.34:                               ;   in Loop: Header=BB93_7 Depth=2
	s_and_saveexec_b32 s6, s17
	s_xor_b32 s6, exec_lo, s6
; %bb.35:                               ;   in Loop: Header=BB93_7 Depth=2
	v_mov_b32_e32 v2, v15
	v_mov_b32_e32 v3, v15
	ds_write_b64 v48, v[2:3] offset:4224
; %bb.36:                               ;   in Loop: Header=BB93_7 Depth=2
	s_andn2_saveexec_b32 s6, s6
; %bb.37:                               ;   in Loop: Header=BB93_7 Depth=2
	ds_write_b64 v48, v[14:15] offset:4224
; %bb.38:                               ;   in Loop: Header=BB93_7 Depth=2
	s_or_b32 exec_lo, exec_lo, s6
.LBB93_39:                              ;   in Loop: Header=BB93_7 Depth=2
	s_or_b32 exec_lo, exec_lo, s5
	v_add_co_u32 v2, s5, v1, s12
	v_add_co_ci_u32_e64 v3, null, 0, s13, s5
	v_add_co_u32 v4, s6, v41, v53
	v_add_co_ci_u32_e64 v5, null, v42, v54, s6
	v_cmp_le_i64_e64 s5, s[14:15], v[2:3]
	s_nor_b32 s6, s5, vcc_lo
	s_and_saveexec_b32 s8, s6
	s_xor_b32 s6, exec_lo, s8
	s_cbranch_execz .LBB93_41
; %bb.40:                               ;   in Loop: Header=BB93_7 Depth=2
	global_load_dwordx2 v[6:7], v[4:5], off offset:-128
	s_waitcnt vmcnt(0)
	ds_write_b64 v50, v[6:7]
.LBB93_41:                              ;   in Loop: Header=BB93_7 Depth=2
	s_andn2_saveexec_b32 s6, s6
; %bb.42:                               ;   in Loop: Header=BB93_7 Depth=2
	v_mov_b32_e32 v6, v15
	v_mov_b32_e32 v7, v15
	ds_write_b64 v50, v[6:7]
; %bb.43:                               ;   in Loop: Header=BB93_7 Depth=2
	s_or_b32 exec_lo, exec_lo, s6
	s_nor_b32 s5, s5, s0
	s_and_saveexec_b32 s6, s5
	s_xor_b32 s5, exec_lo, s6
	s_cbranch_execz .LBB93_45
; %bb.44:                               ;   in Loop: Header=BB93_7 Depth=2
	global_load_dwordx2 v[4:5], v[4:5], off
	s_waitcnt vmcnt(0)
	ds_write_b64 v50, v[4:5] offset:128
.LBB93_45:                              ;   in Loop: Header=BB93_7 Depth=2
	s_andn2_saveexec_b32 s5, s5
; %bb.46:                               ;   in Loop: Header=BB93_7 Depth=2
	v_mov_b32_e32 v4, v15
	v_mov_b32_e32 v5, v15
	ds_write_b64 v50, v[4:5] offset:128
; %bb.47:                               ;   in Loop: Header=BB93_7 Depth=2
	s_or_b32 exec_lo, exec_lo, s5
	v_cmp_le_i64_e64 s5, s[22:23], v[2:3]
	v_add_co_u32 v2, s6, v41, v24
	v_add_co_ci_u32_e64 v3, null, v42, v55, s6
	s_nor_b32 s6, s5, vcc_lo
	s_and_saveexec_b32 s8, s6
	s_xor_b32 s6, exec_lo, s8
	s_cbranch_execz .LBB93_49
; %bb.48:                               ;   in Loop: Header=BB93_7 Depth=2
	global_load_dwordx2 v[4:5], v[2:3], off
	s_waitcnt vmcnt(0)
	ds_write_b64 v50, v[4:5] offset:4096
.LBB93_49:                              ;   in Loop: Header=BB93_7 Depth=2
	s_andn2_saveexec_b32 s6, s6
; %bb.50:                               ;   in Loop: Header=BB93_7 Depth=2
	v_mov_b32_e32 v4, v15
	v_mov_b32_e32 v5, v15
	ds_write_b64 v50, v[4:5] offset:4096
; %bb.51:                               ;   in Loop: Header=BB93_7 Depth=2
	s_or_b32 exec_lo, exec_lo, s6
	s_nor_b32 s5, s5, s0
	s_and_saveexec_b32 s6, s5
	s_xor_b32 s5, exec_lo, s6
	s_cbranch_execz .LBB93_53
; %bb.52:                               ;   in Loop: Header=BB93_7 Depth=2
	global_load_dwordx2 v[2:3], v[2:3], off offset:128
	s_waitcnt vmcnt(0)
	ds_write_b64 v50, v[2:3] offset:4224
.LBB93_53:                              ;   in Loop: Header=BB93_7 Depth=2
	s_andn2_saveexec_b32 s5, s5
	s_cbranch_execz .LBB93_6
; %bb.54:                               ;   in Loop: Header=BB93_7 Depth=2
	v_mov_b32_e32 v2, v15
	v_mov_b32_e32 v3, v15
	ds_write_b64 v50, v[2:3] offset:4224
	s_branch .LBB93_6
.LBB93_55:                              ;   in Loop: Header=BB93_4 Depth=1
	v_mul_lo_u32 v4, s41, v29
	v_mul_lo_u32 v5, s40, v30
	v_mad_u64_u32 v[2:3], null, s40, v29, 0
	v_cmp_gt_i32_e64 s3, s30, v29
	v_add3_u32 v3, v3, v5, v4
	v_lshlrev_b64 v[2:3], 3, v[2:3]
	v_add_co_u32 v2, s4, s27, v2
	v_add_co_ci_u32_e64 v3, null, s34, v3, s4
	s_and_b32 s4, s1, s3
	s_and_saveexec_b32 s5, s4
	s_cbranch_execz .LBB93_57
; %bb.56:                               ;   in Loop: Header=BB93_4 Depth=1
	v_add_co_u32 v4, s4, v2, v16
	v_add_co_ci_u32_e64 v5, null, v3, v17, s4
	v_mul_f32_e32 v8, s11, v65
	v_mul_f32_e32 v9, s31, v65
	global_load_dwordx2 v[6:7], v[4:5], off
	v_fma_f32 v8, v64, s31, -v8
	v_fmac_f32_e32 v9, s11, v64
	s_waitcnt vmcnt(0)
	v_add_f32_e32 v6, v6, v8
	v_add_f32_e32 v7, v9, v7
	global_store_dwordx2 v[4:5], v[6:7], off
.LBB93_57:                              ;   in Loop: Header=BB93_4 Depth=1
	s_or_b32 exec_lo, exec_lo, s5
	s_and_b32 s3, s2, s3
	s_and_saveexec_b32 s4, s3
	s_cbranch_execz .LBB93_59
; %bb.58:                               ;   in Loop: Header=BB93_4 Depth=1
	v_add_co_u32 v2, s3, v2, v27
	v_add_co_ci_u32_e64 v3, null, v3, v28, s3
	v_mul_f32_e32 v6, s11, v63
	v_mul_f32_e32 v7, s31, v63
	global_load_dwordx2 v[4:5], v[2:3], off
	v_fma_f32 v6, v62, s31, -v6
	v_fmac_f32_e32 v7, s11, v62
	s_waitcnt vmcnt(0)
	v_add_f32_e32 v4, v4, v6
	v_add_f32_e32 v5, v7, v5
	global_store_dwordx2 v[2:3], v[4:5], off
.LBB93_59:                              ;   in Loop: Header=BB93_4 Depth=1
	s_or_b32 exec_lo, exec_lo, s4
	v_add_nc_u32_e32 v4, 16, v29
	v_ashrrev_i32_e32 v5, 31, v4
	v_mul_lo_u32 v6, s41, v4
	v_mad_u64_u32 v[2:3], null, s40, v4, 0
	v_cmp_gt_i32_e64 s3, s30, v4
	v_mul_lo_u32 v5, s40, v5
	v_add3_u32 v3, v3, v5, v6
	v_lshlrev_b64 v[2:3], 3, v[2:3]
	v_add_co_u32 v2, s4, s27, v2
	v_add_co_ci_u32_e64 v3, null, s34, v3, s4
	s_and_b32 s4, s1, s3
	s_and_saveexec_b32 s5, s4
	s_cbranch_execz .LBB93_61
; %bb.60:                               ;   in Loop: Header=BB93_4 Depth=1
	v_add_co_u32 v4, s4, v2, v16
	v_add_co_ci_u32_e64 v5, null, v3, v17, s4
	v_mul_f32_e32 v8, s11, v61
	v_mul_f32_e32 v9, s31, v61
	global_load_dwordx2 v[6:7], v[4:5], off
	v_fma_f32 v8, v60, s31, -v8
	v_fmac_f32_e32 v9, s11, v60
	s_waitcnt vmcnt(0)
	v_add_f32_e32 v6, v6, v8
	v_add_f32_e32 v7, v9, v7
	global_store_dwordx2 v[4:5], v[6:7], off
.LBB93_61:                              ;   in Loop: Header=BB93_4 Depth=1
	s_or_b32 exec_lo, exec_lo, s5
	s_and_b32 s3, s2, s3
	s_and_saveexec_b32 s4, s3
	s_cbranch_execz .LBB93_3
; %bb.62:                               ;   in Loop: Header=BB93_4 Depth=1
	v_add_co_u32 v2, s3, v2, v27
	v_add_co_ci_u32_e64 v3, null, v3, v28, s3
	v_mul_f32_e32 v6, s11, v26
	v_mul_f32_e32 v7, s31, v26
	global_load_dwordx2 v[4:5], v[2:3], off
	v_fma_f32 v6, v59, s31, -v6
	v_fmac_f32_e32 v7, s11, v59
	s_waitcnt vmcnt(0)
	v_add_f32_e32 v4, v4, v6
	v_add_f32_e32 v5, v7, v5
	global_store_dwordx2 v[2:3], v[4:5], off
	s_branch .LBB93_3
.LBB93_63:
	s_endpgm
	.section	.rodata,"a",@progbits
	.p2align	6, 0x0
	.amdhsa_kernel _ZL30rocblas_trmm_outofplace_kernelI19rocblas_complex_numIfELi32ELi2ELb0ELb0ELb1ELb1ES1_KS1_S1_Ev17rocblas_diagonal_iiT6_lPT7_lllS6_lllPT8_llli
		.amdhsa_group_segment_fixed_size 16384
		.amdhsa_private_segment_fixed_size 0
		.amdhsa_kernarg_size 392
		.amdhsa_user_sgpr_count 6
		.amdhsa_user_sgpr_private_segment_buffer 1
		.amdhsa_user_sgpr_dispatch_ptr 0
		.amdhsa_user_sgpr_queue_ptr 0
		.amdhsa_user_sgpr_kernarg_segment_ptr 1
		.amdhsa_user_sgpr_dispatch_id 0
		.amdhsa_user_sgpr_flat_scratch_init 0
		.amdhsa_user_sgpr_private_segment_size 0
		.amdhsa_wavefront_size32 1
		.amdhsa_uses_dynamic_stack 0
		.amdhsa_system_sgpr_private_segment_wavefront_offset 0
		.amdhsa_system_sgpr_workgroup_id_x 1
		.amdhsa_system_sgpr_workgroup_id_y 1
		.amdhsa_system_sgpr_workgroup_id_z 1
		.amdhsa_system_sgpr_workgroup_info 0
		.amdhsa_system_vgpr_workitem_id 1
		.amdhsa_next_free_vgpr 77
		.amdhsa_next_free_sgpr 46
		.amdhsa_reserve_vcc 1
		.amdhsa_reserve_flat_scratch 0
		.amdhsa_float_round_mode_32 0
		.amdhsa_float_round_mode_16_64 0
		.amdhsa_float_denorm_mode_32 3
		.amdhsa_float_denorm_mode_16_64 3
		.amdhsa_dx10_clamp 1
		.amdhsa_ieee_mode 1
		.amdhsa_fp16_overflow 0
		.amdhsa_workgroup_processor_mode 1
		.amdhsa_memory_ordered 1
		.amdhsa_forward_progress 1
		.amdhsa_shared_vgpr_count 0
		.amdhsa_exception_fp_ieee_invalid_op 0
		.amdhsa_exception_fp_denorm_src 0
		.amdhsa_exception_fp_ieee_div_zero 0
		.amdhsa_exception_fp_ieee_overflow 0
		.amdhsa_exception_fp_ieee_underflow 0
		.amdhsa_exception_fp_ieee_inexact 0
		.amdhsa_exception_int_div_zero 0
	.end_amdhsa_kernel
	.section	.text._ZL30rocblas_trmm_outofplace_kernelI19rocblas_complex_numIfELi32ELi2ELb0ELb0ELb1ELb1ES1_KS1_S1_Ev17rocblas_diagonal_iiT6_lPT7_lllS6_lllPT8_llli,"axG",@progbits,_ZL30rocblas_trmm_outofplace_kernelI19rocblas_complex_numIfELi32ELi2ELb0ELb0ELb1ELb1ES1_KS1_S1_Ev17rocblas_diagonal_iiT6_lPT7_lllS6_lllPT8_llli,comdat
.Lfunc_end93:
	.size	_ZL30rocblas_trmm_outofplace_kernelI19rocblas_complex_numIfELi32ELi2ELb0ELb0ELb1ELb1ES1_KS1_S1_Ev17rocblas_diagonal_iiT6_lPT7_lllS6_lllPT8_llli, .Lfunc_end93-_ZL30rocblas_trmm_outofplace_kernelI19rocblas_complex_numIfELi32ELi2ELb0ELb0ELb1ELb1ES1_KS1_S1_Ev17rocblas_diagonal_iiT6_lPT7_lllS6_lllPT8_llli
                                        ; -- End function
	.set _ZL30rocblas_trmm_outofplace_kernelI19rocblas_complex_numIfELi32ELi2ELb0ELb0ELb1ELb1ES1_KS1_S1_Ev17rocblas_diagonal_iiT6_lPT7_lllS6_lllPT8_llli.num_vgpr, 77
	.set _ZL30rocblas_trmm_outofplace_kernelI19rocblas_complex_numIfELi32ELi2ELb0ELb0ELb1ELb1ES1_KS1_S1_Ev17rocblas_diagonal_iiT6_lPT7_lllS6_lllPT8_llli.num_agpr, 0
	.set _ZL30rocblas_trmm_outofplace_kernelI19rocblas_complex_numIfELi32ELi2ELb0ELb0ELb1ELb1ES1_KS1_S1_Ev17rocblas_diagonal_iiT6_lPT7_lllS6_lllPT8_llli.numbered_sgpr, 46
	.set _ZL30rocblas_trmm_outofplace_kernelI19rocblas_complex_numIfELi32ELi2ELb0ELb0ELb1ELb1ES1_KS1_S1_Ev17rocblas_diagonal_iiT6_lPT7_lllS6_lllPT8_llli.num_named_barrier, 0
	.set _ZL30rocblas_trmm_outofplace_kernelI19rocblas_complex_numIfELi32ELi2ELb0ELb0ELb1ELb1ES1_KS1_S1_Ev17rocblas_diagonal_iiT6_lPT7_lllS6_lllPT8_llli.private_seg_size, 0
	.set _ZL30rocblas_trmm_outofplace_kernelI19rocblas_complex_numIfELi32ELi2ELb0ELb0ELb1ELb1ES1_KS1_S1_Ev17rocblas_diagonal_iiT6_lPT7_lllS6_lllPT8_llli.uses_vcc, 1
	.set _ZL30rocblas_trmm_outofplace_kernelI19rocblas_complex_numIfELi32ELi2ELb0ELb0ELb1ELb1ES1_KS1_S1_Ev17rocblas_diagonal_iiT6_lPT7_lllS6_lllPT8_llli.uses_flat_scratch, 0
	.set _ZL30rocblas_trmm_outofplace_kernelI19rocblas_complex_numIfELi32ELi2ELb0ELb0ELb1ELb1ES1_KS1_S1_Ev17rocblas_diagonal_iiT6_lPT7_lllS6_lllPT8_llli.has_dyn_sized_stack, 0
	.set _ZL30rocblas_trmm_outofplace_kernelI19rocblas_complex_numIfELi32ELi2ELb0ELb0ELb1ELb1ES1_KS1_S1_Ev17rocblas_diagonal_iiT6_lPT7_lllS6_lllPT8_llli.has_recursion, 0
	.set _ZL30rocblas_trmm_outofplace_kernelI19rocblas_complex_numIfELi32ELi2ELb0ELb0ELb1ELb1ES1_KS1_S1_Ev17rocblas_diagonal_iiT6_lPT7_lllS6_lllPT8_llli.has_indirect_call, 0
	.section	.AMDGPU.csdata,"",@progbits
; Kernel info:
; codeLenInByte = 6588
; TotalNumSgprs: 48
; NumVgprs: 77
; ScratchSize: 0
; MemoryBound: 0
; FloatMode: 240
; IeeeMode: 1
; LDSByteSize: 16384 bytes/workgroup (compile time only)
; SGPRBlocks: 0
; VGPRBlocks: 9
; NumSGPRsForWavesPerEU: 48
; NumVGPRsForWavesPerEU: 77
; Occupancy: 12
; WaveLimiterHint : 0
; COMPUTE_PGM_RSRC2:SCRATCH_EN: 0
; COMPUTE_PGM_RSRC2:USER_SGPR: 6
; COMPUTE_PGM_RSRC2:TRAP_HANDLER: 0
; COMPUTE_PGM_RSRC2:TGID_X_EN: 1
; COMPUTE_PGM_RSRC2:TGID_Y_EN: 1
; COMPUTE_PGM_RSRC2:TGID_Z_EN: 1
; COMPUTE_PGM_RSRC2:TIDIG_COMP_CNT: 1
	.section	.text._ZL30rocblas_trmm_outofplace_kernelI19rocblas_complex_numIfELi32ELi2ELb0ELb1ELb1ELb1EPKS1_S2_S1_Ev17rocblas_diagonal_iiT6_lPT7_lllS7_lllPT8_llli,"axG",@progbits,_ZL30rocblas_trmm_outofplace_kernelI19rocblas_complex_numIfELi32ELi2ELb0ELb1ELb1ELb1EPKS1_S2_S1_Ev17rocblas_diagonal_iiT6_lPT7_lllS7_lllPT8_llli,comdat
	.globl	_ZL30rocblas_trmm_outofplace_kernelI19rocblas_complex_numIfELi32ELi2ELb0ELb1ELb1ELb1EPKS1_S2_S1_Ev17rocblas_diagonal_iiT6_lPT7_lllS7_lllPT8_llli ; -- Begin function _ZL30rocblas_trmm_outofplace_kernelI19rocblas_complex_numIfELi32ELi2ELb0ELb1ELb1ELb1EPKS1_S2_S1_Ev17rocblas_diagonal_iiT6_lPT7_lllS7_lllPT8_llli
	.p2align	8
	.type	_ZL30rocblas_trmm_outofplace_kernelI19rocblas_complex_numIfELi32ELi2ELb0ELb1ELb1ELb1EPKS1_S2_S1_Ev17rocblas_diagonal_iiT6_lPT7_lllS7_lllPT8_llli,@function
_ZL30rocblas_trmm_outofplace_kernelI19rocblas_complex_numIfELi32ELi2ELb0ELb1ELb1ELb1EPKS1_S2_S1_Ev17rocblas_diagonal_iiT6_lPT7_lllS7_lllPT8_llli: ; @_ZL30rocblas_trmm_outofplace_kernelI19rocblas_complex_numIfELi32ELi2ELb0ELb1ELb1ELb1EPKS1_S2_S1_Ev17rocblas_diagonal_iiT6_lPT7_lllS7_lllPT8_llli
; %bb.0:
	s_load_dwordx16 s[12:27], s[4:5], 0x10
	s_waitcnt lgkmcnt(0)
	s_mul_i32 s0, s15, s8
	s_mul_hi_u32 s1, s14, s8
	s_add_i32 s1, s1, s0
	s_mul_i32 s0, s14, s8
	s_lshl_b64 s[0:1], s[0:1], 3
	s_add_u32 s0, s12, s0
	s_addc_u32 s1, s13, s1
	s_load_dwordx2 s[34:35], s[0:1], 0x0
	s_waitcnt lgkmcnt(0)
	s_or_b32 s0, s34, s35
	s_bitset0_b32 s0, 31
	s_cmp_eq_u32 s0, 0
	s_cbranch_scc1 .LBB94_64
; %bb.1:
	s_load_dwordx4 s[12:15], s[4:5], 0x0
	s_waitcnt lgkmcnt(0)
	s_add_i32 s0, s14, -1
	s_ashr_i32 s1, s0, 31
	s_lshr_b32 s1, s1, 27
	s_add_i32 s0, s0, s1
	s_ashr_i32 s11, s0, 5
	s_cmp_gt_i32 s7, s11
	s_cbranch_scc1 .LBB94_64
; %bb.2:
	s_clause 0x2
	s_load_dwordx4 s[28:31], s[4:5], 0x70
	s_load_dwordx8 s[36:43], s[4:5], 0x50
	s_load_dword s33, s[4:5], 0x8c
	v_lshl_add_u32 v2, s6, 5, v0
	v_lshlrev_b32_e32 v48, 8, v1
	v_lshlrev_b32_e32 v4, 3, v0
	s_mul_i32 s4, s23, s8
	s_mul_hi_u32 s5, s22, s8
	v_add_nc_u32_e32 v14, 16, v2
	v_cmp_gt_i32_e32 vcc_lo, s13, v2
	v_add_nc_u32_e32 v49, v48, v4
	v_or_b32_e32 v50, 0x2000, v4
	v_ashrrev_i32_e32 v3, 31, v2
	v_ashrrev_i32_e32 v15, 31, v14
	v_mov_b32_e32 v25, 0
	v_mov_b32_e32 v24, 1.0
	v_add_nc_u32_e32 v51, v50, v48
	v_lshlrev_b64 v[20:21], 3, v[2:3]
	v_add_nc_u32_e32 v52, 0x1000, v50
	v_add_nc_u32_e32 v53, 0x1800, v50
	s_waitcnt lgkmcnt(0)
	s_mul_i32 s1, s31, s8
	s_mul_hi_u32 s2, s30, s8
	s_mul_i32 s0, s30, s8
	s_add_i32 s1, s2, s1
	s_lshl_b64 s[0:1], s[0:1], 3
	s_add_u32 s6, s40, s0
	s_addc_u32 s1, s41, s1
	s_lshl_b64 s[2:3], s[42:43], 3
	v_cmp_gt_i32_e64 s0, s13, v14
	s_add_u32 s42, s6, s2
	s_addc_u32 s43, s1, s3
	s_cmpk_eq_i32 s12, 0x84
	v_sub_co_u32 v4, s1, s13, v2
	s_cselect_b32 s44, -1, 0
	s_ashr_i32 s15, s14, 31
	s_ashr_i32 s2, s13, 31
	s_lshl_b64 s[30:31], s[20:21], 8
	s_lshl_b64 s[12:13], s[36:37], 8
	s_add_u32 s40, s14, -16
	s_addc_u32 s41, s15, -1
	s_add_i32 s5, s5, s4
	s_mul_i32 s4, s22, s8
	s_lshl_b64 s[18:19], s[18:19], 3
	s_lshl_b64 s[4:5], s[4:5], 3
	s_lshl_b32 s3, s7, 5
	s_lshl_b32 s45, s33, 5
	s_add_u32 s4, s4, s18
	s_addc_u32 s5, s5, s19
	s_add_u32 s16, s16, s4
	s_addc_u32 s17, s17, s5
	s_lshl_b64 s[18:19], s[20:21], 3
	s_mul_i32 s4, s39, s8
	s_mul_hi_u32 s5, s38, s8
	s_add_u32 s22, s24, 0x80
	s_addc_u32 s23, s25, 0
	s_add_i32 s5, s5, s4
	s_mul_i32 s4, s38, s8
	v_sub_co_ci_u32_e64 v5, null, s2, v3, s1
	s_lshl_b64 s[4:5], s[4:5], 3
	s_lshl_b64 s[8:9], s[26:27], 3
	s_lshl_b64 s[26:27], s[36:37], 3
	v_add_nc_u32_e32 v16, s3, v0
	v_add_nc_u32_e32 v18, s3, v1
	s_add_u32 s3, s4, s8
	s_addc_u32 s4, s5, s9
	v_add_co_u32 v22, s3, s3, v20
	v_cmp_gt_i64_e64 s1, 1, v[4:5]
	v_cmp_gt_i64_e64 s2, 17, v[4:5]
	v_add_co_ci_u32_e64 v23, null, s4, v21, s3
	v_add_nc_u32_e32 v0, 0x800, v50
	s_branch .LBB94_4
.LBB94_3:                               ;   in Loop: Header=BB94_4 Depth=1
	s_or_b32 exec_lo, exec_lo, s4
	v_add_nc_u32_e32 v16, s45, v16
	v_add_nc_u32_e32 v18, s45, v18
	s_add_i32 s7, s33, s7
	s_cmp_le_i32 s7, s11
	s_cbranch_scc0 .LBB94_64
.LBB94_4:                               ; =>This Loop Header: Depth=1
                                        ;     Child Loop BB94_7 Depth 2
	s_lshl_b32 s3, s7, 5
	v_ashrrev_i32_e32 v17, 31, v16
	v_add_nc_u32_e32 v26, s3, v1
	v_ashrrev_i32_e32 v19, 31, v18
	s_sub_i32 s46, s14, s3
	s_cmp_lt_i32 s46, 1
	v_ashrrev_i32_e32 v27, 31, v26
	s_cbranch_scc1 .LBB94_55
; %bb.5:                                ;   in Loop: Header=BB94_4 Depth=1
	v_lshlrev_b64 v[2:3], 3, v[16:17]
	v_lshlrev_b64 v[30:31], 3, v[18:19]
	v_mad_u64_u32 v[34:35], null, s18, v16, s[16:17]
	v_mul_lo_u32 v5, s19, v16
	v_mad_u64_u32 v[36:37], null, s26, v18, s[22:23]
	v_add_co_u32 v2, s3, 0x80, v2
	v_add_co_ci_u32_e64 v3, null, 0, v3, s3
	v_sub_co_u32 v28, s3, v18, v16
	v_sub_co_ci_u32_e64 v29, null, v19, v17, s3
	v_add_co_u32 v6, s3, 0x80, v30
	v_add_co_ci_u32_e64 v7, null, 0, v31, s3
	v_mul_lo_u32 v3, s20, v3
	v_mul_lo_u32 v4, s21, v2
	v_mad_u64_u32 v[32:33], null, s20, v2, s[16:17]
	v_mul_lo_u32 v2, s18, v17
	v_mul_lo_u32 v8, s26, v19
	;; [unrolled: 1-line block ×5, first 2 shown]
	v_mad_u64_u32 v[38:39], null, s36, v6, s[24:25]
	v_add_co_u32 v40, s3, v26, 16
	v_add_co_ci_u32_e64 v41, null, 0, v27, s3
	v_add_co_u32 v42, s5, v28, 16
	v_add_co_ci_u32_e64 v43, null, 0, v29, s5
	v_add_co_u32 v44, s5, v28, -16
	v_cmp_le_i64_e64 s4, s[14:15], v[40:41]
	v_mov_b32_e32 v47, v23
	v_add3_u32 v33, v4, v33, v3
	v_add3_u32 v35, v5, v35, v2
	;; [unrolled: 1-line block ×4, first 2 shown]
	v_cmp_le_i32_e64 s3, s14, v26
	v_add_co_ci_u32_e64 v45, null, -1, v29, s5
	v_mov_b32_e32 v54, 0
	v_mov_b32_e32 v46, v22
	v_mov_b32_e32 v55, 0
	v_mov_b32_e32 v57, 0
	v_mov_b32_e32 v56, 0
	v_mov_b32_e32 v59, 0
	v_mov_b32_e32 v58, 0
	v_mov_b32_e32 v61, 0
	v_mov_b32_e32 v60, 0
	s_mov_b64 s[38:39], 0
	s_branch .LBB94_7
.LBB94_6:                               ;   in Loop: Header=BB94_7 Depth=2
	s_or_b32 exec_lo, exec_lo, s5
	s_waitcnt lgkmcnt(0)
	s_barrier
	buffer_gl0_inv
	ds_read_b128 v[62:65], v48
	ds_read_b128 v[10:13], v48 offset:16
	ds_read_b128 v[6:9], v48 offset:32
	;; [unrolled: 1-line block ×3, first 2 shown]
	ds_read2_b64 v[66:69], v50 offset1:16
	v_add_co_u32 v32, s5, v32, s30
	v_add_co_ci_u32_e64 v33, null, s31, v33, s5
	v_add_co_u32 v34, s5, v34, s30
	v_add_co_ci_u32_e64 v35, null, s31, v35, s5
	;; [unrolled: 2-line block ×3, first 2 shown]
	s_add_u32 s38, s38, 32
	s_addc_u32 s39, s39, 0
	s_cmp_ge_i32 s38, s46
	s_waitcnt lgkmcnt(0)
	v_mul_f32_e32 v70, v63, v67
	v_mul_f32_e32 v71, v62, v67
	v_fma_f32 v70, v62, v66, -v70
	v_fmac_f32_e32 v71, v63, v66
	v_add_f32_e32 v70, v60, v70
	v_add_f32_e32 v71, v61, v71
	v_mul_f32_e32 v60, v63, v69
	v_mul_f32_e32 v61, v62, v69
	v_fma_f32 v60, v62, v68, -v60
	v_fmac_f32_e32 v61, v63, v68
	v_add_f32_e32 v62, v58, v60
	v_add_f32_e32 v63, v59, v61
	ds_read_b128 v[58:61], v48 offset:4096
	s_waitcnt lgkmcnt(0)
	v_mul_f32_e32 v72, v59, v67
	v_mul_f32_e32 v67, v58, v67
	v_fma_f32 v72, v58, v66, -v72
	v_fmac_f32_e32 v67, v59, v66
	v_add_f32_e32 v66, v56, v72
	v_add_f32_e32 v67, v57, v67
	v_mul_f32_e32 v56, v59, v69
	v_mul_f32_e32 v57, v58, v69
	v_fma_f32 v56, v58, v68, -v56
	v_fmac_f32_e32 v57, v59, v68
	v_add_f32_e32 v58, v55, v56
	v_add_f32_e32 v59, v54, v57
	ds_read2_b64 v[54:57], v50 offset0:32 offset1:48
	s_waitcnt lgkmcnt(0)
	v_mul_f32_e32 v68, v65, v55
	v_mul_f32_e32 v69, v64, v55
	v_fma_f32 v68, v64, v54, -v68
	v_fmac_f32_e32 v69, v65, v54
	v_add_f32_e32 v68, v70, v68
	v_mul_f32_e32 v70, v65, v57
	v_add_f32_e32 v69, v71, v69
	v_fma_f32 v70, v64, v56, -v70
	v_mul_f32_e32 v64, v64, v57
	v_add_f32_e32 v62, v62, v70
	v_fmac_f32_e32 v64, v65, v56
	v_add_f32_e32 v63, v63, v64
	v_mul_f32_e32 v64, v61, v55
	v_mul_f32_e32 v55, v60, v55
	v_fma_f32 v64, v60, v54, -v64
	v_fmac_f32_e32 v55, v61, v54
	v_mul_f32_e32 v54, v61, v57
	v_add_f32_e32 v64, v66, v64
	v_add_f32_e32 v65, v67, v55
	v_mul_f32_e32 v55, v60, v57
	v_fma_f32 v54, v60, v56, -v54
	v_fmac_f32_e32 v55, v61, v56
	v_add_f32_e32 v66, v58, v54
	v_add_f32_e32 v67, v59, v55
	ds_read2_b64 v[54:57], v50 offset0:64 offset1:80
	s_waitcnt lgkmcnt(0)
	v_mul_f32_e32 v58, v11, v55
	v_mul_f32_e32 v59, v10, v55
	v_fma_f32 v58, v10, v54, -v58
	v_fmac_f32_e32 v59, v11, v54
	v_add_f32_e32 v68, v68, v58
	v_mul_f32_e32 v58, v11, v57
	v_add_f32_e32 v69, v69, v59
	v_fma_f32 v58, v10, v56, -v58
	v_mul_f32_e32 v10, v10, v57
	v_fmac_f32_e32 v10, v11, v56
	v_add_f32_e32 v11, v62, v58
	ds_read_b128 v[58:61], v48 offset:4112
	v_add_f32_e32 v10, v63, v10
	s_waitcnt lgkmcnt(0)
	v_mul_f32_e32 v62, v59, v55
	v_mul_f32_e32 v55, v58, v55
	v_fma_f32 v62, v58, v54, -v62
	v_fmac_f32_e32 v55, v59, v54
	v_mul_f32_e32 v54, v59, v57
	v_add_f32_e32 v62, v64, v62
	v_add_f32_e32 v63, v65, v55
	v_mul_f32_e32 v55, v58, v57
	v_fma_f32 v54, v58, v56, -v54
	v_fmac_f32_e32 v55, v59, v56
	v_add_f32_e32 v58, v66, v54
	v_add_f32_e32 v59, v67, v55
	ds_read2_b64 v[54:57], v50 offset0:96 offset1:112
	s_waitcnt lgkmcnt(0)
	v_mul_f32_e32 v64, v13, v55
	v_mul_f32_e32 v66, v13, v57
	;; [unrolled: 1-line block ×3, first 2 shown]
	v_fma_f32 v64, v12, v54, -v64
	v_fma_f32 v66, v12, v56, -v66
	v_mul_f32_e32 v12, v12, v57
	v_fmac_f32_e32 v65, v13, v54
	v_add_f32_e32 v64, v68, v64
	v_add_f32_e32 v66, v11, v66
	v_fmac_f32_e32 v12, v13, v56
	v_mul_f32_e32 v11, v60, v55
	v_add_f32_e32 v65, v69, v65
	v_add_f32_e32 v67, v10, v12
	v_mul_f32_e32 v10, v61, v55
	v_fmac_f32_e32 v11, v61, v54
	v_fma_f32 v10, v60, v54, -v10
	v_add_f32_e32 v63, v63, v11
	v_mul_f32_e32 v11, v60, v57
	v_add_f32_e32 v62, v62, v10
	v_mul_f32_e32 v10, v61, v57
	v_fmac_f32_e32 v11, v61, v56
	v_fma_f32 v10, v60, v56, -v10
	v_add_f32_e32 v59, v59, v11
	v_add_f32_e32 v58, v58, v10
	ds_read2_b64 v[10:13], v50 offset0:128 offset1:144
	s_waitcnt lgkmcnt(0)
	v_mul_f32_e32 v54, v7, v11
	v_mul_f32_e32 v55, v6, v11
	v_fma_f32 v54, v6, v10, -v54
	v_fmac_f32_e32 v55, v7, v10
	v_add_f32_e32 v60, v64, v54
	v_mul_f32_e32 v54, v7, v13
	v_add_f32_e32 v61, v65, v55
	v_fma_f32 v54, v6, v12, -v54
	v_mul_f32_e32 v6, v6, v13
	v_fmac_f32_e32 v6, v7, v12
	v_add_f32_e32 v7, v66, v54
	ds_read_b128 v[54:57], v48 offset:4128
	v_add_f32_e32 v6, v67, v6
	s_waitcnt lgkmcnt(0)
	v_mul_f32_e32 v64, v55, v11
	v_mul_f32_e32 v11, v54, v11
	v_fma_f32 v64, v54, v10, -v64
	v_fmac_f32_e32 v11, v55, v10
	v_mul_f32_e32 v10, v55, v13
	v_add_f32_e32 v62, v62, v64
	v_add_f32_e32 v63, v63, v11
	v_mul_f32_e32 v11, v54, v13
	v_fma_f32 v10, v54, v12, -v10
	v_fmac_f32_e32 v11, v55, v12
	v_add_f32_e32 v54, v58, v10
	v_add_f32_e32 v55, v59, v11
	ds_read2_b64 v[10:13], v50 offset0:160 offset1:176
	s_waitcnt lgkmcnt(0)
	v_mul_f32_e32 v58, v9, v11
	v_mul_f32_e32 v59, v8, v11
	v_fma_f32 v58, v8, v10, -v58
	v_fmac_f32_e32 v59, v9, v10
	v_add_f32_e32 v58, v60, v58
	v_mul_f32_e32 v60, v9, v13
	v_add_f32_e32 v59, v61, v59
	v_fma_f32 v60, v8, v12, -v60
	v_mul_f32_e32 v8, v8, v13
	v_add_f32_e32 v60, v7, v60
	v_fmac_f32_e32 v8, v9, v12
	v_mul_f32_e32 v7, v56, v11
	v_add_f32_e32 v61, v6, v8
	v_mul_f32_e32 v6, v57, v11
	v_fmac_f32_e32 v7, v57, v10
	v_fma_f32 v6, v56, v10, -v6
	v_add_f32_e32 v63, v63, v7
	v_mul_f32_e32 v7, v56, v13
	v_add_f32_e32 v62, v62, v6
	v_mul_f32_e32 v6, v57, v13
	v_fmac_f32_e32 v7, v57, v12
	v_fma_f32 v6, v56, v12, -v6
	v_add_f32_e32 v55, v55, v7
	v_add_f32_e32 v54, v54, v6
	ds_read2_b64 v[6:9], v50 offset0:192 offset1:208
	s_waitcnt lgkmcnt(0)
	v_mul_f32_e32 v10, v3, v7
	v_mul_f32_e32 v11, v2, v7
	v_fma_f32 v10, v2, v6, -v10
	v_fmac_f32_e32 v11, v3, v6
	v_add_f32_e32 v56, v58, v10
	v_mul_f32_e32 v10, v3, v9
	v_add_f32_e32 v57, v59, v11
	v_fma_f32 v10, v2, v8, -v10
	v_mul_f32_e32 v2, v2, v9
	v_fmac_f32_e32 v2, v3, v8
	v_add_f32_e32 v3, v60, v10
	ds_read_b128 v[10:13], v48 offset:4144
	v_add_f32_e32 v2, v61, v2
	s_waitcnt lgkmcnt(0)
	v_mul_f32_e32 v58, v11, v7
	v_mul_f32_e32 v7, v10, v7
	v_fma_f32 v58, v10, v6, -v58
	v_fmac_f32_e32 v7, v11, v6
	v_mul_f32_e32 v6, v11, v9
	v_add_f32_e32 v58, v62, v58
	v_add_f32_e32 v59, v63, v7
	v_mul_f32_e32 v7, v10, v9
	v_fma_f32 v6, v10, v8, -v6
	v_fmac_f32_e32 v7, v11, v8
	v_add_f32_e32 v10, v54, v6
	v_add_f32_e32 v11, v55, v7
	ds_read2_b64 v[6:9], v50 offset0:224 offset1:240
	s_waitcnt lgkmcnt(0)
	v_mul_f32_e32 v54, v5, v7
	v_mul_f32_e32 v55, v4, v7
	v_fma_f32 v54, v4, v6, -v54
	v_fmac_f32_e32 v55, v5, v6
	v_add_f32_e32 v54, v56, v54
	v_mul_f32_e32 v56, v5, v9
	v_add_f32_e32 v55, v57, v55
	v_fma_f32 v56, v4, v8, -v56
	v_mul_f32_e32 v4, v4, v9
	v_add_f32_e32 v56, v3, v56
	v_fmac_f32_e32 v4, v5, v8
	v_mul_f32_e32 v3, v12, v7
	v_add_f32_e32 v57, v2, v4
	v_mul_f32_e32 v2, v13, v7
	v_fmac_f32_e32 v3, v13, v6
	v_fma_f32 v2, v12, v6, -v2
	v_add_f32_e32 v59, v59, v3
	v_mul_f32_e32 v3, v12, v9
	v_add_f32_e32 v58, v58, v2
	v_mul_f32_e32 v2, v13, v9
	v_fmac_f32_e32 v3, v13, v8
	v_fma_f32 v2, v12, v8, -v2
	v_add_f32_e32 v61, v11, v3
	v_add_f32_e32 v60, v10, v2
	ds_read_b128 v[2:5], v48 offset:64
	ds_read2_b64 v[6:9], v0 offset1:16
	s_waitcnt lgkmcnt(0)
	v_mul_f32_e32 v10, v3, v7
	v_mul_f32_e32 v11, v2, v7
	v_fma_f32 v10, v2, v6, -v10
	v_fmac_f32_e32 v11, v3, v6
	v_add_f32_e32 v54, v54, v10
	v_mul_f32_e32 v10, v3, v9
	v_add_f32_e32 v55, v55, v11
	v_fma_f32 v10, v2, v8, -v10
	v_mul_f32_e32 v2, v2, v9
	v_fmac_f32_e32 v2, v3, v8
	v_add_f32_e32 v3, v56, v10
	ds_read_b128 v[10:13], v48 offset:4160
	v_add_f32_e32 v2, v57, v2
	s_waitcnt lgkmcnt(0)
	v_mul_f32_e32 v56, v11, v7
	v_mul_f32_e32 v7, v10, v7
	v_fma_f32 v56, v10, v6, -v56
	v_fmac_f32_e32 v7, v11, v6
	v_mul_f32_e32 v6, v11, v9
	v_add_f32_e32 v56, v58, v56
	v_add_f32_e32 v57, v59, v7
	v_mul_f32_e32 v7, v10, v9
	v_fma_f32 v6, v10, v8, -v6
	v_fmac_f32_e32 v7, v11, v8
	v_add_f32_e32 v10, v60, v6
	v_add_f32_e32 v11, v61, v7
	ds_read2_b64 v[6:9], v0 offset0:32 offset1:48
	s_waitcnt lgkmcnt(0)
	v_mul_f32_e32 v58, v5, v7
	v_mul_f32_e32 v59, v4, v7
	v_fma_f32 v58, v4, v6, -v58
	v_fmac_f32_e32 v59, v5, v6
	v_add_f32_e32 v54, v54, v58
	v_mul_f32_e32 v58, v5, v9
	v_add_f32_e32 v55, v55, v59
	v_fma_f32 v58, v4, v8, -v58
	v_mul_f32_e32 v4, v4, v9
	v_add_f32_e32 v58, v3, v58
	v_fmac_f32_e32 v4, v5, v8
	v_mul_f32_e32 v3, v12, v7
	v_add_f32_e32 v59, v2, v4
	v_mul_f32_e32 v2, v13, v7
	v_fmac_f32_e32 v3, v13, v6
	v_fma_f32 v2, v12, v6, -v2
	v_add_f32_e32 v57, v57, v3
	v_mul_f32_e32 v3, v12, v9
	v_add_f32_e32 v56, v56, v2
	v_mul_f32_e32 v2, v13, v9
	v_fmac_f32_e32 v3, v13, v8
	v_fma_f32 v2, v12, v8, -v2
	v_add_f32_e32 v61, v11, v3
	v_add_f32_e32 v60, v10, v2
	ds_read_b128 v[2:5], v48 offset:80
	ds_read2_b64 v[6:9], v0 offset0:64 offset1:80
	s_waitcnt lgkmcnt(0)
	v_mul_f32_e32 v10, v3, v7
	v_mul_f32_e32 v11, v2, v7
	v_fma_f32 v10, v2, v6, -v10
	v_fmac_f32_e32 v11, v3, v6
	v_add_f32_e32 v54, v54, v10
	v_mul_f32_e32 v10, v3, v9
	v_add_f32_e32 v55, v55, v11
	v_fma_f32 v10, v2, v8, -v10
	v_mul_f32_e32 v2, v2, v9
	v_fmac_f32_e32 v2, v3, v8
	v_add_f32_e32 v3, v58, v10
	ds_read_b128 v[10:13], v48 offset:4176
	v_add_f32_e32 v2, v59, v2
	s_waitcnt lgkmcnt(0)
	v_mul_f32_e32 v58, v11, v7
	v_mul_f32_e32 v7, v10, v7
	v_fma_f32 v58, v10, v6, -v58
	v_fmac_f32_e32 v7, v11, v6
	v_mul_f32_e32 v6, v11, v9
	v_add_f32_e32 v56, v56, v58
	v_add_f32_e32 v57, v57, v7
	v_mul_f32_e32 v7, v10, v9
	v_fma_f32 v6, v10, v8, -v6
	v_fmac_f32_e32 v7, v11, v8
	v_add_f32_e32 v10, v60, v6
	v_add_f32_e32 v11, v61, v7
	ds_read2_b64 v[6:9], v0 offset0:96 offset1:112
	s_waitcnt lgkmcnt(0)
	v_mul_f32_e32 v58, v5, v7
	v_mul_f32_e32 v59, v4, v7
	v_fma_f32 v58, v4, v6, -v58
	v_fmac_f32_e32 v59, v5, v6
	v_add_f32_e32 v54, v54, v58
	v_mul_f32_e32 v58, v5, v9
	v_add_f32_e32 v55, v55, v59
	v_fma_f32 v58, v4, v8, -v58
	v_mul_f32_e32 v4, v4, v9
	v_add_f32_e32 v58, v3, v58
	v_fmac_f32_e32 v4, v5, v8
	v_mul_f32_e32 v3, v12, v7
	v_add_f32_e32 v59, v2, v4
	v_mul_f32_e32 v2, v13, v7
	v_fmac_f32_e32 v3, v13, v6
	v_fma_f32 v2, v12, v6, -v2
	v_add_f32_e32 v57, v57, v3
	v_mul_f32_e32 v3, v12, v9
	v_add_f32_e32 v56, v56, v2
	v_mul_f32_e32 v2, v13, v9
	v_fmac_f32_e32 v3, v13, v8
	v_fma_f32 v2, v12, v8, -v2
	v_add_f32_e32 v61, v11, v3
	v_add_f32_e32 v60, v10, v2
	ds_read_b128 v[2:5], v48 offset:96
	ds_read2_b64 v[6:9], v0 offset0:128 offset1:144
	;; [unrolled: 55-line block ×3, first 2 shown]
	s_waitcnt lgkmcnt(0)
	v_mul_f32_e32 v10, v3, v7
	v_mul_f32_e32 v11, v2, v7
	v_fma_f32 v10, v2, v6, -v10
	v_fmac_f32_e32 v11, v3, v6
	v_add_f32_e32 v54, v54, v10
	v_mul_f32_e32 v10, v3, v9
	v_add_f32_e32 v55, v55, v11
	v_fma_f32 v10, v2, v8, -v10
	v_mul_f32_e32 v2, v2, v9
	v_fmac_f32_e32 v2, v3, v8
	v_add_f32_e32 v3, v58, v10
	ds_read_b128 v[10:13], v48 offset:4208
	v_add_f32_e32 v2, v59, v2
	s_waitcnt lgkmcnt(0)
	v_mul_f32_e32 v58, v11, v7
	v_mul_f32_e32 v7, v10, v7
	v_fma_f32 v58, v10, v6, -v58
	v_fmac_f32_e32 v7, v11, v6
	v_mul_f32_e32 v6, v11, v9
	v_add_f32_e32 v56, v56, v58
	v_add_f32_e32 v57, v57, v7
	v_mul_f32_e32 v7, v10, v9
	v_fma_f32 v6, v10, v8, -v6
	v_fmac_f32_e32 v7, v11, v8
	v_add_f32_e32 v10, v60, v6
	v_add_f32_e32 v11, v61, v7
	ds_read2_b64 v[6:9], v0 offset0:224 offset1:240
	s_waitcnt lgkmcnt(0)
	v_mul_f32_e32 v58, v5, v7
	v_mul_f32_e32 v59, v4, v7
	v_fma_f32 v58, v4, v6, -v58
	v_fmac_f32_e32 v59, v5, v6
	v_add_f32_e32 v54, v54, v58
	v_mul_f32_e32 v58, v5, v9
	v_add_f32_e32 v55, v55, v59
	v_fma_f32 v58, v4, v8, -v58
	v_mul_f32_e32 v4, v4, v9
	v_add_f32_e32 v58, v3, v58
	v_fmac_f32_e32 v4, v5, v8
	v_mul_f32_e32 v3, v12, v7
	v_add_f32_e32 v59, v2, v4
	v_mul_f32_e32 v2, v13, v7
	v_fmac_f32_e32 v3, v13, v6
	v_fma_f32 v2, v12, v6, -v2
	v_add_f32_e32 v57, v57, v3
	v_mul_f32_e32 v3, v12, v9
	v_add_f32_e32 v56, v56, v2
	v_mul_f32_e32 v2, v13, v9
	v_fmac_f32_e32 v3, v13, v8
	v_fma_f32 v2, v12, v8, -v2
	v_add_f32_e32 v61, v11, v3
	v_add_f32_e32 v60, v10, v2
	ds_read_b128 v[2:5], v48 offset:128
	ds_read2_b64 v[6:9], v52 offset1:16
	s_waitcnt lgkmcnt(0)
	v_mul_f32_e32 v10, v3, v7
	v_mul_f32_e32 v11, v2, v7
	v_fma_f32 v10, v2, v6, -v10
	v_fmac_f32_e32 v11, v3, v6
	v_add_f32_e32 v54, v54, v10
	v_mul_f32_e32 v10, v3, v9
	v_add_f32_e32 v55, v55, v11
	v_fma_f32 v10, v2, v8, -v10
	v_mul_f32_e32 v2, v2, v9
	v_fmac_f32_e32 v2, v3, v8
	v_add_f32_e32 v3, v58, v10
	ds_read_b128 v[10:13], v48 offset:4224
	v_add_f32_e32 v2, v59, v2
	s_waitcnt lgkmcnt(0)
	v_mul_f32_e32 v58, v11, v7
	v_mul_f32_e32 v7, v10, v7
	v_fma_f32 v58, v10, v6, -v58
	v_fmac_f32_e32 v7, v11, v6
	v_mul_f32_e32 v6, v11, v9
	v_add_f32_e32 v56, v56, v58
	v_add_f32_e32 v57, v57, v7
	v_mul_f32_e32 v7, v10, v9
	v_fma_f32 v6, v10, v8, -v6
	v_fmac_f32_e32 v7, v11, v8
	v_add_f32_e32 v10, v60, v6
	v_add_f32_e32 v11, v61, v7
	ds_read2_b64 v[6:9], v52 offset0:32 offset1:48
	s_waitcnt lgkmcnt(0)
	v_mul_f32_e32 v58, v5, v7
	v_mul_f32_e32 v59, v4, v7
	v_fma_f32 v58, v4, v6, -v58
	v_fmac_f32_e32 v59, v5, v6
	v_add_f32_e32 v54, v54, v58
	v_mul_f32_e32 v58, v5, v9
	v_add_f32_e32 v55, v55, v59
	v_fma_f32 v58, v4, v8, -v58
	v_mul_f32_e32 v4, v4, v9
	v_add_f32_e32 v58, v3, v58
	v_fmac_f32_e32 v4, v5, v8
	v_mul_f32_e32 v3, v12, v7
	v_add_f32_e32 v59, v2, v4
	v_mul_f32_e32 v2, v13, v7
	v_fmac_f32_e32 v3, v13, v6
	v_fma_f32 v2, v12, v6, -v2
	v_add_f32_e32 v57, v57, v3
	v_mul_f32_e32 v3, v12, v9
	v_add_f32_e32 v56, v56, v2
	v_mul_f32_e32 v2, v13, v9
	v_fmac_f32_e32 v3, v13, v8
	v_fma_f32 v2, v12, v8, -v2
	v_add_f32_e32 v61, v11, v3
	v_add_f32_e32 v60, v10, v2
	ds_read_b128 v[2:5], v48 offset:144
	ds_read2_b64 v[6:9], v52 offset0:64 offset1:80
	s_waitcnt lgkmcnt(0)
	v_mul_f32_e32 v10, v3, v7
	v_mul_f32_e32 v11, v2, v7
	v_fma_f32 v10, v2, v6, -v10
	v_fmac_f32_e32 v11, v3, v6
	v_add_f32_e32 v54, v54, v10
	v_mul_f32_e32 v10, v3, v9
	v_add_f32_e32 v55, v55, v11
	v_fma_f32 v10, v2, v8, -v10
	v_mul_f32_e32 v2, v2, v9
	v_fmac_f32_e32 v2, v3, v8
	v_add_f32_e32 v3, v58, v10
	ds_read_b128 v[10:13], v48 offset:4240
	v_add_f32_e32 v2, v59, v2
	s_waitcnt lgkmcnt(0)
	v_mul_f32_e32 v58, v11, v7
	v_mul_f32_e32 v7, v10, v7
	v_fma_f32 v58, v10, v6, -v58
	v_fmac_f32_e32 v7, v11, v6
	v_mul_f32_e32 v6, v11, v9
	v_add_f32_e32 v56, v56, v58
	v_add_f32_e32 v57, v57, v7
	v_mul_f32_e32 v7, v10, v9
	v_fma_f32 v6, v10, v8, -v6
	v_fmac_f32_e32 v7, v11, v8
	v_add_f32_e32 v10, v60, v6
	v_add_f32_e32 v11, v61, v7
	ds_read2_b64 v[6:9], v52 offset0:96 offset1:112
	s_waitcnt lgkmcnt(0)
	v_mul_f32_e32 v58, v5, v7
	v_mul_f32_e32 v59, v4, v7
	v_fma_f32 v58, v4, v6, -v58
	v_fmac_f32_e32 v59, v5, v6
	v_add_f32_e32 v54, v54, v58
	v_mul_f32_e32 v58, v5, v9
	v_add_f32_e32 v55, v55, v59
	v_fma_f32 v58, v4, v8, -v58
	v_mul_f32_e32 v4, v4, v9
	v_add_f32_e32 v58, v3, v58
	v_fmac_f32_e32 v4, v5, v8
	v_mul_f32_e32 v3, v12, v7
	v_add_f32_e32 v59, v2, v4
	v_mul_f32_e32 v2, v13, v7
	v_fmac_f32_e32 v3, v13, v6
	v_fma_f32 v2, v12, v6, -v2
	v_add_f32_e32 v57, v57, v3
	v_mul_f32_e32 v3, v12, v9
	v_add_f32_e32 v56, v56, v2
	v_mul_f32_e32 v2, v13, v9
	v_fmac_f32_e32 v3, v13, v8
	v_fma_f32 v2, v12, v8, -v2
	v_add_f32_e32 v61, v11, v3
	v_add_f32_e32 v60, v10, v2
	ds_read_b128 v[2:5], v48 offset:160
	ds_read2_b64 v[6:9], v52 offset0:128 offset1:144
	;; [unrolled: 55-line block ×3, first 2 shown]
	s_waitcnt lgkmcnt(0)
	v_mul_f32_e32 v10, v3, v7
	v_mul_f32_e32 v11, v2, v7
	v_fma_f32 v10, v2, v6, -v10
	v_fmac_f32_e32 v11, v3, v6
	v_add_f32_e32 v54, v54, v10
	v_mul_f32_e32 v10, v3, v9
	v_add_f32_e32 v55, v55, v11
	v_fma_f32 v10, v2, v8, -v10
	v_mul_f32_e32 v2, v2, v9
	v_fmac_f32_e32 v2, v3, v8
	v_add_f32_e32 v3, v58, v10
	ds_read_b128 v[10:13], v48 offset:4272
	v_add_f32_e32 v2, v59, v2
	s_waitcnt lgkmcnt(0)
	v_mul_f32_e32 v58, v11, v7
	v_mul_f32_e32 v7, v10, v7
	v_fma_f32 v58, v10, v6, -v58
	v_fmac_f32_e32 v7, v11, v6
	v_mul_f32_e32 v6, v11, v9
	v_add_f32_e32 v56, v56, v58
	v_add_f32_e32 v57, v57, v7
	v_mul_f32_e32 v7, v10, v9
	v_fma_f32 v6, v10, v8, -v6
	v_fmac_f32_e32 v7, v11, v8
	v_add_f32_e32 v10, v60, v6
	v_add_f32_e32 v11, v61, v7
	ds_read2_b64 v[6:9], v52 offset0:224 offset1:240
	s_waitcnt lgkmcnt(0)
	v_mul_f32_e32 v58, v5, v7
	v_mul_f32_e32 v59, v4, v7
	v_fma_f32 v58, v4, v6, -v58
	v_fmac_f32_e32 v59, v5, v6
	v_add_f32_e32 v54, v54, v58
	v_mul_f32_e32 v58, v5, v9
	v_add_f32_e32 v55, v55, v59
	v_fma_f32 v58, v4, v8, -v58
	v_mul_f32_e32 v4, v4, v9
	v_add_f32_e32 v58, v3, v58
	v_fmac_f32_e32 v4, v5, v8
	v_mul_f32_e32 v3, v12, v7
	v_add_f32_e32 v59, v2, v4
	v_mul_f32_e32 v2, v13, v7
	v_fmac_f32_e32 v3, v13, v6
	v_fma_f32 v2, v12, v6, -v2
	v_add_f32_e32 v57, v57, v3
	v_mul_f32_e32 v3, v12, v9
	v_add_f32_e32 v56, v56, v2
	v_mul_f32_e32 v2, v13, v9
	v_fmac_f32_e32 v3, v13, v8
	v_fma_f32 v2, v12, v8, -v2
	v_add_f32_e32 v61, v11, v3
	v_add_f32_e32 v60, v10, v2
	ds_read_b128 v[2:5], v48 offset:192
	ds_read2_b64 v[6:9], v53 offset1:16
	s_waitcnt lgkmcnt(0)
	v_mul_f32_e32 v10, v3, v7
	v_mul_f32_e32 v11, v2, v7
	v_fma_f32 v10, v2, v6, -v10
	v_fmac_f32_e32 v11, v3, v6
	v_add_f32_e32 v54, v54, v10
	v_mul_f32_e32 v10, v3, v9
	v_add_f32_e32 v55, v55, v11
	v_fma_f32 v10, v2, v8, -v10
	v_mul_f32_e32 v2, v2, v9
	v_fmac_f32_e32 v2, v3, v8
	v_add_f32_e32 v3, v58, v10
	ds_read_b128 v[10:13], v48 offset:4288
	v_add_f32_e32 v2, v59, v2
	s_waitcnt lgkmcnt(0)
	v_mul_f32_e32 v58, v11, v7
	v_mul_f32_e32 v7, v10, v7
	v_fma_f32 v58, v10, v6, -v58
	v_fmac_f32_e32 v7, v11, v6
	v_mul_f32_e32 v6, v11, v9
	v_add_f32_e32 v56, v56, v58
	v_add_f32_e32 v57, v57, v7
	v_mul_f32_e32 v7, v10, v9
	v_fma_f32 v6, v10, v8, -v6
	v_fmac_f32_e32 v7, v11, v8
	v_add_f32_e32 v10, v60, v6
	v_add_f32_e32 v11, v61, v7
	ds_read2_b64 v[6:9], v53 offset0:32 offset1:48
	s_waitcnt lgkmcnt(0)
	v_mul_f32_e32 v58, v5, v7
	v_mul_f32_e32 v59, v4, v7
	v_fma_f32 v58, v4, v6, -v58
	v_fmac_f32_e32 v59, v5, v6
	v_add_f32_e32 v54, v54, v58
	v_mul_f32_e32 v58, v5, v9
	v_add_f32_e32 v55, v55, v59
	v_fma_f32 v58, v4, v8, -v58
	v_mul_f32_e32 v4, v4, v9
	v_add_f32_e32 v58, v3, v58
	v_fmac_f32_e32 v4, v5, v8
	v_mul_f32_e32 v3, v12, v7
	v_add_f32_e32 v59, v2, v4
	v_mul_f32_e32 v2, v13, v7
	v_fmac_f32_e32 v3, v13, v6
	v_fma_f32 v2, v12, v6, -v2
	v_add_f32_e32 v57, v57, v3
	v_mul_f32_e32 v3, v12, v9
	v_add_f32_e32 v56, v56, v2
	v_mul_f32_e32 v2, v13, v9
	v_fmac_f32_e32 v3, v13, v8
	v_fma_f32 v2, v12, v8, -v2
	v_add_f32_e32 v61, v11, v3
	v_add_f32_e32 v60, v10, v2
	ds_read_b128 v[2:5], v48 offset:208
	ds_read2_b64 v[6:9], v53 offset0:64 offset1:80
	s_waitcnt lgkmcnt(0)
	v_mul_f32_e32 v10, v3, v7
	v_mul_f32_e32 v11, v2, v7
	v_fma_f32 v10, v2, v6, -v10
	v_fmac_f32_e32 v11, v3, v6
	v_add_f32_e32 v54, v54, v10
	v_mul_f32_e32 v10, v3, v9
	v_add_f32_e32 v55, v55, v11
	v_fma_f32 v10, v2, v8, -v10
	v_mul_f32_e32 v2, v2, v9
	v_fmac_f32_e32 v2, v3, v8
	v_add_f32_e32 v3, v58, v10
	ds_read_b128 v[10:13], v48 offset:4304
	v_add_f32_e32 v2, v59, v2
	s_waitcnt lgkmcnt(0)
	v_mul_f32_e32 v58, v11, v7
	v_mul_f32_e32 v7, v10, v7
	v_fma_f32 v58, v10, v6, -v58
	v_fmac_f32_e32 v7, v11, v6
	v_mul_f32_e32 v6, v11, v9
	v_add_f32_e32 v56, v56, v58
	v_add_f32_e32 v57, v57, v7
	v_mul_f32_e32 v7, v10, v9
	v_fma_f32 v6, v10, v8, -v6
	v_fmac_f32_e32 v7, v11, v8
	v_add_f32_e32 v10, v60, v6
	v_add_f32_e32 v11, v61, v7
	ds_read2_b64 v[6:9], v53 offset0:96 offset1:112
	s_waitcnt lgkmcnt(0)
	v_mul_f32_e32 v58, v5, v7
	v_mul_f32_e32 v59, v4, v7
	v_fma_f32 v58, v4, v6, -v58
	v_fmac_f32_e32 v59, v5, v6
	v_add_f32_e32 v54, v54, v58
	v_mul_f32_e32 v58, v5, v9
	v_add_f32_e32 v55, v55, v59
	v_fma_f32 v58, v4, v8, -v58
	v_mul_f32_e32 v4, v4, v9
	v_add_f32_e32 v58, v3, v58
	v_fmac_f32_e32 v4, v5, v8
	v_mul_f32_e32 v3, v12, v7
	v_add_f32_e32 v59, v2, v4
	v_mul_f32_e32 v2, v13, v7
	v_fmac_f32_e32 v3, v13, v6
	v_fma_f32 v2, v12, v6, -v2
	v_add_f32_e32 v57, v57, v3
	v_mul_f32_e32 v3, v12, v9
	v_add_f32_e32 v56, v56, v2
	v_mul_f32_e32 v2, v13, v9
	v_fmac_f32_e32 v3, v13, v8
	v_fma_f32 v2, v12, v8, -v2
	v_add_f32_e32 v61, v11, v3
	v_add_f32_e32 v60, v10, v2
	ds_read_b128 v[2:5], v48 offset:224
	ds_read2_b64 v[6:9], v53 offset0:128 offset1:144
	;; [unrolled: 55-line block ×3, first 2 shown]
	s_waitcnt lgkmcnt(0)
	v_mul_f32_e32 v10, v3, v7
	v_mul_f32_e32 v11, v2, v7
	v_fma_f32 v10, v2, v6, -v10
	v_fmac_f32_e32 v11, v3, v6
	v_add_f32_e32 v54, v54, v10
	v_mul_f32_e32 v10, v3, v9
	v_add_f32_e32 v55, v55, v11
	v_fma_f32 v10, v2, v8, -v10
	v_mul_f32_e32 v2, v2, v9
	v_fmac_f32_e32 v2, v3, v8
	v_add_f32_e32 v3, v58, v10
	ds_read_b128 v[10:13], v48 offset:4336
	v_add_f32_e32 v2, v59, v2
	s_waitcnt lgkmcnt(0)
	v_mul_f32_e32 v58, v11, v7
	v_mul_f32_e32 v7, v10, v7
	v_fma_f32 v58, v10, v6, -v58
	v_fmac_f32_e32 v7, v11, v6
	v_mul_f32_e32 v6, v11, v9
	v_add_f32_e32 v56, v56, v58
	v_add_f32_e32 v57, v57, v7
	v_mul_f32_e32 v7, v10, v9
	v_fma_f32 v6, v10, v8, -v6
	v_fmac_f32_e32 v7, v11, v8
	v_add_f32_e32 v10, v60, v6
	v_add_f32_e32 v11, v61, v7
	ds_read2_b64 v[6:9], v53 offset0:224 offset1:240
	s_waitcnt lgkmcnt(0)
	s_barrier
	buffer_gl0_inv
	v_mul_f32_e32 v58, v5, v7
	v_mul_f32_e32 v59, v4, v7
	v_fma_f32 v58, v4, v6, -v58
	v_fmac_f32_e32 v59, v5, v6
	v_add_f32_e32 v60, v54, v58
	v_mul_f32_e32 v54, v5, v9
	v_add_f32_e32 v61, v55, v59
	v_fma_f32 v54, v4, v8, -v54
	v_mul_f32_e32 v4, v4, v9
	v_add_f32_e32 v58, v3, v54
	v_fmac_f32_e32 v4, v5, v8
	v_mul_f32_e32 v3, v12, v7
	v_add_f32_e32 v59, v2, v4
	v_mul_f32_e32 v2, v13, v7
	v_fmac_f32_e32 v3, v13, v6
	v_fma_f32 v2, v12, v6, -v2
	v_add_f32_e32 v57, v57, v3
	v_mul_f32_e32 v3, v12, v9
	v_add_f32_e32 v56, v56, v2
	v_mul_f32_e32 v2, v13, v9
	v_fmac_f32_e32 v3, v13, v8
	v_fma_f32 v2, v12, v8, -v2
	v_add_f32_e32 v54, v11, v3
	v_add_f32_e32 v55, v10, v2
	s_cbranch_scc1 .LBB94_56
.LBB94_7:                               ;   Parent Loop BB94_4 Depth=1
                                        ; =>  This Inner Loop Header: Depth=2
	v_add_co_u32 v2, s5, v16, s38
	v_add_co_ci_u32_e64 v3, null, s39, v17, s5
	v_cmp_eq_u64_e64 s8, s[38:39], v[28:29]
	v_add_co_u32 v4, s9, v34, v30
	v_cmp_lt_i64_e64 s5, v[2:3], v[26:27]
	v_cmp_le_i64_e64 s6, s[14:15], v[2:3]
	v_add_co_ci_u32_e64 v5, null, v35, v31, s9
	s_and_b32 s48, s44, s8
	s_or_b32 s9, s3, s5
	s_or_b32 s8, s6, s9
	s_nor_b32 s8, s8, s48
	s_and_saveexec_b32 s9, s8
	s_xor_b32 s8, exec_lo, s9
	s_cbranch_execz .LBB94_9
; %bb.8:                                ;   in Loop: Header=BB94_7 Depth=2
	global_load_dwordx2 v[6:7], v[4:5], off
	s_waitcnt vmcnt(0)
	v_xor_b32_e32 v7, 0x80000000, v7
	ds_write_b64 v49, v[6:7]
.LBB94_9:                               ;   in Loop: Header=BB94_7 Depth=2
	s_or_saveexec_b32 s8, s8
	s_xor_b32 s47, s48, -1
	s_xor_b32 exec_lo, exec_lo, s8
	s_cbranch_execz .LBB94_15
; %bb.10:                               ;   in Loop: Header=BB94_7 Depth=2
	s_and_saveexec_b32 s9, s47
	s_xor_b32 s9, exec_lo, s9
; %bb.11:                               ;   in Loop: Header=BB94_7 Depth=2
	v_mov_b32_e32 v6, v25
	v_mov_b32_e32 v7, v25
	ds_write_b64 v49, v[6:7]
; %bb.12:                               ;   in Loop: Header=BB94_7 Depth=2
	s_andn2_saveexec_b32 s9, s9
; %bb.13:                               ;   in Loop: Header=BB94_7 Depth=2
	ds_write_b64 v49, v[24:25]
; %bb.14:                               ;   in Loop: Header=BB94_7 Depth=2
	s_or_b32 exec_lo, exec_lo, s9
.LBB94_15:                              ;   in Loop: Header=BB94_7 Depth=2
	s_or_b32 exec_lo, exec_lo, s8
	v_add_co_u32 v6, s8, v2, 16
	v_add_co_ci_u32_e64 v7, null, 0, v3, s8
	v_cmp_eq_u64_e64 s10, s[38:39], v[44:45]
	v_cmp_lt_i64_e64 s9, v[6:7], v[26:27]
	v_cmp_le_i64_e64 s8, s[14:15], v[6:7]
	s_and_b32 s10, s44, s10
	s_or_b32 s9, s3, s9
	s_or_b32 s9, s8, s9
	s_nor_b32 s9, s9, s10
	s_and_saveexec_b32 s49, s9
	s_xor_b32 s49, exec_lo, s49
	s_cbranch_execz .LBB94_17
; %bb.16:                               ;   in Loop: Header=BB94_7 Depth=2
	v_add_co_u32 v6, s9, v32, v30
	v_add_co_ci_u32_e64 v7, null, v33, v31, s9
	global_load_dwordx2 v[6:7], v[6:7], off
	s_waitcnt vmcnt(0)
	v_xor_b32_e32 v7, 0x80000000, v7
	ds_write_b64 v49, v[6:7] offset:128
.LBB94_17:                              ;   in Loop: Header=BB94_7 Depth=2
	s_andn2_saveexec_b32 s9, s49
	s_cbranch_execz .LBB94_23
; %bb.18:                               ;   in Loop: Header=BB94_7 Depth=2
	s_xor_b32 s10, s10, -1
	s_and_saveexec_b32 s49, s10
	s_xor_b32 s10, exec_lo, s49
; %bb.19:                               ;   in Loop: Header=BB94_7 Depth=2
	v_mov_b32_e32 v6, v25
	v_mov_b32_e32 v7, v25
	ds_write_b64 v49, v[6:7] offset:128
; %bb.20:                               ;   in Loop: Header=BB94_7 Depth=2
	s_andn2_saveexec_b32 s10, s10
; %bb.21:                               ;   in Loop: Header=BB94_7 Depth=2
	ds_write_b64 v49, v[24:25] offset:128
; %bb.22:                               ;   in Loop: Header=BB94_7 Depth=2
	s_or_b32 exec_lo, exec_lo, s10
.LBB94_23:                              ;   in Loop: Header=BB94_7 Depth=2
	s_or_b32 exec_lo, exec_lo, s9
	v_cmp_eq_u64_e64 s9, s[38:39], v[42:43]
	v_cmp_lt_i64_e64 s10, v[2:3], v[40:41]
	s_and_b32 s9, s44, s9
	s_or_b32 s10, s4, s10
	s_or_b32 s10, s10, s9
	s_nor_b32 s6, s6, s10
	s_and_saveexec_b32 s10, s6
	s_xor_b32 s6, exec_lo, s10
	s_cbranch_execz .LBB94_25
; %bb.24:                               ;   in Loop: Header=BB94_7 Depth=2
	global_load_dwordx2 v[2:3], v[4:5], off offset:128
	s_waitcnt vmcnt(0)
	v_xor_b32_e32 v3, 0x80000000, v3
	ds_write_b64 v49, v[2:3] offset:4096
.LBB94_25:                              ;   in Loop: Header=BB94_7 Depth=2
	s_andn2_saveexec_b32 s6, s6
	s_cbranch_execz .LBB94_31
; %bb.26:                               ;   in Loop: Header=BB94_7 Depth=2
	s_xor_b32 s9, s9, -1
	s_and_saveexec_b32 s10, s9
	s_xor_b32 s9, exec_lo, s10
; %bb.27:                               ;   in Loop: Header=BB94_7 Depth=2
	v_mov_b32_e32 v2, v25
	v_mov_b32_e32 v3, v25
	ds_write_b64 v49, v[2:3] offset:4096
; %bb.28:                               ;   in Loop: Header=BB94_7 Depth=2
	s_andn2_saveexec_b32 s9, s9
; %bb.29:                               ;   in Loop: Header=BB94_7 Depth=2
	ds_write_b64 v49, v[24:25] offset:4096
; %bb.30:                               ;   in Loop: Header=BB94_7 Depth=2
	s_or_b32 exec_lo, exec_lo, s9
.LBB94_31:                              ;   in Loop: Header=BB94_7 Depth=2
	s_or_b32 exec_lo, exec_lo, s6
	s_or_b32 s5, s4, s5
	s_or_b32 s5, s8, s5
	s_nor_b32 s5, s5, s48
	s_and_saveexec_b32 s6, s5
	s_xor_b32 s6, exec_lo, s6
	s_cbranch_execz .LBB94_33
; %bb.32:                               ;   in Loop: Header=BB94_7 Depth=2
	v_add_co_u32 v2, s5, v32, v30
	v_add_co_ci_u32_e64 v3, null, v33, v31, s5
	global_load_dwordx2 v[2:3], v[2:3], off offset:128
	s_waitcnt vmcnt(0)
	v_xor_b32_e32 v3, 0x80000000, v3
	ds_write_b64 v49, v[2:3] offset:4224
.LBB94_33:                              ;   in Loop: Header=BB94_7 Depth=2
	s_andn2_saveexec_b32 s5, s6
	s_cbranch_execz .LBB94_39
; %bb.34:                               ;   in Loop: Header=BB94_7 Depth=2
	s_and_saveexec_b32 s6, s47
	s_xor_b32 s6, exec_lo, s6
; %bb.35:                               ;   in Loop: Header=BB94_7 Depth=2
	v_mov_b32_e32 v2, v25
	v_mov_b32_e32 v3, v25
	ds_write_b64 v49, v[2:3] offset:4224
; %bb.36:                               ;   in Loop: Header=BB94_7 Depth=2
	s_andn2_saveexec_b32 s6, s6
; %bb.37:                               ;   in Loop: Header=BB94_7 Depth=2
	ds_write_b64 v49, v[24:25] offset:4224
; %bb.38:                               ;   in Loop: Header=BB94_7 Depth=2
	s_or_b32 exec_lo, exec_lo, s6
.LBB94_39:                              ;   in Loop: Header=BB94_7 Depth=2
	s_or_b32 exec_lo, exec_lo, s5
	v_add_co_u32 v2, s5, v18, s38
	v_add_co_ci_u32_e64 v3, null, s39, v19, s5
	v_add_co_u32 v4, s6, v36, v46
	v_add_co_ci_u32_e64 v5, null, v37, v47, s6
	v_cmp_le_i64_e64 s5, s[14:15], v[2:3]
	s_nor_b32 s6, s5, s1
	s_and_saveexec_b32 s8, s6
	s_xor_b32 s6, exec_lo, s8
	s_cbranch_execz .LBB94_41
; %bb.40:                               ;   in Loop: Header=BB94_7 Depth=2
	global_load_dwordx2 v[6:7], v[4:5], off offset:-128
	s_waitcnt vmcnt(0)
	ds_write_b64 v51, v[6:7]
.LBB94_41:                              ;   in Loop: Header=BB94_7 Depth=2
	s_andn2_saveexec_b32 s6, s6
; %bb.42:                               ;   in Loop: Header=BB94_7 Depth=2
	v_mov_b32_e32 v6, v25
	v_mov_b32_e32 v7, v25
	ds_write_b64 v51, v[6:7]
; %bb.43:                               ;   in Loop: Header=BB94_7 Depth=2
	s_or_b32 exec_lo, exec_lo, s6
	s_nor_b32 s5, s5, s2
	s_and_saveexec_b32 s6, s5
	s_xor_b32 s5, exec_lo, s6
	s_cbranch_execz .LBB94_45
; %bb.44:                               ;   in Loop: Header=BB94_7 Depth=2
	global_load_dwordx2 v[4:5], v[4:5], off
	s_waitcnt vmcnt(0)
	ds_write_b64 v51, v[4:5] offset:128
.LBB94_45:                              ;   in Loop: Header=BB94_7 Depth=2
	s_andn2_saveexec_b32 s5, s5
; %bb.46:                               ;   in Loop: Header=BB94_7 Depth=2
	v_mov_b32_e32 v4, v25
	v_mov_b32_e32 v5, v25
	ds_write_b64 v51, v[4:5] offset:128
; %bb.47:                               ;   in Loop: Header=BB94_7 Depth=2
	s_or_b32 exec_lo, exec_lo, s5
	v_cmp_le_i64_e64 s5, s[40:41], v[2:3]
	v_add_co_u32 v2, s6, v38, v46
	v_add_co_ci_u32_e64 v3, null, v39, v47, s6
	s_nor_b32 s6, s5, s1
	s_and_saveexec_b32 s8, s6
	s_xor_b32 s6, exec_lo, s8
	s_cbranch_execz .LBB94_49
; %bb.48:                               ;   in Loop: Header=BB94_7 Depth=2
	global_load_dwordx2 v[4:5], v[2:3], off
	s_waitcnt vmcnt(0)
	ds_write_b64 v51, v[4:5] offset:4096
.LBB94_49:                              ;   in Loop: Header=BB94_7 Depth=2
	s_andn2_saveexec_b32 s6, s6
; %bb.50:                               ;   in Loop: Header=BB94_7 Depth=2
	v_mov_b32_e32 v4, v25
	v_mov_b32_e32 v5, v25
	ds_write_b64 v51, v[4:5] offset:4096
; %bb.51:                               ;   in Loop: Header=BB94_7 Depth=2
	s_or_b32 exec_lo, exec_lo, s6
	s_nor_b32 s5, s5, s2
	s_and_saveexec_b32 s6, s5
	s_xor_b32 s5, exec_lo, s6
	s_cbranch_execz .LBB94_53
; %bb.52:                               ;   in Loop: Header=BB94_7 Depth=2
	global_load_dwordx2 v[2:3], v[2:3], off offset:128
	s_waitcnt vmcnt(0)
	ds_write_b64 v51, v[2:3] offset:4224
.LBB94_53:                              ;   in Loop: Header=BB94_7 Depth=2
	s_andn2_saveexec_b32 s5, s5
	s_cbranch_execz .LBB94_6
; %bb.54:                               ;   in Loop: Header=BB94_7 Depth=2
	v_mov_b32_e32 v2, v25
	v_mov_b32_e32 v3, v25
	ds_write_b64 v51, v[2:3] offset:4224
	s_branch .LBB94_6
.LBB94_55:                              ;   in Loop: Header=BB94_4 Depth=1
	v_mov_b32_e32 v60, 0
	v_mov_b32_e32 v61, 0
	;; [unrolled: 1-line block ×8, first 2 shown]
.LBB94_56:                              ;   in Loop: Header=BB94_4 Depth=1
	v_mul_lo_u32 v4, s29, v26
	v_mul_lo_u32 v5, s28, v27
	v_mad_u64_u32 v[2:3], null, s28, v26, 0
	v_cmp_gt_i32_e64 s3, s14, v26
	v_add3_u32 v3, v3, v5, v4
	v_lshlrev_b64 v[2:3], 3, v[2:3]
	v_add_co_u32 v2, s4, s42, v2
	v_add_co_ci_u32_e64 v3, null, s43, v3, s4
	s_and_b32 s4, vcc_lo, s3
	s_and_saveexec_b32 s5, s4
	s_cbranch_execz .LBB94_58
; %bb.57:                               ;   in Loop: Header=BB94_4 Depth=1
	v_add_co_u32 v4, s4, v2, v20
	v_add_co_ci_u32_e64 v5, null, v3, v21, s4
	v_mul_f32_e32 v8, s35, v61
	v_mul_f32_e32 v9, s34, v61
	global_load_dwordx2 v[6:7], v[4:5], off
	v_fma_f32 v8, v60, s34, -v8
	v_fmac_f32_e32 v9, s35, v60
	s_waitcnt vmcnt(0)
	v_add_f32_e32 v6, v6, v8
	v_add_f32_e32 v7, v9, v7
	global_store_dwordx2 v[4:5], v[6:7], off
.LBB94_58:                              ;   in Loop: Header=BB94_4 Depth=1
	s_or_b32 exec_lo, exec_lo, s5
	s_and_b32 s3, s0, s3
	s_and_saveexec_b32 s4, s3
	s_cbranch_execz .LBB94_60
; %bb.59:                               ;   in Loop: Header=BB94_4 Depth=1
	v_lshlrev_b64 v[4:5], 3, v[14:15]
	v_mul_f32_e32 v6, s35, v59
	v_mul_f32_e32 v7, s34, v59
	v_fma_f32 v6, v58, s34, -v6
	v_add_co_u32 v2, s3, v2, v4
	v_add_co_ci_u32_e64 v3, null, v3, v5, s3
	v_fmac_f32_e32 v7, s35, v58
	global_load_dwordx2 v[4:5], v[2:3], off
	s_waitcnt vmcnt(0)
	v_add_f32_e32 v4, v4, v6
	v_add_f32_e32 v5, v7, v5
	global_store_dwordx2 v[2:3], v[4:5], off
.LBB94_60:                              ;   in Loop: Header=BB94_4 Depth=1
	s_or_b32 exec_lo, exec_lo, s4
	v_add_nc_u32_e32 v4, 16, v26
	v_ashrrev_i32_e32 v5, 31, v4
	v_mul_lo_u32 v6, s29, v4
	v_mad_u64_u32 v[2:3], null, s28, v4, 0
	v_cmp_gt_i32_e64 s3, s14, v4
	v_mul_lo_u32 v5, s28, v5
	v_add3_u32 v3, v3, v5, v6
	v_lshlrev_b64 v[2:3], 3, v[2:3]
	v_add_co_u32 v2, s4, s42, v2
	v_add_co_ci_u32_e64 v3, null, s43, v3, s4
	s_and_b32 s4, vcc_lo, s3
	s_and_saveexec_b32 s5, s4
	s_cbranch_execz .LBB94_62
; %bb.61:                               ;   in Loop: Header=BB94_4 Depth=1
	v_add_co_u32 v4, s4, v2, v20
	v_add_co_ci_u32_e64 v5, null, v3, v21, s4
	v_mul_f32_e32 v8, s35, v57
	v_mul_f32_e32 v9, s34, v57
	global_load_dwordx2 v[6:7], v[4:5], off
	v_fma_f32 v8, v56, s34, -v8
	v_fmac_f32_e32 v9, s35, v56
	s_waitcnt vmcnt(0)
	v_add_f32_e32 v6, v6, v8
	v_add_f32_e32 v7, v9, v7
	global_store_dwordx2 v[4:5], v[6:7], off
.LBB94_62:                              ;   in Loop: Header=BB94_4 Depth=1
	s_or_b32 exec_lo, exec_lo, s5
	s_and_b32 s3, s0, s3
	s_and_saveexec_b32 s4, s3
	s_cbranch_execz .LBB94_3
; %bb.63:                               ;   in Loop: Header=BB94_4 Depth=1
	v_lshlrev_b64 v[4:5], 3, v[14:15]
	v_mul_f32_e32 v6, s35, v54
	v_mul_f32_e32 v7, s34, v54
	v_fma_f32 v6, v55, s34, -v6
	v_add_co_u32 v2, s3, v2, v4
	v_add_co_ci_u32_e64 v3, null, v3, v5, s3
	v_fmac_f32_e32 v7, s35, v55
	global_load_dwordx2 v[4:5], v[2:3], off
	s_waitcnt vmcnt(0)
	v_add_f32_e32 v4, v4, v6
	v_add_f32_e32 v5, v7, v5
	global_store_dwordx2 v[2:3], v[4:5], off
	s_branch .LBB94_3
.LBB94_64:
	s_endpgm
	.section	.rodata,"a",@progbits
	.p2align	6, 0x0
	.amdhsa_kernel _ZL30rocblas_trmm_outofplace_kernelI19rocblas_complex_numIfELi32ELi2ELb0ELb1ELb1ELb1EPKS1_S2_S1_Ev17rocblas_diagonal_iiT6_lPT7_lllS7_lllPT8_llli
		.amdhsa_group_segment_fixed_size 16384
		.amdhsa_private_segment_fixed_size 0
		.amdhsa_kernarg_size 392
		.amdhsa_user_sgpr_count 6
		.amdhsa_user_sgpr_private_segment_buffer 1
		.amdhsa_user_sgpr_dispatch_ptr 0
		.amdhsa_user_sgpr_queue_ptr 0
		.amdhsa_user_sgpr_kernarg_segment_ptr 1
		.amdhsa_user_sgpr_dispatch_id 0
		.amdhsa_user_sgpr_flat_scratch_init 0
		.amdhsa_user_sgpr_private_segment_size 0
		.amdhsa_wavefront_size32 1
		.amdhsa_uses_dynamic_stack 0
		.amdhsa_system_sgpr_private_segment_wavefront_offset 0
		.amdhsa_system_sgpr_workgroup_id_x 1
		.amdhsa_system_sgpr_workgroup_id_y 1
		.amdhsa_system_sgpr_workgroup_id_z 1
		.amdhsa_system_sgpr_workgroup_info 0
		.amdhsa_system_vgpr_workitem_id 1
		.amdhsa_next_free_vgpr 73
		.amdhsa_next_free_sgpr 50
		.amdhsa_reserve_vcc 1
		.amdhsa_reserve_flat_scratch 0
		.amdhsa_float_round_mode_32 0
		.amdhsa_float_round_mode_16_64 0
		.amdhsa_float_denorm_mode_32 3
		.amdhsa_float_denorm_mode_16_64 3
		.amdhsa_dx10_clamp 1
		.amdhsa_ieee_mode 1
		.amdhsa_fp16_overflow 0
		.amdhsa_workgroup_processor_mode 1
		.amdhsa_memory_ordered 1
		.amdhsa_forward_progress 1
		.amdhsa_shared_vgpr_count 0
		.amdhsa_exception_fp_ieee_invalid_op 0
		.amdhsa_exception_fp_denorm_src 0
		.amdhsa_exception_fp_ieee_div_zero 0
		.amdhsa_exception_fp_ieee_overflow 0
		.amdhsa_exception_fp_ieee_underflow 0
		.amdhsa_exception_fp_ieee_inexact 0
		.amdhsa_exception_int_div_zero 0
	.end_amdhsa_kernel
	.section	.text._ZL30rocblas_trmm_outofplace_kernelI19rocblas_complex_numIfELi32ELi2ELb0ELb1ELb1ELb1EPKS1_S2_S1_Ev17rocblas_diagonal_iiT6_lPT7_lllS7_lllPT8_llli,"axG",@progbits,_ZL30rocblas_trmm_outofplace_kernelI19rocblas_complex_numIfELi32ELi2ELb0ELb1ELb1ELb1EPKS1_S2_S1_Ev17rocblas_diagonal_iiT6_lPT7_lllS7_lllPT8_llli,comdat
.Lfunc_end94:
	.size	_ZL30rocblas_trmm_outofplace_kernelI19rocblas_complex_numIfELi32ELi2ELb0ELb1ELb1ELb1EPKS1_S2_S1_Ev17rocblas_diagonal_iiT6_lPT7_lllS7_lllPT8_llli, .Lfunc_end94-_ZL30rocblas_trmm_outofplace_kernelI19rocblas_complex_numIfELi32ELi2ELb0ELb1ELb1ELb1EPKS1_S2_S1_Ev17rocblas_diagonal_iiT6_lPT7_lllS7_lllPT8_llli
                                        ; -- End function
	.set _ZL30rocblas_trmm_outofplace_kernelI19rocblas_complex_numIfELi32ELi2ELb0ELb1ELb1ELb1EPKS1_S2_S1_Ev17rocblas_diagonal_iiT6_lPT7_lllS7_lllPT8_llli.num_vgpr, 73
	.set _ZL30rocblas_trmm_outofplace_kernelI19rocblas_complex_numIfELi32ELi2ELb0ELb1ELb1ELb1EPKS1_S2_S1_Ev17rocblas_diagonal_iiT6_lPT7_lllS7_lllPT8_llli.num_agpr, 0
	.set _ZL30rocblas_trmm_outofplace_kernelI19rocblas_complex_numIfELi32ELi2ELb0ELb1ELb1ELb1EPKS1_S2_S1_Ev17rocblas_diagonal_iiT6_lPT7_lllS7_lllPT8_llli.numbered_sgpr, 50
	.set _ZL30rocblas_trmm_outofplace_kernelI19rocblas_complex_numIfELi32ELi2ELb0ELb1ELb1ELb1EPKS1_S2_S1_Ev17rocblas_diagonal_iiT6_lPT7_lllS7_lllPT8_llli.num_named_barrier, 0
	.set _ZL30rocblas_trmm_outofplace_kernelI19rocblas_complex_numIfELi32ELi2ELb0ELb1ELb1ELb1EPKS1_S2_S1_Ev17rocblas_diagonal_iiT6_lPT7_lllS7_lllPT8_llli.private_seg_size, 0
	.set _ZL30rocblas_trmm_outofplace_kernelI19rocblas_complex_numIfELi32ELi2ELb0ELb1ELb1ELb1EPKS1_S2_S1_Ev17rocblas_diagonal_iiT6_lPT7_lllS7_lllPT8_llli.uses_vcc, 1
	.set _ZL30rocblas_trmm_outofplace_kernelI19rocblas_complex_numIfELi32ELi2ELb0ELb1ELb1ELb1EPKS1_S2_S1_Ev17rocblas_diagonal_iiT6_lPT7_lllS7_lllPT8_llli.uses_flat_scratch, 0
	.set _ZL30rocblas_trmm_outofplace_kernelI19rocblas_complex_numIfELi32ELi2ELb0ELb1ELb1ELb1EPKS1_S2_S1_Ev17rocblas_diagonal_iiT6_lPT7_lllS7_lllPT8_llli.has_dyn_sized_stack, 0
	.set _ZL30rocblas_trmm_outofplace_kernelI19rocblas_complex_numIfELi32ELi2ELb0ELb1ELb1ELb1EPKS1_S2_S1_Ev17rocblas_diagonal_iiT6_lPT7_lllS7_lllPT8_llli.has_recursion, 0
	.set _ZL30rocblas_trmm_outofplace_kernelI19rocblas_complex_numIfELi32ELi2ELb0ELb1ELb1ELb1EPKS1_S2_S1_Ev17rocblas_diagonal_iiT6_lPT7_lllS7_lllPT8_llli.has_indirect_call, 0
	.section	.AMDGPU.csdata,"",@progbits
; Kernel info:
; codeLenInByte = 6624
; TotalNumSgprs: 52
; NumVgprs: 73
; ScratchSize: 0
; MemoryBound: 0
; FloatMode: 240
; IeeeMode: 1
; LDSByteSize: 16384 bytes/workgroup (compile time only)
; SGPRBlocks: 0
; VGPRBlocks: 9
; NumSGPRsForWavesPerEU: 52
; NumVGPRsForWavesPerEU: 73
; Occupancy: 12
; WaveLimiterHint : 0
; COMPUTE_PGM_RSRC2:SCRATCH_EN: 0
; COMPUTE_PGM_RSRC2:USER_SGPR: 6
; COMPUTE_PGM_RSRC2:TRAP_HANDLER: 0
; COMPUTE_PGM_RSRC2:TGID_X_EN: 1
; COMPUTE_PGM_RSRC2:TGID_Y_EN: 1
; COMPUTE_PGM_RSRC2:TGID_Z_EN: 1
; COMPUTE_PGM_RSRC2:TIDIG_COMP_CNT: 1
	.section	.text._ZL30rocblas_trmm_outofplace_kernelI19rocblas_complex_numIfELi32ELi2ELb0ELb1ELb1ELb1ES1_KS1_S1_Ev17rocblas_diagonal_iiT6_lPT7_lllS6_lllPT8_llli,"axG",@progbits,_ZL30rocblas_trmm_outofplace_kernelI19rocblas_complex_numIfELi32ELi2ELb0ELb1ELb1ELb1ES1_KS1_S1_Ev17rocblas_diagonal_iiT6_lPT7_lllS6_lllPT8_llli,comdat
	.globl	_ZL30rocblas_trmm_outofplace_kernelI19rocblas_complex_numIfELi32ELi2ELb0ELb1ELb1ELb1ES1_KS1_S1_Ev17rocblas_diagonal_iiT6_lPT7_lllS6_lllPT8_llli ; -- Begin function _ZL30rocblas_trmm_outofplace_kernelI19rocblas_complex_numIfELi32ELi2ELb0ELb1ELb1ELb1ES1_KS1_S1_Ev17rocblas_diagonal_iiT6_lPT7_lllS6_lllPT8_llli
	.p2align	8
	.type	_ZL30rocblas_trmm_outofplace_kernelI19rocblas_complex_numIfELi32ELi2ELb0ELb1ELb1ELb1ES1_KS1_S1_Ev17rocblas_diagonal_iiT6_lPT7_lllS6_lllPT8_llli,@function
_ZL30rocblas_trmm_outofplace_kernelI19rocblas_complex_numIfELi32ELi2ELb0ELb1ELb1ELb1ES1_KS1_S1_Ev17rocblas_diagonal_iiT6_lPT7_lllS6_lllPT8_llli: ; @_ZL30rocblas_trmm_outofplace_kernelI19rocblas_complex_numIfELi32ELi2ELb0ELb1ELb1ELb1ES1_KS1_S1_Ev17rocblas_diagonal_iiT6_lPT7_lllS6_lllPT8_llli
; %bb.0:
	s_clause 0x1
	s_load_dwordx4 s[28:31], s[4:5], 0x0
	s_load_dword s11, s[4:5], 0x10
	s_waitcnt lgkmcnt(0)
	s_or_b32 s0, s31, s11
	s_bitset0_b32 s0, 31
	s_cmp_eq_u32 s0, 0
	s_cbranch_scc1 .LBB95_64
; %bb.1:
	s_add_i32 s0, s30, -1
	s_ashr_i32 s1, s0, 31
	s_lshr_b32 s1, s1, 27
	s_add_i32 s0, s0, s1
	s_ashr_i32 s33, s0, 5
	s_cmp_gt_i32 s7, s33
	s_cbranch_scc1 .LBB95_64
; %bb.2:
	s_clause 0x2
	s_load_dwordx8 s[36:43], s[4:5], 0x60
	s_load_dwordx16 s[12:27], s[4:5], 0x20
	s_load_dword s44, s[4:5], 0x8c
	v_lshl_add_u32 v2, s6, 5, v0
	v_lshlrev_b32_e32 v4, 3, v0
	v_lshlrev_b32_e32 v48, 8, v1
	v_mov_b32_e32 v25, 0
	v_mov_b32_e32 v24, 1.0
	v_add_nc_u32_e32 v14, 16, v2
	v_or_b32_e32 v49, 0x2000, v4
	v_add_nc_u32_e32 v50, v48, v4
	v_cmp_gt_i32_e32 vcc_lo, s29, v2
	v_ashrrev_i32_e32 v3, 31, v2
	v_ashrrev_i32_e32 v15, 31, v14
	v_add_nc_u32_e32 v51, v49, v48
	v_add_nc_u32_e32 v52, 0x1000, v49
	;; [unrolled: 1-line block ×3, first 2 shown]
	v_lshlrev_b64 v[20:21], 3, v[2:3]
	s_waitcnt lgkmcnt(0)
	s_mul_i32 s0, s43, s8
	s_mul_hi_u32 s1, s42, s8
	s_mul_i32 s2, s42, s8
	s_add_i32 s3, s1, s0
	v_cmp_gt_i32_e64 s0, s29, v14
	s_lshl_b64 s[2:3], s[2:3], 3
	s_mul_i32 s5, s19, s8
	s_add_u32 s1, s36, s2
	s_addc_u32 s4, s37, s3
	s_lshl_b64 s[2:3], s[38:39], 3
	s_add_u32 s42, s1, s2
	s_addc_u32 s43, s4, s3
	s_cmpk_eq_i32 s28, 0x84
	s_mul_hi_u32 s3, s18, s8
	s_cselect_b32 s45, -1, 0
	s_ashr_i32 s19, s30, 31
	s_ashr_i32 s2, s29, 31
	s_lshl_b64 s[34:35], s[16:17], 8
	v_sub_co_u32 v4, s1, s29, v2
	s_lshl_b64 s[28:29], s[24:25], 8
	s_add_u32 s36, s30, -16
	s_addc_u32 s37, s19, -1
	s_add_i32 s5, s3, s5
	s_mul_i32 s4, s18, s8
	s_lshl_b64 s[14:15], s[14:15], 3
	s_lshl_b64 s[4:5], s[4:5], 3
	s_lshl_b32 s6, s7, 5
	s_lshl_b32 s46, s44, 5
	s_add_u32 s3, s4, s14
	s_addc_u32 s4, s5, s15
	s_add_u32 s12, s12, s3
	s_addc_u32 s13, s13, s4
	s_lshl_b64 s[14:15], s[16:17], 3
	s_mul_i32 s3, s27, s8
	s_mul_hi_u32 s4, s26, s8
	s_add_u32 s38, s20, 0x80
	s_addc_u32 s39, s21, 0
	s_add_i32 s5, s4, s3
	s_mul_i32 s4, s26, s8
	v_sub_co_ci_u32_e64 v5, null, s2, v3, s1
	s_lshl_b64 s[4:5], s[4:5], 3
	s_lshl_b64 s[8:9], s[22:23], 3
	;; [unrolled: 1-line block ×3, first 2 shown]
	s_add_u32 s3, s4, s8
	s_addc_u32 s4, s5, s9
	v_add_co_u32 v22, s3, s3, v20
	v_cmp_gt_i64_e64 s1, 1, v[4:5]
	v_cmp_gt_i64_e64 s2, 17, v[4:5]
	v_add_nc_u32_e32 v16, s6, v0
	v_add_nc_u32_e32 v18, s6, v1
	v_add_co_ci_u32_e64 v23, null, s4, v21, s3
	v_add_nc_u32_e32 v0, 0x800, v49
	s_mov_b32 s18, s30
	s_branch .LBB95_4
.LBB95_3:                               ;   in Loop: Header=BB95_4 Depth=1
	s_or_b32 exec_lo, exec_lo, s4
	v_add_nc_u32_e32 v16, s46, v16
	v_add_nc_u32_e32 v18, s46, v18
	s_add_i32 s7, s44, s7
	s_cmp_le_i32 s7, s33
	s_cbranch_scc0 .LBB95_64
.LBB95_4:                               ; =>This Loop Header: Depth=1
                                        ;     Child Loop BB95_7 Depth 2
	s_lshl_b32 s3, s7, 5
	v_ashrrev_i32_e32 v17, 31, v16
	v_add_nc_u32_e32 v26, s3, v1
	v_ashrrev_i32_e32 v19, 31, v18
	s_sub_i32 s47, s30, s3
	s_cmp_lt_i32 s47, 1
	v_ashrrev_i32_e32 v27, 31, v26
	s_cbranch_scc1 .LBB95_55
; %bb.5:                                ;   in Loop: Header=BB95_4 Depth=1
	v_lshlrev_b64 v[2:3], 3, v[16:17]
	v_lshlrev_b64 v[30:31], 3, v[18:19]
	v_mad_u64_u32 v[34:35], null, s14, v16, s[12:13]
	v_mul_lo_u32 v5, s15, v16
	v_mad_u64_u32 v[36:37], null, s22, v18, s[38:39]
	v_add_co_u32 v2, s3, 0x80, v2
	v_add_co_ci_u32_e64 v3, null, 0, v3, s3
	v_sub_co_u32 v28, s3, v18, v16
	v_sub_co_ci_u32_e64 v29, null, v19, v17, s3
	v_add_co_u32 v6, s3, 0x80, v30
	v_add_co_ci_u32_e64 v7, null, 0, v31, s3
	v_mul_lo_u32 v3, s16, v3
	v_mul_lo_u32 v4, s17, v2
	v_mad_u64_u32 v[32:33], null, s16, v2, s[12:13]
	v_mul_lo_u32 v2, s14, v17
	v_mul_lo_u32 v8, s22, v19
	;; [unrolled: 1-line block ×5, first 2 shown]
	v_mad_u64_u32 v[38:39], null, s24, v6, s[20:21]
	v_add_co_u32 v40, s3, v26, 16
	v_add_co_ci_u32_e64 v41, null, 0, v27, s3
	v_add_co_u32 v42, s5, v28, 16
	v_add_co_ci_u32_e64 v43, null, 0, v29, s5
	v_add_co_u32 v44, s5, v28, -16
	v_cmp_le_i64_e64 s4, s[18:19], v[40:41]
	v_mov_b32_e32 v47, v23
	v_add3_u32 v33, v4, v33, v3
	v_add3_u32 v35, v5, v35, v2
	;; [unrolled: 1-line block ×4, first 2 shown]
	v_cmp_le_i32_e64 s3, s30, v26
	v_add_co_ci_u32_e64 v45, null, -1, v29, s5
	v_mov_b32_e32 v54, 0
	v_mov_b32_e32 v46, v22
	;; [unrolled: 1-line block ×9, first 2 shown]
	s_mov_b64 s[26:27], 0
	s_branch .LBB95_7
.LBB95_6:                               ;   in Loop: Header=BB95_7 Depth=2
	s_or_b32 exec_lo, exec_lo, s5
	s_waitcnt lgkmcnt(0)
	s_barrier
	buffer_gl0_inv
	ds_read_b128 v[62:65], v48
	ds_read_b128 v[10:13], v48 offset:16
	ds_read_b128 v[6:9], v48 offset:32
	;; [unrolled: 1-line block ×3, first 2 shown]
	ds_read2_b64 v[66:69], v49 offset1:16
	v_add_co_u32 v32, s5, v32, s34
	v_add_co_ci_u32_e64 v33, null, s35, v33, s5
	v_add_co_u32 v34, s5, v34, s34
	v_add_co_ci_u32_e64 v35, null, s35, v35, s5
	;; [unrolled: 2-line block ×3, first 2 shown]
	s_add_u32 s26, s26, 32
	s_addc_u32 s27, s27, 0
	s_cmp_ge_i32 s26, s47
	s_waitcnt lgkmcnt(0)
	v_mul_f32_e32 v70, v63, v67
	v_mul_f32_e32 v71, v62, v67
	v_fma_f32 v70, v62, v66, -v70
	v_fmac_f32_e32 v71, v63, v66
	v_add_f32_e32 v70, v60, v70
	v_add_f32_e32 v71, v61, v71
	v_mul_f32_e32 v60, v63, v69
	v_mul_f32_e32 v61, v62, v69
	v_fma_f32 v60, v62, v68, -v60
	v_fmac_f32_e32 v61, v63, v68
	v_add_f32_e32 v62, v58, v60
	v_add_f32_e32 v63, v59, v61
	ds_read_b128 v[58:61], v48 offset:4096
	s_waitcnt lgkmcnt(0)
	v_mul_f32_e32 v72, v59, v67
	v_mul_f32_e32 v67, v58, v67
	v_fma_f32 v72, v58, v66, -v72
	v_fmac_f32_e32 v67, v59, v66
	v_add_f32_e32 v66, v56, v72
	v_add_f32_e32 v67, v57, v67
	v_mul_f32_e32 v56, v59, v69
	v_mul_f32_e32 v57, v58, v69
	v_fma_f32 v56, v58, v68, -v56
	v_fmac_f32_e32 v57, v59, v68
	v_add_f32_e32 v58, v55, v56
	v_add_f32_e32 v59, v54, v57
	ds_read2_b64 v[54:57], v49 offset0:32 offset1:48
	s_waitcnt lgkmcnt(0)
	v_mul_f32_e32 v68, v65, v55
	v_mul_f32_e32 v69, v64, v55
	v_fma_f32 v68, v64, v54, -v68
	v_fmac_f32_e32 v69, v65, v54
	v_add_f32_e32 v68, v70, v68
	v_mul_f32_e32 v70, v65, v57
	v_add_f32_e32 v69, v71, v69
	v_fma_f32 v70, v64, v56, -v70
	v_mul_f32_e32 v64, v64, v57
	v_add_f32_e32 v62, v62, v70
	v_fmac_f32_e32 v64, v65, v56
	v_add_f32_e32 v63, v63, v64
	v_mul_f32_e32 v64, v61, v55
	v_mul_f32_e32 v55, v60, v55
	v_fma_f32 v64, v60, v54, -v64
	v_fmac_f32_e32 v55, v61, v54
	v_mul_f32_e32 v54, v61, v57
	v_add_f32_e32 v64, v66, v64
	v_add_f32_e32 v65, v67, v55
	v_mul_f32_e32 v55, v60, v57
	v_fma_f32 v54, v60, v56, -v54
	v_fmac_f32_e32 v55, v61, v56
	v_add_f32_e32 v66, v58, v54
	v_add_f32_e32 v67, v59, v55
	ds_read2_b64 v[54:57], v49 offset0:64 offset1:80
	s_waitcnt lgkmcnt(0)
	v_mul_f32_e32 v58, v11, v55
	v_mul_f32_e32 v59, v10, v55
	v_fma_f32 v58, v10, v54, -v58
	v_fmac_f32_e32 v59, v11, v54
	v_add_f32_e32 v68, v68, v58
	v_mul_f32_e32 v58, v11, v57
	v_add_f32_e32 v69, v69, v59
	v_fma_f32 v58, v10, v56, -v58
	v_mul_f32_e32 v10, v10, v57
	v_fmac_f32_e32 v10, v11, v56
	v_add_f32_e32 v11, v62, v58
	ds_read_b128 v[58:61], v48 offset:4112
	v_add_f32_e32 v10, v63, v10
	s_waitcnt lgkmcnt(0)
	v_mul_f32_e32 v62, v59, v55
	v_mul_f32_e32 v55, v58, v55
	v_fma_f32 v62, v58, v54, -v62
	v_fmac_f32_e32 v55, v59, v54
	v_mul_f32_e32 v54, v59, v57
	v_add_f32_e32 v62, v64, v62
	v_add_f32_e32 v63, v65, v55
	v_mul_f32_e32 v55, v58, v57
	v_fma_f32 v54, v58, v56, -v54
	v_fmac_f32_e32 v55, v59, v56
	v_add_f32_e32 v58, v66, v54
	v_add_f32_e32 v59, v67, v55
	ds_read2_b64 v[54:57], v49 offset0:96 offset1:112
	s_waitcnt lgkmcnt(0)
	v_mul_f32_e32 v64, v13, v55
	v_mul_f32_e32 v66, v13, v57
	;; [unrolled: 1-line block ×3, first 2 shown]
	v_fma_f32 v64, v12, v54, -v64
	v_fma_f32 v66, v12, v56, -v66
	v_mul_f32_e32 v12, v12, v57
	v_fmac_f32_e32 v65, v13, v54
	v_add_f32_e32 v64, v68, v64
	v_add_f32_e32 v66, v11, v66
	v_fmac_f32_e32 v12, v13, v56
	v_mul_f32_e32 v11, v60, v55
	v_add_f32_e32 v65, v69, v65
	v_add_f32_e32 v67, v10, v12
	v_mul_f32_e32 v10, v61, v55
	v_fmac_f32_e32 v11, v61, v54
	v_fma_f32 v10, v60, v54, -v10
	v_add_f32_e32 v63, v63, v11
	v_mul_f32_e32 v11, v60, v57
	v_add_f32_e32 v62, v62, v10
	v_mul_f32_e32 v10, v61, v57
	v_fmac_f32_e32 v11, v61, v56
	v_fma_f32 v10, v60, v56, -v10
	v_add_f32_e32 v59, v59, v11
	v_add_f32_e32 v58, v58, v10
	ds_read2_b64 v[10:13], v49 offset0:128 offset1:144
	s_waitcnt lgkmcnt(0)
	v_mul_f32_e32 v54, v7, v11
	v_mul_f32_e32 v55, v6, v11
	v_fma_f32 v54, v6, v10, -v54
	v_fmac_f32_e32 v55, v7, v10
	v_add_f32_e32 v60, v64, v54
	v_mul_f32_e32 v54, v7, v13
	v_add_f32_e32 v61, v65, v55
	v_fma_f32 v54, v6, v12, -v54
	v_mul_f32_e32 v6, v6, v13
	v_fmac_f32_e32 v6, v7, v12
	v_add_f32_e32 v7, v66, v54
	ds_read_b128 v[54:57], v48 offset:4128
	v_add_f32_e32 v6, v67, v6
	s_waitcnt lgkmcnt(0)
	v_mul_f32_e32 v64, v55, v11
	v_mul_f32_e32 v11, v54, v11
	v_fma_f32 v64, v54, v10, -v64
	v_fmac_f32_e32 v11, v55, v10
	v_mul_f32_e32 v10, v55, v13
	v_add_f32_e32 v62, v62, v64
	v_add_f32_e32 v63, v63, v11
	v_mul_f32_e32 v11, v54, v13
	v_fma_f32 v10, v54, v12, -v10
	v_fmac_f32_e32 v11, v55, v12
	v_add_f32_e32 v54, v58, v10
	v_add_f32_e32 v55, v59, v11
	ds_read2_b64 v[10:13], v49 offset0:160 offset1:176
	s_waitcnt lgkmcnt(0)
	v_mul_f32_e32 v58, v9, v11
	v_mul_f32_e32 v59, v8, v11
	v_fma_f32 v58, v8, v10, -v58
	v_fmac_f32_e32 v59, v9, v10
	v_add_f32_e32 v58, v60, v58
	v_mul_f32_e32 v60, v9, v13
	v_add_f32_e32 v59, v61, v59
	v_fma_f32 v60, v8, v12, -v60
	v_mul_f32_e32 v8, v8, v13
	v_add_f32_e32 v60, v7, v60
	v_fmac_f32_e32 v8, v9, v12
	v_mul_f32_e32 v7, v56, v11
	v_add_f32_e32 v61, v6, v8
	v_mul_f32_e32 v6, v57, v11
	v_fmac_f32_e32 v7, v57, v10
	v_fma_f32 v6, v56, v10, -v6
	v_add_f32_e32 v63, v63, v7
	v_mul_f32_e32 v7, v56, v13
	v_add_f32_e32 v62, v62, v6
	v_mul_f32_e32 v6, v57, v13
	v_fmac_f32_e32 v7, v57, v12
	v_fma_f32 v6, v56, v12, -v6
	v_add_f32_e32 v55, v55, v7
	v_add_f32_e32 v54, v54, v6
	ds_read2_b64 v[6:9], v49 offset0:192 offset1:208
	s_waitcnt lgkmcnt(0)
	v_mul_f32_e32 v10, v3, v7
	v_mul_f32_e32 v11, v2, v7
	v_fma_f32 v10, v2, v6, -v10
	v_fmac_f32_e32 v11, v3, v6
	v_add_f32_e32 v56, v58, v10
	v_mul_f32_e32 v10, v3, v9
	v_add_f32_e32 v57, v59, v11
	v_fma_f32 v10, v2, v8, -v10
	v_mul_f32_e32 v2, v2, v9
	v_fmac_f32_e32 v2, v3, v8
	v_add_f32_e32 v3, v60, v10
	ds_read_b128 v[10:13], v48 offset:4144
	v_add_f32_e32 v2, v61, v2
	s_waitcnt lgkmcnt(0)
	v_mul_f32_e32 v58, v11, v7
	v_mul_f32_e32 v7, v10, v7
	v_fma_f32 v58, v10, v6, -v58
	v_fmac_f32_e32 v7, v11, v6
	v_mul_f32_e32 v6, v11, v9
	v_add_f32_e32 v58, v62, v58
	v_add_f32_e32 v59, v63, v7
	v_mul_f32_e32 v7, v10, v9
	v_fma_f32 v6, v10, v8, -v6
	v_fmac_f32_e32 v7, v11, v8
	v_add_f32_e32 v10, v54, v6
	v_add_f32_e32 v11, v55, v7
	ds_read2_b64 v[6:9], v49 offset0:224 offset1:240
	s_waitcnt lgkmcnt(0)
	v_mul_f32_e32 v54, v5, v7
	v_mul_f32_e32 v55, v4, v7
	v_fma_f32 v54, v4, v6, -v54
	v_fmac_f32_e32 v55, v5, v6
	v_add_f32_e32 v54, v56, v54
	v_mul_f32_e32 v56, v5, v9
	v_add_f32_e32 v55, v57, v55
	v_fma_f32 v56, v4, v8, -v56
	v_mul_f32_e32 v4, v4, v9
	v_add_f32_e32 v56, v3, v56
	v_fmac_f32_e32 v4, v5, v8
	v_mul_f32_e32 v3, v12, v7
	v_add_f32_e32 v57, v2, v4
	v_mul_f32_e32 v2, v13, v7
	v_fmac_f32_e32 v3, v13, v6
	v_fma_f32 v2, v12, v6, -v2
	v_add_f32_e32 v59, v59, v3
	v_mul_f32_e32 v3, v12, v9
	v_add_f32_e32 v58, v58, v2
	v_mul_f32_e32 v2, v13, v9
	v_fmac_f32_e32 v3, v13, v8
	v_fma_f32 v2, v12, v8, -v2
	v_add_f32_e32 v61, v11, v3
	v_add_f32_e32 v60, v10, v2
	ds_read_b128 v[2:5], v48 offset:64
	ds_read2_b64 v[6:9], v0 offset1:16
	s_waitcnt lgkmcnt(0)
	v_mul_f32_e32 v10, v3, v7
	v_mul_f32_e32 v11, v2, v7
	v_fma_f32 v10, v2, v6, -v10
	v_fmac_f32_e32 v11, v3, v6
	v_add_f32_e32 v54, v54, v10
	v_mul_f32_e32 v10, v3, v9
	v_add_f32_e32 v55, v55, v11
	v_fma_f32 v10, v2, v8, -v10
	v_mul_f32_e32 v2, v2, v9
	v_fmac_f32_e32 v2, v3, v8
	v_add_f32_e32 v3, v56, v10
	ds_read_b128 v[10:13], v48 offset:4160
	v_add_f32_e32 v2, v57, v2
	s_waitcnt lgkmcnt(0)
	v_mul_f32_e32 v56, v11, v7
	v_mul_f32_e32 v7, v10, v7
	v_fma_f32 v56, v10, v6, -v56
	v_fmac_f32_e32 v7, v11, v6
	v_mul_f32_e32 v6, v11, v9
	v_add_f32_e32 v56, v58, v56
	v_add_f32_e32 v57, v59, v7
	v_mul_f32_e32 v7, v10, v9
	v_fma_f32 v6, v10, v8, -v6
	v_fmac_f32_e32 v7, v11, v8
	v_add_f32_e32 v10, v60, v6
	v_add_f32_e32 v11, v61, v7
	ds_read2_b64 v[6:9], v0 offset0:32 offset1:48
	s_waitcnt lgkmcnt(0)
	v_mul_f32_e32 v58, v5, v7
	v_mul_f32_e32 v59, v4, v7
	v_fma_f32 v58, v4, v6, -v58
	v_fmac_f32_e32 v59, v5, v6
	v_add_f32_e32 v54, v54, v58
	v_mul_f32_e32 v58, v5, v9
	v_add_f32_e32 v55, v55, v59
	v_fma_f32 v58, v4, v8, -v58
	v_mul_f32_e32 v4, v4, v9
	v_add_f32_e32 v58, v3, v58
	v_fmac_f32_e32 v4, v5, v8
	v_mul_f32_e32 v3, v12, v7
	v_add_f32_e32 v59, v2, v4
	v_mul_f32_e32 v2, v13, v7
	v_fmac_f32_e32 v3, v13, v6
	v_fma_f32 v2, v12, v6, -v2
	v_add_f32_e32 v57, v57, v3
	v_mul_f32_e32 v3, v12, v9
	v_add_f32_e32 v56, v56, v2
	v_mul_f32_e32 v2, v13, v9
	v_fmac_f32_e32 v3, v13, v8
	v_fma_f32 v2, v12, v8, -v2
	v_add_f32_e32 v61, v11, v3
	v_add_f32_e32 v60, v10, v2
	ds_read_b128 v[2:5], v48 offset:80
	ds_read2_b64 v[6:9], v0 offset0:64 offset1:80
	s_waitcnt lgkmcnt(0)
	v_mul_f32_e32 v10, v3, v7
	v_mul_f32_e32 v11, v2, v7
	v_fma_f32 v10, v2, v6, -v10
	v_fmac_f32_e32 v11, v3, v6
	v_add_f32_e32 v54, v54, v10
	v_mul_f32_e32 v10, v3, v9
	v_add_f32_e32 v55, v55, v11
	v_fma_f32 v10, v2, v8, -v10
	v_mul_f32_e32 v2, v2, v9
	v_fmac_f32_e32 v2, v3, v8
	v_add_f32_e32 v3, v58, v10
	ds_read_b128 v[10:13], v48 offset:4176
	v_add_f32_e32 v2, v59, v2
	s_waitcnt lgkmcnt(0)
	v_mul_f32_e32 v58, v11, v7
	v_mul_f32_e32 v7, v10, v7
	v_fma_f32 v58, v10, v6, -v58
	v_fmac_f32_e32 v7, v11, v6
	v_mul_f32_e32 v6, v11, v9
	v_add_f32_e32 v56, v56, v58
	v_add_f32_e32 v57, v57, v7
	v_mul_f32_e32 v7, v10, v9
	v_fma_f32 v6, v10, v8, -v6
	v_fmac_f32_e32 v7, v11, v8
	v_add_f32_e32 v10, v60, v6
	v_add_f32_e32 v11, v61, v7
	ds_read2_b64 v[6:9], v0 offset0:96 offset1:112
	s_waitcnt lgkmcnt(0)
	v_mul_f32_e32 v58, v5, v7
	v_mul_f32_e32 v59, v4, v7
	v_fma_f32 v58, v4, v6, -v58
	v_fmac_f32_e32 v59, v5, v6
	v_add_f32_e32 v54, v54, v58
	v_mul_f32_e32 v58, v5, v9
	v_add_f32_e32 v55, v55, v59
	v_fma_f32 v58, v4, v8, -v58
	v_mul_f32_e32 v4, v4, v9
	v_add_f32_e32 v58, v3, v58
	v_fmac_f32_e32 v4, v5, v8
	v_mul_f32_e32 v3, v12, v7
	v_add_f32_e32 v59, v2, v4
	v_mul_f32_e32 v2, v13, v7
	v_fmac_f32_e32 v3, v13, v6
	v_fma_f32 v2, v12, v6, -v2
	v_add_f32_e32 v57, v57, v3
	v_mul_f32_e32 v3, v12, v9
	v_add_f32_e32 v56, v56, v2
	v_mul_f32_e32 v2, v13, v9
	v_fmac_f32_e32 v3, v13, v8
	v_fma_f32 v2, v12, v8, -v2
	v_add_f32_e32 v61, v11, v3
	v_add_f32_e32 v60, v10, v2
	ds_read_b128 v[2:5], v48 offset:96
	ds_read2_b64 v[6:9], v0 offset0:128 offset1:144
	;; [unrolled: 55-line block ×3, first 2 shown]
	s_waitcnt lgkmcnt(0)
	v_mul_f32_e32 v10, v3, v7
	v_mul_f32_e32 v11, v2, v7
	v_fma_f32 v10, v2, v6, -v10
	v_fmac_f32_e32 v11, v3, v6
	v_add_f32_e32 v54, v54, v10
	v_mul_f32_e32 v10, v3, v9
	v_add_f32_e32 v55, v55, v11
	v_fma_f32 v10, v2, v8, -v10
	v_mul_f32_e32 v2, v2, v9
	v_fmac_f32_e32 v2, v3, v8
	v_add_f32_e32 v3, v58, v10
	ds_read_b128 v[10:13], v48 offset:4208
	v_add_f32_e32 v2, v59, v2
	s_waitcnt lgkmcnt(0)
	v_mul_f32_e32 v58, v11, v7
	v_mul_f32_e32 v7, v10, v7
	v_fma_f32 v58, v10, v6, -v58
	v_fmac_f32_e32 v7, v11, v6
	v_mul_f32_e32 v6, v11, v9
	v_add_f32_e32 v56, v56, v58
	v_add_f32_e32 v57, v57, v7
	v_mul_f32_e32 v7, v10, v9
	v_fma_f32 v6, v10, v8, -v6
	v_fmac_f32_e32 v7, v11, v8
	v_add_f32_e32 v10, v60, v6
	v_add_f32_e32 v11, v61, v7
	ds_read2_b64 v[6:9], v0 offset0:224 offset1:240
	s_waitcnt lgkmcnt(0)
	v_mul_f32_e32 v58, v5, v7
	v_mul_f32_e32 v59, v4, v7
	v_fma_f32 v58, v4, v6, -v58
	v_fmac_f32_e32 v59, v5, v6
	v_add_f32_e32 v54, v54, v58
	v_mul_f32_e32 v58, v5, v9
	v_add_f32_e32 v55, v55, v59
	v_fma_f32 v58, v4, v8, -v58
	v_mul_f32_e32 v4, v4, v9
	v_add_f32_e32 v58, v3, v58
	v_fmac_f32_e32 v4, v5, v8
	v_mul_f32_e32 v3, v12, v7
	v_add_f32_e32 v59, v2, v4
	v_mul_f32_e32 v2, v13, v7
	v_fmac_f32_e32 v3, v13, v6
	v_fma_f32 v2, v12, v6, -v2
	v_add_f32_e32 v57, v57, v3
	v_mul_f32_e32 v3, v12, v9
	v_add_f32_e32 v56, v56, v2
	v_mul_f32_e32 v2, v13, v9
	v_fmac_f32_e32 v3, v13, v8
	v_fma_f32 v2, v12, v8, -v2
	v_add_f32_e32 v61, v11, v3
	v_add_f32_e32 v60, v10, v2
	ds_read_b128 v[2:5], v48 offset:128
	ds_read2_b64 v[6:9], v52 offset1:16
	s_waitcnt lgkmcnt(0)
	v_mul_f32_e32 v10, v3, v7
	v_mul_f32_e32 v11, v2, v7
	v_fma_f32 v10, v2, v6, -v10
	v_fmac_f32_e32 v11, v3, v6
	v_add_f32_e32 v54, v54, v10
	v_mul_f32_e32 v10, v3, v9
	v_add_f32_e32 v55, v55, v11
	v_fma_f32 v10, v2, v8, -v10
	v_mul_f32_e32 v2, v2, v9
	v_fmac_f32_e32 v2, v3, v8
	v_add_f32_e32 v3, v58, v10
	ds_read_b128 v[10:13], v48 offset:4224
	v_add_f32_e32 v2, v59, v2
	s_waitcnt lgkmcnt(0)
	v_mul_f32_e32 v58, v11, v7
	v_mul_f32_e32 v7, v10, v7
	v_fma_f32 v58, v10, v6, -v58
	v_fmac_f32_e32 v7, v11, v6
	v_mul_f32_e32 v6, v11, v9
	v_add_f32_e32 v56, v56, v58
	v_add_f32_e32 v57, v57, v7
	v_mul_f32_e32 v7, v10, v9
	v_fma_f32 v6, v10, v8, -v6
	v_fmac_f32_e32 v7, v11, v8
	v_add_f32_e32 v10, v60, v6
	v_add_f32_e32 v11, v61, v7
	ds_read2_b64 v[6:9], v52 offset0:32 offset1:48
	s_waitcnt lgkmcnt(0)
	v_mul_f32_e32 v58, v5, v7
	v_mul_f32_e32 v59, v4, v7
	v_fma_f32 v58, v4, v6, -v58
	v_fmac_f32_e32 v59, v5, v6
	v_add_f32_e32 v54, v54, v58
	v_mul_f32_e32 v58, v5, v9
	v_add_f32_e32 v55, v55, v59
	v_fma_f32 v58, v4, v8, -v58
	v_mul_f32_e32 v4, v4, v9
	v_add_f32_e32 v58, v3, v58
	v_fmac_f32_e32 v4, v5, v8
	v_mul_f32_e32 v3, v12, v7
	v_add_f32_e32 v59, v2, v4
	v_mul_f32_e32 v2, v13, v7
	v_fmac_f32_e32 v3, v13, v6
	v_fma_f32 v2, v12, v6, -v2
	v_add_f32_e32 v57, v57, v3
	v_mul_f32_e32 v3, v12, v9
	v_add_f32_e32 v56, v56, v2
	v_mul_f32_e32 v2, v13, v9
	v_fmac_f32_e32 v3, v13, v8
	v_fma_f32 v2, v12, v8, -v2
	v_add_f32_e32 v61, v11, v3
	v_add_f32_e32 v60, v10, v2
	ds_read_b128 v[2:5], v48 offset:144
	ds_read2_b64 v[6:9], v52 offset0:64 offset1:80
	s_waitcnt lgkmcnt(0)
	v_mul_f32_e32 v10, v3, v7
	v_mul_f32_e32 v11, v2, v7
	v_fma_f32 v10, v2, v6, -v10
	v_fmac_f32_e32 v11, v3, v6
	v_add_f32_e32 v54, v54, v10
	v_mul_f32_e32 v10, v3, v9
	v_add_f32_e32 v55, v55, v11
	v_fma_f32 v10, v2, v8, -v10
	v_mul_f32_e32 v2, v2, v9
	v_fmac_f32_e32 v2, v3, v8
	v_add_f32_e32 v3, v58, v10
	ds_read_b128 v[10:13], v48 offset:4240
	v_add_f32_e32 v2, v59, v2
	s_waitcnt lgkmcnt(0)
	v_mul_f32_e32 v58, v11, v7
	v_mul_f32_e32 v7, v10, v7
	v_fma_f32 v58, v10, v6, -v58
	v_fmac_f32_e32 v7, v11, v6
	v_mul_f32_e32 v6, v11, v9
	v_add_f32_e32 v56, v56, v58
	v_add_f32_e32 v57, v57, v7
	v_mul_f32_e32 v7, v10, v9
	v_fma_f32 v6, v10, v8, -v6
	v_fmac_f32_e32 v7, v11, v8
	v_add_f32_e32 v10, v60, v6
	v_add_f32_e32 v11, v61, v7
	ds_read2_b64 v[6:9], v52 offset0:96 offset1:112
	s_waitcnt lgkmcnt(0)
	v_mul_f32_e32 v58, v5, v7
	v_mul_f32_e32 v59, v4, v7
	v_fma_f32 v58, v4, v6, -v58
	v_fmac_f32_e32 v59, v5, v6
	v_add_f32_e32 v54, v54, v58
	v_mul_f32_e32 v58, v5, v9
	v_add_f32_e32 v55, v55, v59
	v_fma_f32 v58, v4, v8, -v58
	v_mul_f32_e32 v4, v4, v9
	v_add_f32_e32 v58, v3, v58
	v_fmac_f32_e32 v4, v5, v8
	v_mul_f32_e32 v3, v12, v7
	v_add_f32_e32 v59, v2, v4
	v_mul_f32_e32 v2, v13, v7
	v_fmac_f32_e32 v3, v13, v6
	v_fma_f32 v2, v12, v6, -v2
	v_add_f32_e32 v57, v57, v3
	v_mul_f32_e32 v3, v12, v9
	v_add_f32_e32 v56, v56, v2
	v_mul_f32_e32 v2, v13, v9
	v_fmac_f32_e32 v3, v13, v8
	v_fma_f32 v2, v12, v8, -v2
	v_add_f32_e32 v61, v11, v3
	v_add_f32_e32 v60, v10, v2
	ds_read_b128 v[2:5], v48 offset:160
	ds_read2_b64 v[6:9], v52 offset0:128 offset1:144
	s_waitcnt lgkmcnt(0)
	v_mul_f32_e32 v10, v3, v7
	v_mul_f32_e32 v11, v2, v7
	v_fma_f32 v10, v2, v6, -v10
	v_fmac_f32_e32 v11, v3, v6
	v_add_f32_e32 v54, v54, v10
	v_mul_f32_e32 v10, v3, v9
	v_add_f32_e32 v55, v55, v11
	v_fma_f32 v10, v2, v8, -v10
	v_mul_f32_e32 v2, v2, v9
	v_fmac_f32_e32 v2, v3, v8
	v_add_f32_e32 v3, v58, v10
	ds_read_b128 v[10:13], v48 offset:4256
	v_add_f32_e32 v2, v59, v2
	s_waitcnt lgkmcnt(0)
	v_mul_f32_e32 v58, v11, v7
	v_mul_f32_e32 v7, v10, v7
	v_fma_f32 v58, v10, v6, -v58
	v_fmac_f32_e32 v7, v11, v6
	v_mul_f32_e32 v6, v11, v9
	v_add_f32_e32 v56, v56, v58
	v_add_f32_e32 v57, v57, v7
	v_mul_f32_e32 v7, v10, v9
	v_fma_f32 v6, v10, v8, -v6
	v_fmac_f32_e32 v7, v11, v8
	v_add_f32_e32 v10, v60, v6
	v_add_f32_e32 v11, v61, v7
	ds_read2_b64 v[6:9], v52 offset0:160 offset1:176
	s_waitcnt lgkmcnt(0)
	v_mul_f32_e32 v58, v5, v7
	v_mul_f32_e32 v59, v4, v7
	v_fma_f32 v58, v4, v6, -v58
	v_fmac_f32_e32 v59, v5, v6
	v_add_f32_e32 v54, v54, v58
	v_mul_f32_e32 v58, v5, v9
	v_add_f32_e32 v55, v55, v59
	v_fma_f32 v58, v4, v8, -v58
	v_mul_f32_e32 v4, v4, v9
	v_add_f32_e32 v58, v3, v58
	v_fmac_f32_e32 v4, v5, v8
	v_mul_f32_e32 v3, v12, v7
	v_add_f32_e32 v59, v2, v4
	v_mul_f32_e32 v2, v13, v7
	v_fmac_f32_e32 v3, v13, v6
	v_fma_f32 v2, v12, v6, -v2
	v_add_f32_e32 v57, v57, v3
	v_mul_f32_e32 v3, v12, v9
	v_add_f32_e32 v56, v56, v2
	v_mul_f32_e32 v2, v13, v9
	v_fmac_f32_e32 v3, v13, v8
	v_fma_f32 v2, v12, v8, -v2
	v_add_f32_e32 v61, v11, v3
	v_add_f32_e32 v60, v10, v2
	ds_read_b128 v[2:5], v48 offset:176
	ds_read2_b64 v[6:9], v52 offset0:192 offset1:208
	s_waitcnt lgkmcnt(0)
	v_mul_f32_e32 v10, v3, v7
	v_mul_f32_e32 v11, v2, v7
	v_fma_f32 v10, v2, v6, -v10
	v_fmac_f32_e32 v11, v3, v6
	v_add_f32_e32 v54, v54, v10
	v_mul_f32_e32 v10, v3, v9
	v_add_f32_e32 v55, v55, v11
	v_fma_f32 v10, v2, v8, -v10
	v_mul_f32_e32 v2, v2, v9
	v_fmac_f32_e32 v2, v3, v8
	v_add_f32_e32 v3, v58, v10
	ds_read_b128 v[10:13], v48 offset:4272
	v_add_f32_e32 v2, v59, v2
	s_waitcnt lgkmcnt(0)
	v_mul_f32_e32 v58, v11, v7
	v_mul_f32_e32 v7, v10, v7
	v_fma_f32 v58, v10, v6, -v58
	v_fmac_f32_e32 v7, v11, v6
	v_mul_f32_e32 v6, v11, v9
	v_add_f32_e32 v56, v56, v58
	v_add_f32_e32 v57, v57, v7
	v_mul_f32_e32 v7, v10, v9
	v_fma_f32 v6, v10, v8, -v6
	v_fmac_f32_e32 v7, v11, v8
	v_add_f32_e32 v10, v60, v6
	v_add_f32_e32 v11, v61, v7
	ds_read2_b64 v[6:9], v52 offset0:224 offset1:240
	s_waitcnt lgkmcnt(0)
	v_mul_f32_e32 v58, v5, v7
	v_mul_f32_e32 v59, v4, v7
	v_fma_f32 v58, v4, v6, -v58
	v_fmac_f32_e32 v59, v5, v6
	v_add_f32_e32 v54, v54, v58
	v_mul_f32_e32 v58, v5, v9
	v_add_f32_e32 v55, v55, v59
	v_fma_f32 v58, v4, v8, -v58
	v_mul_f32_e32 v4, v4, v9
	v_add_f32_e32 v58, v3, v58
	v_fmac_f32_e32 v4, v5, v8
	v_mul_f32_e32 v3, v12, v7
	v_add_f32_e32 v59, v2, v4
	v_mul_f32_e32 v2, v13, v7
	v_fmac_f32_e32 v3, v13, v6
	v_fma_f32 v2, v12, v6, -v2
	v_add_f32_e32 v57, v57, v3
	v_mul_f32_e32 v3, v12, v9
	v_add_f32_e32 v56, v56, v2
	v_mul_f32_e32 v2, v13, v9
	v_fmac_f32_e32 v3, v13, v8
	v_fma_f32 v2, v12, v8, -v2
	v_add_f32_e32 v61, v11, v3
	v_add_f32_e32 v60, v10, v2
	ds_read_b128 v[2:5], v48 offset:192
	ds_read2_b64 v[6:9], v53 offset1:16
	s_waitcnt lgkmcnt(0)
	v_mul_f32_e32 v10, v3, v7
	v_mul_f32_e32 v11, v2, v7
	v_fma_f32 v10, v2, v6, -v10
	v_fmac_f32_e32 v11, v3, v6
	v_add_f32_e32 v54, v54, v10
	v_mul_f32_e32 v10, v3, v9
	v_add_f32_e32 v55, v55, v11
	v_fma_f32 v10, v2, v8, -v10
	v_mul_f32_e32 v2, v2, v9
	v_fmac_f32_e32 v2, v3, v8
	v_add_f32_e32 v3, v58, v10
	ds_read_b128 v[10:13], v48 offset:4288
	v_add_f32_e32 v2, v59, v2
	s_waitcnt lgkmcnt(0)
	v_mul_f32_e32 v58, v11, v7
	v_mul_f32_e32 v7, v10, v7
	v_fma_f32 v58, v10, v6, -v58
	v_fmac_f32_e32 v7, v11, v6
	v_mul_f32_e32 v6, v11, v9
	v_add_f32_e32 v56, v56, v58
	v_add_f32_e32 v57, v57, v7
	v_mul_f32_e32 v7, v10, v9
	v_fma_f32 v6, v10, v8, -v6
	v_fmac_f32_e32 v7, v11, v8
	v_add_f32_e32 v10, v60, v6
	v_add_f32_e32 v11, v61, v7
	ds_read2_b64 v[6:9], v53 offset0:32 offset1:48
	s_waitcnt lgkmcnt(0)
	v_mul_f32_e32 v58, v5, v7
	v_mul_f32_e32 v59, v4, v7
	v_fma_f32 v58, v4, v6, -v58
	v_fmac_f32_e32 v59, v5, v6
	v_add_f32_e32 v54, v54, v58
	v_mul_f32_e32 v58, v5, v9
	v_add_f32_e32 v55, v55, v59
	v_fma_f32 v58, v4, v8, -v58
	v_mul_f32_e32 v4, v4, v9
	v_add_f32_e32 v58, v3, v58
	v_fmac_f32_e32 v4, v5, v8
	v_mul_f32_e32 v3, v12, v7
	v_add_f32_e32 v59, v2, v4
	v_mul_f32_e32 v2, v13, v7
	v_fmac_f32_e32 v3, v13, v6
	v_fma_f32 v2, v12, v6, -v2
	v_add_f32_e32 v57, v57, v3
	v_mul_f32_e32 v3, v12, v9
	v_add_f32_e32 v56, v56, v2
	v_mul_f32_e32 v2, v13, v9
	v_fmac_f32_e32 v3, v13, v8
	v_fma_f32 v2, v12, v8, -v2
	v_add_f32_e32 v61, v11, v3
	v_add_f32_e32 v60, v10, v2
	ds_read_b128 v[2:5], v48 offset:208
	ds_read2_b64 v[6:9], v53 offset0:64 offset1:80
	s_waitcnt lgkmcnt(0)
	v_mul_f32_e32 v10, v3, v7
	v_mul_f32_e32 v11, v2, v7
	v_fma_f32 v10, v2, v6, -v10
	v_fmac_f32_e32 v11, v3, v6
	v_add_f32_e32 v54, v54, v10
	v_mul_f32_e32 v10, v3, v9
	v_add_f32_e32 v55, v55, v11
	v_fma_f32 v10, v2, v8, -v10
	v_mul_f32_e32 v2, v2, v9
	v_fmac_f32_e32 v2, v3, v8
	v_add_f32_e32 v3, v58, v10
	ds_read_b128 v[10:13], v48 offset:4304
	v_add_f32_e32 v2, v59, v2
	s_waitcnt lgkmcnt(0)
	v_mul_f32_e32 v58, v11, v7
	v_mul_f32_e32 v7, v10, v7
	v_fma_f32 v58, v10, v6, -v58
	v_fmac_f32_e32 v7, v11, v6
	v_mul_f32_e32 v6, v11, v9
	v_add_f32_e32 v56, v56, v58
	v_add_f32_e32 v57, v57, v7
	v_mul_f32_e32 v7, v10, v9
	v_fma_f32 v6, v10, v8, -v6
	v_fmac_f32_e32 v7, v11, v8
	v_add_f32_e32 v10, v60, v6
	v_add_f32_e32 v11, v61, v7
	ds_read2_b64 v[6:9], v53 offset0:96 offset1:112
	s_waitcnt lgkmcnt(0)
	v_mul_f32_e32 v58, v5, v7
	v_mul_f32_e32 v59, v4, v7
	v_fma_f32 v58, v4, v6, -v58
	v_fmac_f32_e32 v59, v5, v6
	v_add_f32_e32 v54, v54, v58
	v_mul_f32_e32 v58, v5, v9
	v_add_f32_e32 v55, v55, v59
	v_fma_f32 v58, v4, v8, -v58
	v_mul_f32_e32 v4, v4, v9
	v_add_f32_e32 v58, v3, v58
	v_fmac_f32_e32 v4, v5, v8
	v_mul_f32_e32 v3, v12, v7
	v_add_f32_e32 v59, v2, v4
	v_mul_f32_e32 v2, v13, v7
	v_fmac_f32_e32 v3, v13, v6
	v_fma_f32 v2, v12, v6, -v2
	v_add_f32_e32 v57, v57, v3
	v_mul_f32_e32 v3, v12, v9
	v_add_f32_e32 v56, v56, v2
	v_mul_f32_e32 v2, v13, v9
	v_fmac_f32_e32 v3, v13, v8
	v_fma_f32 v2, v12, v8, -v2
	v_add_f32_e32 v61, v11, v3
	v_add_f32_e32 v60, v10, v2
	ds_read_b128 v[2:5], v48 offset:224
	ds_read2_b64 v[6:9], v53 offset0:128 offset1:144
	;; [unrolled: 55-line block ×3, first 2 shown]
	s_waitcnt lgkmcnt(0)
	v_mul_f32_e32 v10, v3, v7
	v_mul_f32_e32 v11, v2, v7
	v_fma_f32 v10, v2, v6, -v10
	v_fmac_f32_e32 v11, v3, v6
	v_add_f32_e32 v54, v54, v10
	v_mul_f32_e32 v10, v3, v9
	v_add_f32_e32 v55, v55, v11
	v_fma_f32 v10, v2, v8, -v10
	v_mul_f32_e32 v2, v2, v9
	v_fmac_f32_e32 v2, v3, v8
	v_add_f32_e32 v3, v58, v10
	ds_read_b128 v[10:13], v48 offset:4336
	v_add_f32_e32 v2, v59, v2
	s_waitcnt lgkmcnt(0)
	v_mul_f32_e32 v58, v11, v7
	v_mul_f32_e32 v7, v10, v7
	v_fma_f32 v58, v10, v6, -v58
	v_fmac_f32_e32 v7, v11, v6
	v_mul_f32_e32 v6, v11, v9
	v_add_f32_e32 v56, v56, v58
	v_add_f32_e32 v57, v57, v7
	v_mul_f32_e32 v7, v10, v9
	v_fma_f32 v6, v10, v8, -v6
	v_fmac_f32_e32 v7, v11, v8
	v_add_f32_e32 v10, v60, v6
	v_add_f32_e32 v11, v61, v7
	ds_read2_b64 v[6:9], v53 offset0:224 offset1:240
	s_waitcnt lgkmcnt(0)
	s_barrier
	buffer_gl0_inv
	v_mul_f32_e32 v58, v5, v7
	v_mul_f32_e32 v59, v4, v7
	v_fma_f32 v58, v4, v6, -v58
	v_fmac_f32_e32 v59, v5, v6
	v_add_f32_e32 v60, v54, v58
	v_mul_f32_e32 v54, v5, v9
	v_add_f32_e32 v61, v55, v59
	v_fma_f32 v54, v4, v8, -v54
	v_mul_f32_e32 v4, v4, v9
	v_add_f32_e32 v58, v3, v54
	v_fmac_f32_e32 v4, v5, v8
	v_mul_f32_e32 v3, v12, v7
	v_add_f32_e32 v59, v2, v4
	v_mul_f32_e32 v2, v13, v7
	v_fmac_f32_e32 v3, v13, v6
	v_fma_f32 v2, v12, v6, -v2
	v_add_f32_e32 v57, v57, v3
	v_mul_f32_e32 v3, v12, v9
	v_add_f32_e32 v56, v56, v2
	v_mul_f32_e32 v2, v13, v9
	v_fmac_f32_e32 v3, v13, v8
	v_fma_f32 v2, v12, v8, -v2
	v_add_f32_e32 v54, v11, v3
	v_add_f32_e32 v55, v10, v2
	s_cbranch_scc1 .LBB95_56
.LBB95_7:                               ;   Parent Loop BB95_4 Depth=1
                                        ; =>  This Inner Loop Header: Depth=2
	v_add_co_u32 v2, s5, v16, s26
	v_add_co_ci_u32_e64 v3, null, s27, v17, s5
	v_cmp_eq_u64_e64 s8, s[26:27], v[28:29]
	v_add_co_u32 v4, s9, v34, v30
	v_cmp_lt_i64_e64 s5, v[2:3], v[26:27]
	v_cmp_le_i64_e64 s6, s[18:19], v[2:3]
	v_add_co_ci_u32_e64 v5, null, v35, v31, s9
	s_and_b32 s49, s45, s8
	s_or_b32 s9, s3, s5
	s_or_b32 s8, s6, s9
	s_nor_b32 s8, s8, s49
	s_and_saveexec_b32 s9, s8
	s_xor_b32 s8, exec_lo, s9
	s_cbranch_execz .LBB95_9
; %bb.8:                                ;   in Loop: Header=BB95_7 Depth=2
	global_load_dwordx2 v[6:7], v[4:5], off
	s_waitcnt vmcnt(0)
	v_xor_b32_e32 v7, 0x80000000, v7
	ds_write_b64 v50, v[6:7]
.LBB95_9:                               ;   in Loop: Header=BB95_7 Depth=2
	s_or_saveexec_b32 s8, s8
	s_xor_b32 s48, s49, -1
	s_xor_b32 exec_lo, exec_lo, s8
	s_cbranch_execz .LBB95_15
; %bb.10:                               ;   in Loop: Header=BB95_7 Depth=2
	s_and_saveexec_b32 s9, s48
	s_xor_b32 s9, exec_lo, s9
; %bb.11:                               ;   in Loop: Header=BB95_7 Depth=2
	v_mov_b32_e32 v6, v25
	v_mov_b32_e32 v7, v25
	ds_write_b64 v50, v[6:7]
; %bb.12:                               ;   in Loop: Header=BB95_7 Depth=2
	s_andn2_saveexec_b32 s9, s9
; %bb.13:                               ;   in Loop: Header=BB95_7 Depth=2
	ds_write_b64 v50, v[24:25]
; %bb.14:                               ;   in Loop: Header=BB95_7 Depth=2
	s_or_b32 exec_lo, exec_lo, s9
.LBB95_15:                              ;   in Loop: Header=BB95_7 Depth=2
	s_or_b32 exec_lo, exec_lo, s8
	v_add_co_u32 v6, s8, v2, 16
	v_add_co_ci_u32_e64 v7, null, 0, v3, s8
	v_cmp_eq_u64_e64 s10, s[26:27], v[44:45]
	v_cmp_lt_i64_e64 s9, v[6:7], v[26:27]
	v_cmp_le_i64_e64 s8, s[18:19], v[6:7]
	s_and_b32 s10, s45, s10
	s_or_b32 s9, s3, s9
	s_or_b32 s9, s8, s9
	s_nor_b32 s9, s9, s10
	s_and_saveexec_b32 s50, s9
	s_xor_b32 s50, exec_lo, s50
	s_cbranch_execz .LBB95_17
; %bb.16:                               ;   in Loop: Header=BB95_7 Depth=2
	v_add_co_u32 v6, s9, v32, v30
	v_add_co_ci_u32_e64 v7, null, v33, v31, s9
	global_load_dwordx2 v[6:7], v[6:7], off
	s_waitcnt vmcnt(0)
	v_xor_b32_e32 v7, 0x80000000, v7
	ds_write_b64 v50, v[6:7] offset:128
.LBB95_17:                              ;   in Loop: Header=BB95_7 Depth=2
	s_andn2_saveexec_b32 s9, s50
	s_cbranch_execz .LBB95_23
; %bb.18:                               ;   in Loop: Header=BB95_7 Depth=2
	s_xor_b32 s10, s10, -1
	s_and_saveexec_b32 s50, s10
	s_xor_b32 s10, exec_lo, s50
; %bb.19:                               ;   in Loop: Header=BB95_7 Depth=2
	v_mov_b32_e32 v6, v25
	v_mov_b32_e32 v7, v25
	ds_write_b64 v50, v[6:7] offset:128
; %bb.20:                               ;   in Loop: Header=BB95_7 Depth=2
	s_andn2_saveexec_b32 s10, s10
; %bb.21:                               ;   in Loop: Header=BB95_7 Depth=2
	ds_write_b64 v50, v[24:25] offset:128
; %bb.22:                               ;   in Loop: Header=BB95_7 Depth=2
	s_or_b32 exec_lo, exec_lo, s10
.LBB95_23:                              ;   in Loop: Header=BB95_7 Depth=2
	s_or_b32 exec_lo, exec_lo, s9
	v_cmp_eq_u64_e64 s9, s[26:27], v[42:43]
	v_cmp_lt_i64_e64 s10, v[2:3], v[40:41]
	s_and_b32 s9, s45, s9
	s_or_b32 s10, s4, s10
	s_or_b32 s10, s10, s9
	s_nor_b32 s6, s6, s10
	s_and_saveexec_b32 s10, s6
	s_xor_b32 s6, exec_lo, s10
	s_cbranch_execz .LBB95_25
; %bb.24:                               ;   in Loop: Header=BB95_7 Depth=2
	global_load_dwordx2 v[2:3], v[4:5], off offset:128
	s_waitcnt vmcnt(0)
	v_xor_b32_e32 v3, 0x80000000, v3
	ds_write_b64 v50, v[2:3] offset:4096
.LBB95_25:                              ;   in Loop: Header=BB95_7 Depth=2
	s_andn2_saveexec_b32 s6, s6
	s_cbranch_execz .LBB95_31
; %bb.26:                               ;   in Loop: Header=BB95_7 Depth=2
	s_xor_b32 s9, s9, -1
	s_and_saveexec_b32 s10, s9
	s_xor_b32 s9, exec_lo, s10
; %bb.27:                               ;   in Loop: Header=BB95_7 Depth=2
	v_mov_b32_e32 v2, v25
	v_mov_b32_e32 v3, v25
	ds_write_b64 v50, v[2:3] offset:4096
; %bb.28:                               ;   in Loop: Header=BB95_7 Depth=2
	s_andn2_saveexec_b32 s9, s9
; %bb.29:                               ;   in Loop: Header=BB95_7 Depth=2
	ds_write_b64 v50, v[24:25] offset:4096
; %bb.30:                               ;   in Loop: Header=BB95_7 Depth=2
	s_or_b32 exec_lo, exec_lo, s9
.LBB95_31:                              ;   in Loop: Header=BB95_7 Depth=2
	s_or_b32 exec_lo, exec_lo, s6
	s_or_b32 s5, s4, s5
	s_or_b32 s5, s8, s5
	s_nor_b32 s5, s5, s49
	s_and_saveexec_b32 s6, s5
	s_xor_b32 s6, exec_lo, s6
	s_cbranch_execz .LBB95_33
; %bb.32:                               ;   in Loop: Header=BB95_7 Depth=2
	v_add_co_u32 v2, s5, v32, v30
	v_add_co_ci_u32_e64 v3, null, v33, v31, s5
	global_load_dwordx2 v[2:3], v[2:3], off offset:128
	s_waitcnt vmcnt(0)
	v_xor_b32_e32 v3, 0x80000000, v3
	ds_write_b64 v50, v[2:3] offset:4224
.LBB95_33:                              ;   in Loop: Header=BB95_7 Depth=2
	s_andn2_saveexec_b32 s5, s6
	s_cbranch_execz .LBB95_39
; %bb.34:                               ;   in Loop: Header=BB95_7 Depth=2
	s_and_saveexec_b32 s6, s48
	s_xor_b32 s6, exec_lo, s6
; %bb.35:                               ;   in Loop: Header=BB95_7 Depth=2
	v_mov_b32_e32 v2, v25
	v_mov_b32_e32 v3, v25
	ds_write_b64 v50, v[2:3] offset:4224
; %bb.36:                               ;   in Loop: Header=BB95_7 Depth=2
	s_andn2_saveexec_b32 s6, s6
; %bb.37:                               ;   in Loop: Header=BB95_7 Depth=2
	ds_write_b64 v50, v[24:25] offset:4224
; %bb.38:                               ;   in Loop: Header=BB95_7 Depth=2
	s_or_b32 exec_lo, exec_lo, s6
.LBB95_39:                              ;   in Loop: Header=BB95_7 Depth=2
	s_or_b32 exec_lo, exec_lo, s5
	v_add_co_u32 v2, s5, v18, s26
	v_add_co_ci_u32_e64 v3, null, s27, v19, s5
	v_add_co_u32 v4, s6, v36, v46
	v_add_co_ci_u32_e64 v5, null, v37, v47, s6
	v_cmp_le_i64_e64 s5, s[18:19], v[2:3]
	s_nor_b32 s6, s5, s1
	s_and_saveexec_b32 s8, s6
	s_xor_b32 s6, exec_lo, s8
	s_cbranch_execz .LBB95_41
; %bb.40:                               ;   in Loop: Header=BB95_7 Depth=2
	global_load_dwordx2 v[6:7], v[4:5], off offset:-128
	s_waitcnt vmcnt(0)
	ds_write_b64 v51, v[6:7]
.LBB95_41:                              ;   in Loop: Header=BB95_7 Depth=2
	s_andn2_saveexec_b32 s6, s6
; %bb.42:                               ;   in Loop: Header=BB95_7 Depth=2
	v_mov_b32_e32 v6, v25
	v_mov_b32_e32 v7, v25
	ds_write_b64 v51, v[6:7]
; %bb.43:                               ;   in Loop: Header=BB95_7 Depth=2
	s_or_b32 exec_lo, exec_lo, s6
	s_nor_b32 s5, s5, s2
	s_and_saveexec_b32 s6, s5
	s_xor_b32 s5, exec_lo, s6
	s_cbranch_execz .LBB95_45
; %bb.44:                               ;   in Loop: Header=BB95_7 Depth=2
	global_load_dwordx2 v[4:5], v[4:5], off
	s_waitcnt vmcnt(0)
	ds_write_b64 v51, v[4:5] offset:128
.LBB95_45:                              ;   in Loop: Header=BB95_7 Depth=2
	s_andn2_saveexec_b32 s5, s5
; %bb.46:                               ;   in Loop: Header=BB95_7 Depth=2
	v_mov_b32_e32 v4, v25
	v_mov_b32_e32 v5, v25
	ds_write_b64 v51, v[4:5] offset:128
; %bb.47:                               ;   in Loop: Header=BB95_7 Depth=2
	s_or_b32 exec_lo, exec_lo, s5
	v_cmp_le_i64_e64 s5, s[36:37], v[2:3]
	v_add_co_u32 v2, s6, v38, v46
	v_add_co_ci_u32_e64 v3, null, v39, v47, s6
	s_nor_b32 s6, s5, s1
	s_and_saveexec_b32 s8, s6
	s_xor_b32 s6, exec_lo, s8
	s_cbranch_execz .LBB95_49
; %bb.48:                               ;   in Loop: Header=BB95_7 Depth=2
	global_load_dwordx2 v[4:5], v[2:3], off
	s_waitcnt vmcnt(0)
	ds_write_b64 v51, v[4:5] offset:4096
.LBB95_49:                              ;   in Loop: Header=BB95_7 Depth=2
	s_andn2_saveexec_b32 s6, s6
; %bb.50:                               ;   in Loop: Header=BB95_7 Depth=2
	v_mov_b32_e32 v4, v25
	v_mov_b32_e32 v5, v25
	ds_write_b64 v51, v[4:5] offset:4096
; %bb.51:                               ;   in Loop: Header=BB95_7 Depth=2
	s_or_b32 exec_lo, exec_lo, s6
	s_nor_b32 s5, s5, s2
	s_and_saveexec_b32 s6, s5
	s_xor_b32 s5, exec_lo, s6
	s_cbranch_execz .LBB95_53
; %bb.52:                               ;   in Loop: Header=BB95_7 Depth=2
	global_load_dwordx2 v[2:3], v[2:3], off offset:128
	s_waitcnt vmcnt(0)
	ds_write_b64 v51, v[2:3] offset:4224
.LBB95_53:                              ;   in Loop: Header=BB95_7 Depth=2
	s_andn2_saveexec_b32 s5, s5
	s_cbranch_execz .LBB95_6
; %bb.54:                               ;   in Loop: Header=BB95_7 Depth=2
	v_mov_b32_e32 v2, v25
	v_mov_b32_e32 v3, v25
	ds_write_b64 v51, v[2:3] offset:4224
	s_branch .LBB95_6
.LBB95_55:                              ;   in Loop: Header=BB95_4 Depth=1
	v_mov_b32_e32 v60, 0
	v_mov_b32_e32 v61, 0
	;; [unrolled: 1-line block ×8, first 2 shown]
.LBB95_56:                              ;   in Loop: Header=BB95_4 Depth=1
	v_mul_lo_u32 v4, s41, v26
	v_mul_lo_u32 v5, s40, v27
	v_mad_u64_u32 v[2:3], null, s40, v26, 0
	v_cmp_gt_i32_e64 s3, s30, v26
	v_add3_u32 v3, v3, v5, v4
	v_lshlrev_b64 v[2:3], 3, v[2:3]
	v_add_co_u32 v2, s4, s42, v2
	v_add_co_ci_u32_e64 v3, null, s43, v3, s4
	s_and_b32 s4, vcc_lo, s3
	s_and_saveexec_b32 s5, s4
	s_cbranch_execz .LBB95_58
; %bb.57:                               ;   in Loop: Header=BB95_4 Depth=1
	v_add_co_u32 v4, s4, v2, v20
	v_add_co_ci_u32_e64 v5, null, v3, v21, s4
	v_mul_f32_e32 v8, s11, v61
	v_mul_f32_e32 v9, s31, v61
	global_load_dwordx2 v[6:7], v[4:5], off
	v_fma_f32 v8, v60, s31, -v8
	v_fmac_f32_e32 v9, s11, v60
	s_waitcnt vmcnt(0)
	v_add_f32_e32 v6, v6, v8
	v_add_f32_e32 v7, v9, v7
	global_store_dwordx2 v[4:5], v[6:7], off
.LBB95_58:                              ;   in Loop: Header=BB95_4 Depth=1
	s_or_b32 exec_lo, exec_lo, s5
	s_and_b32 s3, s0, s3
	s_and_saveexec_b32 s4, s3
	s_cbranch_execz .LBB95_60
; %bb.59:                               ;   in Loop: Header=BB95_4 Depth=1
	v_lshlrev_b64 v[4:5], 3, v[14:15]
	v_mul_f32_e32 v6, s11, v59
	v_mul_f32_e32 v7, s31, v59
	v_fma_f32 v6, v58, s31, -v6
	v_add_co_u32 v2, s3, v2, v4
	v_add_co_ci_u32_e64 v3, null, v3, v5, s3
	v_fmac_f32_e32 v7, s11, v58
	global_load_dwordx2 v[4:5], v[2:3], off
	s_waitcnt vmcnt(0)
	v_add_f32_e32 v4, v4, v6
	v_add_f32_e32 v5, v7, v5
	global_store_dwordx2 v[2:3], v[4:5], off
.LBB95_60:                              ;   in Loop: Header=BB95_4 Depth=1
	s_or_b32 exec_lo, exec_lo, s4
	v_add_nc_u32_e32 v4, 16, v26
	v_ashrrev_i32_e32 v5, 31, v4
	v_mul_lo_u32 v6, s41, v4
	v_mad_u64_u32 v[2:3], null, s40, v4, 0
	v_cmp_gt_i32_e64 s3, s30, v4
	v_mul_lo_u32 v5, s40, v5
	v_add3_u32 v3, v3, v5, v6
	v_lshlrev_b64 v[2:3], 3, v[2:3]
	v_add_co_u32 v2, s4, s42, v2
	v_add_co_ci_u32_e64 v3, null, s43, v3, s4
	s_and_b32 s4, vcc_lo, s3
	s_and_saveexec_b32 s5, s4
	s_cbranch_execz .LBB95_62
; %bb.61:                               ;   in Loop: Header=BB95_4 Depth=1
	v_add_co_u32 v4, s4, v2, v20
	v_add_co_ci_u32_e64 v5, null, v3, v21, s4
	v_mul_f32_e32 v8, s11, v57
	v_mul_f32_e32 v9, s31, v57
	global_load_dwordx2 v[6:7], v[4:5], off
	v_fma_f32 v8, v56, s31, -v8
	v_fmac_f32_e32 v9, s11, v56
	s_waitcnt vmcnt(0)
	v_add_f32_e32 v6, v6, v8
	v_add_f32_e32 v7, v9, v7
	global_store_dwordx2 v[4:5], v[6:7], off
.LBB95_62:                              ;   in Loop: Header=BB95_4 Depth=1
	s_or_b32 exec_lo, exec_lo, s5
	s_and_b32 s3, s0, s3
	s_and_saveexec_b32 s4, s3
	s_cbranch_execz .LBB95_3
; %bb.63:                               ;   in Loop: Header=BB95_4 Depth=1
	v_lshlrev_b64 v[4:5], 3, v[14:15]
	v_mul_f32_e32 v6, s11, v54
	v_mul_f32_e32 v7, s31, v54
	v_fma_f32 v6, v55, s31, -v6
	v_add_co_u32 v2, s3, v2, v4
	v_add_co_ci_u32_e64 v3, null, v3, v5, s3
	v_fmac_f32_e32 v7, s11, v55
	global_load_dwordx2 v[4:5], v[2:3], off
	s_waitcnt vmcnt(0)
	v_add_f32_e32 v4, v4, v6
	v_add_f32_e32 v5, v7, v5
	global_store_dwordx2 v[2:3], v[4:5], off
	s_branch .LBB95_3
.LBB95_64:
	s_endpgm
	.section	.rodata,"a",@progbits
	.p2align	6, 0x0
	.amdhsa_kernel _ZL30rocblas_trmm_outofplace_kernelI19rocblas_complex_numIfELi32ELi2ELb0ELb1ELb1ELb1ES1_KS1_S1_Ev17rocblas_diagonal_iiT6_lPT7_lllS6_lllPT8_llli
		.amdhsa_group_segment_fixed_size 16384
		.amdhsa_private_segment_fixed_size 0
		.amdhsa_kernarg_size 392
		.amdhsa_user_sgpr_count 6
		.amdhsa_user_sgpr_private_segment_buffer 1
		.amdhsa_user_sgpr_dispatch_ptr 0
		.amdhsa_user_sgpr_queue_ptr 0
		.amdhsa_user_sgpr_kernarg_segment_ptr 1
		.amdhsa_user_sgpr_dispatch_id 0
		.amdhsa_user_sgpr_flat_scratch_init 0
		.amdhsa_user_sgpr_private_segment_size 0
		.amdhsa_wavefront_size32 1
		.amdhsa_uses_dynamic_stack 0
		.amdhsa_system_sgpr_private_segment_wavefront_offset 0
		.amdhsa_system_sgpr_workgroup_id_x 1
		.amdhsa_system_sgpr_workgroup_id_y 1
		.amdhsa_system_sgpr_workgroup_id_z 1
		.amdhsa_system_sgpr_workgroup_info 0
		.amdhsa_system_vgpr_workitem_id 1
		.amdhsa_next_free_vgpr 73
		.amdhsa_next_free_sgpr 51
		.amdhsa_reserve_vcc 1
		.amdhsa_reserve_flat_scratch 0
		.amdhsa_float_round_mode_32 0
		.amdhsa_float_round_mode_16_64 0
		.amdhsa_float_denorm_mode_32 3
		.amdhsa_float_denorm_mode_16_64 3
		.amdhsa_dx10_clamp 1
		.amdhsa_ieee_mode 1
		.amdhsa_fp16_overflow 0
		.amdhsa_workgroup_processor_mode 1
		.amdhsa_memory_ordered 1
		.amdhsa_forward_progress 1
		.amdhsa_shared_vgpr_count 0
		.amdhsa_exception_fp_ieee_invalid_op 0
		.amdhsa_exception_fp_denorm_src 0
		.amdhsa_exception_fp_ieee_div_zero 0
		.amdhsa_exception_fp_ieee_overflow 0
		.amdhsa_exception_fp_ieee_underflow 0
		.amdhsa_exception_fp_ieee_inexact 0
		.amdhsa_exception_int_div_zero 0
	.end_amdhsa_kernel
	.section	.text._ZL30rocblas_trmm_outofplace_kernelI19rocblas_complex_numIfELi32ELi2ELb0ELb1ELb1ELb1ES1_KS1_S1_Ev17rocblas_diagonal_iiT6_lPT7_lllS6_lllPT8_llli,"axG",@progbits,_ZL30rocblas_trmm_outofplace_kernelI19rocblas_complex_numIfELi32ELi2ELb0ELb1ELb1ELb1ES1_KS1_S1_Ev17rocblas_diagonal_iiT6_lPT7_lllS6_lllPT8_llli,comdat
.Lfunc_end95:
	.size	_ZL30rocblas_trmm_outofplace_kernelI19rocblas_complex_numIfELi32ELi2ELb0ELb1ELb1ELb1ES1_KS1_S1_Ev17rocblas_diagonal_iiT6_lPT7_lllS6_lllPT8_llli, .Lfunc_end95-_ZL30rocblas_trmm_outofplace_kernelI19rocblas_complex_numIfELi32ELi2ELb0ELb1ELb1ELb1ES1_KS1_S1_Ev17rocblas_diagonal_iiT6_lPT7_lllS6_lllPT8_llli
                                        ; -- End function
	.set _ZL30rocblas_trmm_outofplace_kernelI19rocblas_complex_numIfELi32ELi2ELb0ELb1ELb1ELb1ES1_KS1_S1_Ev17rocblas_diagonal_iiT6_lPT7_lllS6_lllPT8_llli.num_vgpr, 73
	.set _ZL30rocblas_trmm_outofplace_kernelI19rocblas_complex_numIfELi32ELi2ELb0ELb1ELb1ELb1ES1_KS1_S1_Ev17rocblas_diagonal_iiT6_lPT7_lllS6_lllPT8_llli.num_agpr, 0
	.set _ZL30rocblas_trmm_outofplace_kernelI19rocblas_complex_numIfELi32ELi2ELb0ELb1ELb1ELb1ES1_KS1_S1_Ev17rocblas_diagonal_iiT6_lPT7_lllS6_lllPT8_llli.numbered_sgpr, 51
	.set _ZL30rocblas_trmm_outofplace_kernelI19rocblas_complex_numIfELi32ELi2ELb0ELb1ELb1ELb1ES1_KS1_S1_Ev17rocblas_diagonal_iiT6_lPT7_lllS6_lllPT8_llli.num_named_barrier, 0
	.set _ZL30rocblas_trmm_outofplace_kernelI19rocblas_complex_numIfELi32ELi2ELb0ELb1ELb1ELb1ES1_KS1_S1_Ev17rocblas_diagonal_iiT6_lPT7_lllS6_lllPT8_llli.private_seg_size, 0
	.set _ZL30rocblas_trmm_outofplace_kernelI19rocblas_complex_numIfELi32ELi2ELb0ELb1ELb1ELb1ES1_KS1_S1_Ev17rocblas_diagonal_iiT6_lPT7_lllS6_lllPT8_llli.uses_vcc, 1
	.set _ZL30rocblas_trmm_outofplace_kernelI19rocblas_complex_numIfELi32ELi2ELb0ELb1ELb1ELb1ES1_KS1_S1_Ev17rocblas_diagonal_iiT6_lPT7_lllS6_lllPT8_llli.uses_flat_scratch, 0
	.set _ZL30rocblas_trmm_outofplace_kernelI19rocblas_complex_numIfELi32ELi2ELb0ELb1ELb1ELb1ES1_KS1_S1_Ev17rocblas_diagonal_iiT6_lPT7_lllS6_lllPT8_llli.has_dyn_sized_stack, 0
	.set _ZL30rocblas_trmm_outofplace_kernelI19rocblas_complex_numIfELi32ELi2ELb0ELb1ELb1ELb1ES1_KS1_S1_Ev17rocblas_diagonal_iiT6_lPT7_lllS6_lllPT8_llli.has_recursion, 0
	.set _ZL30rocblas_trmm_outofplace_kernelI19rocblas_complex_numIfELi32ELi2ELb0ELb1ELb1ELb1ES1_KS1_S1_Ev17rocblas_diagonal_iiT6_lPT7_lllS6_lllPT8_llli.has_indirect_call, 0
	.section	.AMDGPU.csdata,"",@progbits
; Kernel info:
; codeLenInByte = 6588
; TotalNumSgprs: 53
; NumVgprs: 73
; ScratchSize: 0
; MemoryBound: 0
; FloatMode: 240
; IeeeMode: 1
; LDSByteSize: 16384 bytes/workgroup (compile time only)
; SGPRBlocks: 0
; VGPRBlocks: 9
; NumSGPRsForWavesPerEU: 53
; NumVGPRsForWavesPerEU: 73
; Occupancy: 12
; WaveLimiterHint : 0
; COMPUTE_PGM_RSRC2:SCRATCH_EN: 0
; COMPUTE_PGM_RSRC2:USER_SGPR: 6
; COMPUTE_PGM_RSRC2:TRAP_HANDLER: 0
; COMPUTE_PGM_RSRC2:TGID_X_EN: 1
; COMPUTE_PGM_RSRC2:TGID_Y_EN: 1
; COMPUTE_PGM_RSRC2:TGID_Z_EN: 1
; COMPUTE_PGM_RSRC2:TIDIG_COMP_CNT: 1
	.section	.text._ZL23rocblas_trmm_lNx_kernelILi16E19rocblas_complex_numIfEPKS1_S2_S1_Ev13rocblas_fill_17rocblas_diagonal_iiT1_lPT2_llS8_llPT3_lli,"axG",@progbits,_ZL23rocblas_trmm_lNx_kernelILi16E19rocblas_complex_numIfEPKS1_S2_S1_Ev13rocblas_fill_17rocblas_diagonal_iiT1_lPT2_llS8_llPT3_lli,comdat
	.globl	_ZL23rocblas_trmm_lNx_kernelILi16E19rocblas_complex_numIfEPKS1_S2_S1_Ev13rocblas_fill_17rocblas_diagonal_iiT1_lPT2_llS8_llPT3_lli ; -- Begin function _ZL23rocblas_trmm_lNx_kernelILi16E19rocblas_complex_numIfEPKS1_S2_S1_Ev13rocblas_fill_17rocblas_diagonal_iiT1_lPT2_llS8_llPT3_lli
	.p2align	8
	.type	_ZL23rocblas_trmm_lNx_kernelILi16E19rocblas_complex_numIfEPKS1_S2_S1_Ev13rocblas_fill_17rocblas_diagonal_iiT1_lPT2_llS8_llPT3_lli,@function
_ZL23rocblas_trmm_lNx_kernelILi16E19rocblas_complex_numIfEPKS1_S2_S1_Ev13rocblas_fill_17rocblas_diagonal_iiT1_lPT2_llS8_llPT3_lli: ; @_ZL23rocblas_trmm_lNx_kernelILi16E19rocblas_complex_numIfEPKS1_S2_S1_Ev13rocblas_fill_17rocblas_diagonal_iiT1_lPT2_llS8_llPT3_lli
; %bb.0:
	s_load_dwordx16 s[8:23], s[4:5], 0x10
	s_waitcnt lgkmcnt(0)
	s_mul_i32 s1, s11, s7
	s_mul_hi_u32 s2, s10, s7
	s_mul_i32 s0, s10, s7
	s_add_i32 s1, s2, s1
	s_mov_b32 s2, 0
	s_lshl_b64 s[0:1], s[0:1], 3
	s_add_u32 s0, s8, s0
	s_addc_u32 s1, s9, s1
	s_load_dwordx2 s[24:25], s[0:1], 0x0
	s_waitcnt lgkmcnt(0)
	v_cmp_neq_f32_e64 s0, s24, 0
	v_cmp_neq_f32_e64 s1, s25, 0
	s_or_b32 s0, s0, s1
	s_andn2_b32 vcc_lo, exec_lo, s0
	s_cbranch_vccnz .LBB96_15
; %bb.1:
	s_load_dwordx4 s[8:11], s[4:5], 0x0
	v_lshlrev_b32_e32 v3, 4, v1
	s_mov_b32 s3, s2
	v_lshlrev_b32_e32 v2, 3, v0
	v_mov_b32_e32 v6, s3
	v_mov_b32_e32 v5, s2
	v_add_lshl_u32 v4, v3, v0, 3
	ds_write2st64_b64 v4, v[5:6], v[5:6] offset1:4
	s_waitcnt lgkmcnt(0)
	v_cmp_gt_i32_e64 s0, s10, v1
	v_cmp_gt_i32_e32 vcc_lo, s10, v0
	s_and_b32 s0, s0, vcc_lo
	s_and_saveexec_b32 s1, s0
	s_cbranch_execz .LBB96_3
; %bb.2:
	v_mad_u64_u32 v[5:6], null, s14, v1, 0
	s_mul_i32 s0, s17, s7
	s_mul_hi_u32 s3, s16, s7
	s_mul_i32 s2, s16, s7
	s_add_i32 s3, s3, s0
	s_lshl_b64 s[2:3], s[2:3], 3
	v_mad_u64_u32 v[6:7], null, s15, v1, v[6:7]
	s_add_u32 s0, s12, s2
	s_addc_u32 s2, s13, s3
	v_lshlrev_b64 v[5:6], 3, v[5:6]
	v_add_co_u32 v5, s0, s0, v5
	v_add_co_ci_u32_e64 v6, null, s2, v6, s0
	v_add_co_u32 v5, s0, v5, v2
	v_add_co_ci_u32_e64 v6, null, 0, v6, s0
	global_load_dwordx2 v[5:6], v[5:6], off
	s_waitcnt vmcnt(0)
	ds_write_b64 v4, v[5:6]
.LBB96_3:
	s_or_b32 exec_lo, exec_lo, s1
	s_add_i32 s0, s11, -1
	s_ashr_i32 s1, s0, 31
	s_lshr_b32 s1, s1, 28
	s_add_i32 s0, s0, s1
	s_and_b32 s1, s0, -16
	s_ashr_i32 s0, s0, 4
	s_sub_i32 s1, s11, s1
	s_cmp_ge_i32 s6, s0
	s_cselect_b32 s0, s1, 16
	s_lshl_b32 s6, s6, 4
	v_cmp_gt_i32_e64 s0, s0, v1
	s_ashr_i32 s10, s6, 31
	s_and_b32 s0, vcc_lo, s0
	s_and_saveexec_b32 s1, s0
	s_cbranch_execz .LBB96_5
; %bb.4:
	v_mad_u64_u32 v[5:6], null, s20, v1, 0
	s_mul_i32 s3, s23, s7
	s_mul_hi_u32 s11, s22, s7
	s_mul_i32 s2, s22, s7
	s_add_i32 s3, s11, s3
	s_mul_i32 s12, s20, s10
	s_lshl_b64 s[2:3], s[2:3], 3
	v_mad_u64_u32 v[6:7], null, s21, v1, v[6:7]
	s_mul_hi_u32 s11, s20, s6
	s_add_u32 s14, s18, s2
	s_mul_i32 s13, s21, s6
	s_addc_u32 s15, s19, s3
	s_add_i32 s3, s11, s12
	s_mul_i32 s2, s20, s6
	s_add_i32 s3, s3, s13
	v_lshlrev_b64 v[5:6], 3, v[5:6]
	s_lshl_b64 s[2:3], s[2:3], 3
	v_add_nc_u32_e32 v7, 0x800, v4
	s_add_u32 s2, s14, s2
	s_addc_u32 s3, s15, s3
	v_add_co_u32 v5, vcc_lo, s2, v5
	v_add_co_ci_u32_e64 v6, null, s3, v6, vcc_lo
	v_add_co_u32 v5, vcc_lo, v5, v2
	v_add_co_ci_u32_e64 v6, null, 0, v6, vcc_lo
	global_load_dwordx2 v[5:6], v[5:6], off
	s_waitcnt vmcnt(0)
	ds_write_b64 v7, v[5:6]
.LBB96_5:
	s_or_b32 exec_lo, exec_lo, s1
	v_cmp_eq_u32_e32 vcc_lo, v1, v0
	s_cmpk_eq_i32 s9, 0x84
	s_cselect_b32 s1, -1, 0
	s_and_b32 s2, vcc_lo, s1
	s_and_saveexec_b32 s1, s2
; %bb.6:
	v_mov_b32_e32 v5, 1.0
	v_mov_b32_e32 v6, 0
	ds_write_b64 v4, v[5:6]
; %bb.7:
	s_or_b32 exec_lo, exec_lo, s1
	s_cmpk_lg_i32 s8, 0x79
	s_cbranch_scc0 .LBB96_9
; %bb.8:
	v_cmp_lt_u32_e32 vcc_lo, v0, v1
	s_and_b32 s1, vcc_lo, exec_lo
	s_cbranch_execz .LBB96_10
	s_branch .LBB96_11
.LBB96_9:
	s_mov_b32 s1, 0
.LBB96_10:
	v_cmp_gt_u32_e32 vcc_lo, v0, v1
	s_andn2_b32 s1, s1, exec_lo
	s_and_b32 s2, vcc_lo, exec_lo
	s_or_b32 s1, s1, s2
.LBB96_11:
	s_and_saveexec_b32 s2, s1
; %bb.12:
	v_mov_b32_e32 v5, 0
	v_mov_b32_e32 v6, v5
	ds_write_b64 v4, v[5:6]
; %bb.13:
	s_or_b32 exec_lo, exec_lo, s2
	s_waitcnt lgkmcnt(0)
	s_barrier
	buffer_gl0_inv
	s_and_saveexec_b32 s1, s0
	s_cbranch_execz .LBB96_15
; %bb.14:
	v_lshlrev_b32_e32 v0, 3, v3
	ds_read2_b64 v[3:6], v2 offset1:16
	ds_read_b128 v[7:10], v0 offset:2048
	s_clause 0x1
	s_load_dwordx4 s[0:3], s[4:5], 0x50
	s_load_dwordx2 s[4:5], s[4:5], 0x60
	ds_read2_b64 v[11:14], v2 offset0:32 offset1:48
	ds_read2_b64 v[15:18], v2 offset0:64 offset1:80
	;; [unrolled: 1-line block ×4, first 2 shown]
	ds_read_b128 v[27:30], v0 offset:2064
	ds_read2_b64 v[31:34], v2 offset0:160 offset1:176
	ds_read2_b64 v[35:38], v2 offset0:192 offset1:208
	;; [unrolled: 1-line block ×3, first 2 shown]
	ds_read_b128 v[43:46], v0 offset:2080
	ds_read_b128 v[47:50], v0 offset:2096
	s_waitcnt lgkmcnt(0)
	v_mul_f32_e32 v55, v27, v12
	v_mul_f32_e32 v51, v7, v4
	;; [unrolled: 1-line block ×6, first 2 shown]
	v_fmac_f32_e32 v51, v8, v3
	v_fmac_f32_e32 v52, v10, v5
	v_mul_f32_e32 v12, v28, v12
	v_mul_f32_e32 v14, v30, v14
	v_fmac_f32_e32 v55, v28, v11
	v_add_f32_e32 v51, 0, v51
	v_fma_f32 v53, v7, v3, -v4
	v_fma_f32 v54, v9, v5, -v6
	ds_read_b128 v[3:6], v0 offset:2112
	ds_read_b128 v[7:10], v0 offset:2128
	v_fmac_f32_e32 v56, v30, v13
	v_add_f32_e32 v51, v51, v52
	v_fma_f32 v57, v27, v11, -v12
	v_fma_f32 v58, v29, v13, -v14
	ds_read_b128 v[11:14], v0 offset:2144
	ds_read_b128 v[27:30], v0 offset:2160
	v_mul_f32_e32 v0, v43, v16
	v_add_f32_e32 v51, v51, v55
	v_add_f32_e32 v53, 0, v53
	v_mul_f32_e32 v52, v45, v18
	v_mul_f32_e32 v55, v47, v20
	v_fmac_f32_e32 v0, v44, v15
	v_add_f32_e32 v51, v51, v56
	v_add_f32_e32 v53, v53, v54
	v_fmac_f32_e32 v52, v46, v17
	v_mul_f32_e32 v16, v44, v16
	v_mul_f32_e32 v56, v49, v22
	v_add_f32_e32 v0, v51, v0
	v_add_f32_e32 v53, v53, v57
	v_fmac_f32_e32 v55, v48, v19
	v_mul_f32_e32 v18, v46, v18
	v_fma_f32 v15, v43, v15, -v16
	v_add_f32_e32 v0, v0, v52
	v_add_f32_e32 v52, v53, v58
	s_waitcnt lgkmcnt(3)
	v_mul_f32_e32 v59, v3, v24
	v_fmac_f32_e32 v56, v50, v21
	v_mul_f32_e32 v16, v48, v20
	v_add_f32_e32 v0, v0, v55
	v_fma_f32 v17, v45, v17, -v18
	v_add_f32_e32 v15, v52, v15
	v_mul_f32_e32 v51, v5, v26
	v_fmac_f32_e32 v59, v4, v23
	v_add_f32_e32 v0, v0, v56
	v_mul_f32_e32 v18, v50, v22
	v_fma_f32 v16, v47, v19, -v16
	v_add_f32_e32 v15, v15, v17
	s_waitcnt lgkmcnt(2)
	v_mul_f32_e32 v54, v7, v32
	v_fmac_f32_e32 v51, v6, v25
	v_add_f32_e32 v0, v0, v59
	v_mul_f32_e32 v4, v4, v24
	v_fma_f32 v17, v49, v21, -v18
	v_add_f32_e32 v15, v15, v16
	v_mul_f32_e32 v44, v9, v34
	v_fmac_f32_e32 v54, v8, v31
	v_add_f32_e32 v0, v0, v51
	v_mul_f32_e32 v6, v6, v26
	v_fma_f32 v3, v3, v23, -v4
	v_add_f32_e32 v4, v15, v17
	v_fmac_f32_e32 v44, v10, v33
	v_add_f32_e32 v0, v0, v54
	s_waitcnt lgkmcnt(1)
	v_mul_f32_e32 v15, v11, v36
	s_mul_i32 s5, s5, s7
	v_add_f32_e32 v3, v4, v3
	v_fma_f32 v4, v5, v25, -v6
	v_mul_f32_e32 v5, v8, v32
	v_add_f32_e32 v0, v0, v44
	v_fmac_f32_e32 v15, v12, v35
	v_mul_f32_e32 v6, v13, v38
	v_add_f32_e32 v3, v3, v4
	v_fma_f32 v4, v7, v31, -v5
	v_mul_f32_e32 v5, v10, v34
	v_add_f32_e32 v0, v0, v15
	v_fmac_f32_e32 v6, v14, v37
	v_mul_f32_e32 v8, v14, v38
	v_add_f32_e32 v3, v3, v4
	v_fma_f32 v4, v9, v33, -v5
	v_mul_f32_e32 v5, v12, v36
	v_add_f32_e32 v0, v0, v6
	s_waitcnt lgkmcnt(0)
	v_mul_f32_e32 v6, v27, v40
	s_mul_hi_u32 s8, s4, s7
	v_add_f32_e32 v7, v3, v4
	v_mad_u64_u32 v[3:4], null, s2, v1, 0
	v_fmac_f32_e32 v6, v28, v39
	v_fma_f32 v5, v11, v35, -v5
	s_mul_i32 s4, s4, s7
	s_add_i32 s5, s8, s5
	v_mul_f32_e32 v9, v29, v42
	v_add_f32_e32 v6, v0, v6
	v_mov_b32_e32 v0, v4
	v_add_f32_e32 v5, v7, v5
	v_fma_f32 v7, v13, v37, -v8
	v_mul_f32_e32 v8, v28, v40
	s_lshl_b64 s[4:5], s[4:5], 3
	v_mad_u64_u32 v[0:1], null, s3, v1, v[0:1]
	v_add_f32_e32 v4, v5, v7
	v_fma_f32 v5, v27, v39, -v8
	s_add_u32 s4, s0, s4
	s_addc_u32 s5, s1, s5
	s_mul_i32 s0, s2, s10
	s_mul_hi_u32 s1, s2, s6
	v_add_f32_e32 v1, v4, v5
	v_mov_b32_e32 v4, v0
	v_mul_f32_e32 v7, v30, v42
	v_fmac_f32_e32 v9, v30, v41
	s_add_i32 s0, s1, s0
	s_mul_i32 s1, s3, s6
	v_lshlrev_b64 v[3:4], 3, v[3:4]
	s_add_i32 s1, s0, s1
	s_mul_i32 s0, s2, s6
	v_fma_f32 v5, v29, v41, -v7
	s_lshl_b64 s[0:1], s[0:1], 3
	v_add_f32_e32 v6, v6, v9
	s_add_u32 s0, s4, s0
	s_addc_u32 s1, s5, s1
	v_add_co_u32 v3, vcc_lo, s0, v3
	v_add_f32_e32 v0, v1, v5
	v_mul_f32_e32 v1, s24, v6
	v_mul_f32_e32 v5, s25, v6
	v_add_co_ci_u32_e64 v4, null, s1, v4, vcc_lo
	v_add_co_u32 v2, vcc_lo, v3, v2
	v_fmac_f32_e32 v1, s25, v0
	v_fma_f32 v0, s24, v0, -v5
	v_add_co_ci_u32_e64 v3, null, 0, v4, vcc_lo
	global_store_dwordx2 v[2:3], v[0:1], off
.LBB96_15:
	s_endpgm
	.section	.rodata,"a",@progbits
	.p2align	6, 0x0
	.amdhsa_kernel _ZL23rocblas_trmm_lNx_kernelILi16E19rocblas_complex_numIfEPKS1_S2_S1_Ev13rocblas_fill_17rocblas_diagonal_iiT1_lPT2_llS8_llPT3_lli
		.amdhsa_group_segment_fixed_size 4096
		.amdhsa_private_segment_fixed_size 0
		.amdhsa_kernarg_size 108
		.amdhsa_user_sgpr_count 6
		.amdhsa_user_sgpr_private_segment_buffer 1
		.amdhsa_user_sgpr_dispatch_ptr 0
		.amdhsa_user_sgpr_queue_ptr 0
		.amdhsa_user_sgpr_kernarg_segment_ptr 1
		.amdhsa_user_sgpr_dispatch_id 0
		.amdhsa_user_sgpr_flat_scratch_init 0
		.amdhsa_user_sgpr_private_segment_size 0
		.amdhsa_wavefront_size32 1
		.amdhsa_uses_dynamic_stack 0
		.amdhsa_system_sgpr_private_segment_wavefront_offset 0
		.amdhsa_system_sgpr_workgroup_id_x 1
		.amdhsa_system_sgpr_workgroup_id_y 0
		.amdhsa_system_sgpr_workgroup_id_z 1
		.amdhsa_system_sgpr_workgroup_info 0
		.amdhsa_system_vgpr_workitem_id 1
		.amdhsa_next_free_vgpr 60
		.amdhsa_next_free_sgpr 26
		.amdhsa_reserve_vcc 1
		.amdhsa_reserve_flat_scratch 0
		.amdhsa_float_round_mode_32 0
		.amdhsa_float_round_mode_16_64 0
		.amdhsa_float_denorm_mode_32 3
		.amdhsa_float_denorm_mode_16_64 3
		.amdhsa_dx10_clamp 1
		.amdhsa_ieee_mode 1
		.amdhsa_fp16_overflow 0
		.amdhsa_workgroup_processor_mode 1
		.amdhsa_memory_ordered 1
		.amdhsa_forward_progress 1
		.amdhsa_shared_vgpr_count 0
		.amdhsa_exception_fp_ieee_invalid_op 0
		.amdhsa_exception_fp_denorm_src 0
		.amdhsa_exception_fp_ieee_div_zero 0
		.amdhsa_exception_fp_ieee_overflow 0
		.amdhsa_exception_fp_ieee_underflow 0
		.amdhsa_exception_fp_ieee_inexact 0
		.amdhsa_exception_int_div_zero 0
	.end_amdhsa_kernel
	.section	.text._ZL23rocblas_trmm_lNx_kernelILi16E19rocblas_complex_numIfEPKS1_S2_S1_Ev13rocblas_fill_17rocblas_diagonal_iiT1_lPT2_llS8_llPT3_lli,"axG",@progbits,_ZL23rocblas_trmm_lNx_kernelILi16E19rocblas_complex_numIfEPKS1_S2_S1_Ev13rocblas_fill_17rocblas_diagonal_iiT1_lPT2_llS8_llPT3_lli,comdat
.Lfunc_end96:
	.size	_ZL23rocblas_trmm_lNx_kernelILi16E19rocblas_complex_numIfEPKS1_S2_S1_Ev13rocblas_fill_17rocblas_diagonal_iiT1_lPT2_llS8_llPT3_lli, .Lfunc_end96-_ZL23rocblas_trmm_lNx_kernelILi16E19rocblas_complex_numIfEPKS1_S2_S1_Ev13rocblas_fill_17rocblas_diagonal_iiT1_lPT2_llS8_llPT3_lli
                                        ; -- End function
	.set _ZL23rocblas_trmm_lNx_kernelILi16E19rocblas_complex_numIfEPKS1_S2_S1_Ev13rocblas_fill_17rocblas_diagonal_iiT1_lPT2_llS8_llPT3_lli.num_vgpr, 60
	.set _ZL23rocblas_trmm_lNx_kernelILi16E19rocblas_complex_numIfEPKS1_S2_S1_Ev13rocblas_fill_17rocblas_diagonal_iiT1_lPT2_llS8_llPT3_lli.num_agpr, 0
	.set _ZL23rocblas_trmm_lNx_kernelILi16E19rocblas_complex_numIfEPKS1_S2_S1_Ev13rocblas_fill_17rocblas_diagonal_iiT1_lPT2_llS8_llPT3_lli.numbered_sgpr, 26
	.set _ZL23rocblas_trmm_lNx_kernelILi16E19rocblas_complex_numIfEPKS1_S2_S1_Ev13rocblas_fill_17rocblas_diagonal_iiT1_lPT2_llS8_llPT3_lli.num_named_barrier, 0
	.set _ZL23rocblas_trmm_lNx_kernelILi16E19rocblas_complex_numIfEPKS1_S2_S1_Ev13rocblas_fill_17rocblas_diagonal_iiT1_lPT2_llS8_llPT3_lli.private_seg_size, 0
	.set _ZL23rocblas_trmm_lNx_kernelILi16E19rocblas_complex_numIfEPKS1_S2_S1_Ev13rocblas_fill_17rocblas_diagonal_iiT1_lPT2_llS8_llPT3_lli.uses_vcc, 1
	.set _ZL23rocblas_trmm_lNx_kernelILi16E19rocblas_complex_numIfEPKS1_S2_S1_Ev13rocblas_fill_17rocblas_diagonal_iiT1_lPT2_llS8_llPT3_lli.uses_flat_scratch, 0
	.set _ZL23rocblas_trmm_lNx_kernelILi16E19rocblas_complex_numIfEPKS1_S2_S1_Ev13rocblas_fill_17rocblas_diagonal_iiT1_lPT2_llS8_llPT3_lli.has_dyn_sized_stack, 0
	.set _ZL23rocblas_trmm_lNx_kernelILi16E19rocblas_complex_numIfEPKS1_S2_S1_Ev13rocblas_fill_17rocblas_diagonal_iiT1_lPT2_llS8_llPT3_lli.has_recursion, 0
	.set _ZL23rocblas_trmm_lNx_kernelILi16E19rocblas_complex_numIfEPKS1_S2_S1_Ev13rocblas_fill_17rocblas_diagonal_iiT1_lPT2_llS8_llPT3_lli.has_indirect_call, 0
	.section	.AMDGPU.csdata,"",@progbits
; Kernel info:
; codeLenInByte = 1392
; TotalNumSgprs: 28
; NumVgprs: 60
; ScratchSize: 0
; MemoryBound: 0
; FloatMode: 240
; IeeeMode: 1
; LDSByteSize: 4096 bytes/workgroup (compile time only)
; SGPRBlocks: 0
; VGPRBlocks: 7
; NumSGPRsForWavesPerEU: 28
; NumVGPRsForWavesPerEU: 60
; Occupancy: 16
; WaveLimiterHint : 0
; COMPUTE_PGM_RSRC2:SCRATCH_EN: 0
; COMPUTE_PGM_RSRC2:USER_SGPR: 6
; COMPUTE_PGM_RSRC2:TRAP_HANDLER: 0
; COMPUTE_PGM_RSRC2:TGID_X_EN: 1
; COMPUTE_PGM_RSRC2:TGID_Y_EN: 0
; COMPUTE_PGM_RSRC2:TGID_Z_EN: 1
; COMPUTE_PGM_RSRC2:TIDIG_COMP_CNT: 1
	.section	.text._ZL23rocblas_trmm_lNx_kernelILi16E19rocblas_complex_numIfES1_KS1_S1_Ev13rocblas_fill_17rocblas_diagonal_iiT1_lPT2_llS7_llPT3_lli,"axG",@progbits,_ZL23rocblas_trmm_lNx_kernelILi16E19rocblas_complex_numIfES1_KS1_S1_Ev13rocblas_fill_17rocblas_diagonal_iiT1_lPT2_llS7_llPT3_lli,comdat
	.globl	_ZL23rocblas_trmm_lNx_kernelILi16E19rocblas_complex_numIfES1_KS1_S1_Ev13rocblas_fill_17rocblas_diagonal_iiT1_lPT2_llS7_llPT3_lli ; -- Begin function _ZL23rocblas_trmm_lNx_kernelILi16E19rocblas_complex_numIfES1_KS1_S1_Ev13rocblas_fill_17rocblas_diagonal_iiT1_lPT2_llS7_llPT3_lli
	.p2align	8
	.type	_ZL23rocblas_trmm_lNx_kernelILi16E19rocblas_complex_numIfES1_KS1_S1_Ev13rocblas_fill_17rocblas_diagonal_iiT1_lPT2_llS7_llPT3_lli,@function
_ZL23rocblas_trmm_lNx_kernelILi16E19rocblas_complex_numIfES1_KS1_S1_Ev13rocblas_fill_17rocblas_diagonal_iiT1_lPT2_llS7_llPT3_lli: ; @_ZL23rocblas_trmm_lNx_kernelILi16E19rocblas_complex_numIfES1_KS1_S1_Ev13rocblas_fill_17rocblas_diagonal_iiT1_lPT2_llS7_llPT3_lli
; %bb.0:
	s_load_dwordx2 s[2:3], s[4:5], 0x10
	s_mov_b32 s28, 0
	s_waitcnt lgkmcnt(0)
	v_cmp_neq_f32_e64 s0, s2, 0
	v_cmp_neq_f32_e64 s1, s3, 0
	s_or_b32 s0, s0, s1
	s_andn2_b32 vcc_lo, exec_lo, s0
	s_cbranch_vccnz .LBB97_15
; %bb.1:
	s_clause 0x1
	s_load_dwordx4 s[24:27], s[4:5], 0x0
	s_load_dwordx16 s[8:23], s[4:5], 0x20
	v_lshlrev_b32_e32 v3, 4, v1
	s_mov_b32 s29, s28
	v_mov_b32_e32 v5, s28
	v_mov_b32_e32 v6, s29
	v_lshlrev_b32_e32 v2, 3, v0
	v_add_lshl_u32 v4, v3, v0, 3
	ds_write2st64_b64 v4, v[5:6], v[5:6] offset1:4
	s_waitcnt lgkmcnt(0)
	v_cmp_gt_i32_e64 s0, s26, v1
	v_cmp_gt_i32_e32 vcc_lo, s26, v0
	s_and_b32 s0, s0, vcc_lo
	s_and_saveexec_b32 s1, s0
	s_cbranch_execz .LBB97_3
; %bb.2:
	v_mad_u64_u32 v[5:6], null, s10, v1, 0
	s_mul_i32 s0, s13, s7
	s_mul_i32 s10, s12, s7
	v_mad_u64_u32 v[6:7], null, s11, v1, v[6:7]
	s_mul_hi_u32 s11, s12, s7
	s_add_i32 s11, s11, s0
	s_lshl_b64 s[10:11], s[10:11], 3
	s_add_u32 s0, s8, s10
	v_lshlrev_b64 v[5:6], 3, v[5:6]
	s_addc_u32 s8, s9, s11
	v_add_co_u32 v5, s0, s0, v5
	v_add_co_ci_u32_e64 v6, null, s8, v6, s0
	v_add_co_u32 v5, s0, v5, v2
	v_add_co_ci_u32_e64 v6, null, 0, v6, s0
	global_load_dwordx2 v[5:6], v[5:6], off
	s_waitcnt vmcnt(0)
	ds_write_b64 v4, v[5:6]
.LBB97_3:
	s_or_b32 exec_lo, exec_lo, s1
	s_add_i32 s0, s27, -1
	s_ashr_i32 s1, s0, 31
	s_lshr_b32 s1, s1, 28
	s_add_i32 s0, s0, s1
	s_and_b32 s1, s0, -16
	s_ashr_i32 s0, s0, 4
	s_sub_i32 s1, s27, s1
	s_cmp_ge_i32 s6, s0
	s_cselect_b32 s0, s1, 16
	s_lshl_b32 s6, s6, 4
	v_cmp_gt_i32_e64 s0, s0, v1
	s_ashr_i32 s8, s6, 31
	s_and_b32 s0, vcc_lo, s0
	s_and_saveexec_b32 s1, s0
	s_cbranch_execz .LBB97_5
; %bb.4:
	v_mad_u64_u32 v[5:6], null, s16, v1, 0
	s_mul_i32 s9, s19, s7
	s_mul_hi_u32 s11, s18, s7
	s_mul_i32 s10, s18, s7
	s_add_i32 s11, s11, s9
	s_mul_i32 s12, s16, s8
	s_lshl_b64 s[10:11], s[10:11], 3
	v_mad_u64_u32 v[6:7], null, s17, v1, v[6:7]
	s_mul_hi_u32 s9, s16, s6
	s_add_u32 s14, s14, s10
	s_mul_i32 s13, s17, s6
	s_addc_u32 s15, s15, s11
	s_add_i32 s9, s9, s12
	s_mul_i32 s10, s16, s6
	s_add_i32 s11, s9, s13
	v_lshlrev_b64 v[5:6], 3, v[5:6]
	s_lshl_b64 s[10:11], s[10:11], 3
	v_add_nc_u32_e32 v7, 0x800, v4
	s_add_u32 s9, s14, s10
	s_addc_u32 s10, s15, s11
	v_add_co_u32 v5, vcc_lo, s9, v5
	v_add_co_ci_u32_e64 v6, null, s10, v6, vcc_lo
	v_add_co_u32 v5, vcc_lo, v5, v2
	v_add_co_ci_u32_e64 v6, null, 0, v6, vcc_lo
	global_load_dwordx2 v[5:6], v[5:6], off
	s_waitcnt vmcnt(0)
	ds_write_b64 v7, v[5:6]
.LBB97_5:
	s_or_b32 exec_lo, exec_lo, s1
	v_cmp_eq_u32_e32 vcc_lo, v1, v0
	s_cmpk_eq_i32 s25, 0x84
	s_cselect_b32 s1, -1, 0
	s_and_b32 s9, vcc_lo, s1
	s_and_saveexec_b32 s1, s9
; %bb.6:
	v_mov_b32_e32 v5, 1.0
	v_mov_b32_e32 v6, 0
	ds_write_b64 v4, v[5:6]
; %bb.7:
	s_or_b32 exec_lo, exec_lo, s1
	s_cmpk_lg_i32 s24, 0x79
	s_cbranch_scc0 .LBB97_9
; %bb.8:
	v_cmp_lt_u32_e32 vcc_lo, v0, v1
	s_and_b32 s1, vcc_lo, exec_lo
	s_cbranch_execz .LBB97_10
	s_branch .LBB97_11
.LBB97_9:
	s_mov_b32 s1, 0
.LBB97_10:
	v_cmp_gt_u32_e32 vcc_lo, v0, v1
	s_andn2_b32 s1, s1, exec_lo
	s_and_b32 s9, vcc_lo, exec_lo
	s_or_b32 s1, s1, s9
.LBB97_11:
	s_and_saveexec_b32 s9, s1
; %bb.12:
	v_mov_b32_e32 v5, 0
	v_mov_b32_e32 v6, v5
	ds_write_b64 v4, v[5:6]
; %bb.13:
	s_or_b32 exec_lo, exec_lo, s9
	s_waitcnt lgkmcnt(0)
	s_barrier
	buffer_gl0_inv
	s_and_saveexec_b32 s1, s0
	s_cbranch_execz .LBB97_15
; %bb.14:
	v_lshlrev_b32_e32 v0, 3, v3
	s_load_dwordx2 s[0:1], s[4:5], 0x60
	ds_read2_b64 v[3:6], v2 offset1:16
	ds_read_b128 v[7:10], v0 offset:2048
	ds_read2_b64 v[11:14], v2 offset0:32 offset1:48
	ds_read2_b64 v[15:18], v2 offset0:64 offset1:80
	;; [unrolled: 1-line block ×4, first 2 shown]
	ds_read_b128 v[27:30], v0 offset:2064
	ds_read2_b64 v[31:34], v2 offset0:160 offset1:176
	ds_read2_b64 v[35:38], v2 offset0:192 offset1:208
	;; [unrolled: 1-line block ×3, first 2 shown]
	ds_read_b128 v[43:46], v0 offset:2080
	ds_read_b128 v[47:50], v0 offset:2096
	s_waitcnt lgkmcnt(0)
	s_mul_i32 s1, s1, s7
	v_mul_f32_e32 v55, v27, v12
	v_mul_f32_e32 v56, v29, v14
	;; [unrolled: 1-line block ×7, first 2 shown]
	v_fmac_f32_e32 v51, v8, v3
	v_fmac_f32_e32 v52, v10, v5
	v_fma_f32 v53, v7, v3, -v4
	v_mul_f32_e32 v14, v30, v14
	v_fmac_f32_e32 v55, v28, v11
	v_add_f32_e32 v51, 0, v51
	v_fma_f32 v54, v9, v5, -v6
	ds_read_b128 v[3:6], v0 offset:2112
	ds_read_b128 v[7:10], v0 offset:2128
	v_fmac_f32_e32 v56, v30, v13
	v_fma_f32 v57, v27, v11, -v12
	v_add_f32_e32 v51, v51, v52
	v_fma_f32 v58, v29, v13, -v14
	ds_read_b128 v[11:14], v0 offset:2144
	ds_read_b128 v[27:30], v0 offset:2160
	v_mul_f32_e32 v0, v43, v16
	v_add_f32_e32 v53, 0, v53
	v_add_f32_e32 v51, v51, v55
	v_mul_f32_e32 v52, v45, v18
	v_mul_f32_e32 v55, v47, v20
	v_fmac_f32_e32 v0, v44, v15
	v_add_f32_e32 v53, v53, v54
	v_add_f32_e32 v51, v51, v56
	v_fmac_f32_e32 v52, v46, v17
	v_mul_f32_e32 v16, v44, v16
	v_mul_f32_e32 v59, v49, v22
	v_add_f32_e32 v53, v53, v57
	v_add_f32_e32 v0, v51, v0
	v_fmac_f32_e32 v55, v48, v19
	v_mul_f32_e32 v18, v46, v18
	v_fma_f32 v15, v43, v15, -v16
	s_waitcnt lgkmcnt(3)
	v_mul_f32_e32 v56, v3, v24
	v_add_f32_e32 v0, v0, v52
	v_add_f32_e32 v52, v53, v58
	v_fmac_f32_e32 v59, v50, v21
	v_fma_f32 v17, v45, v17, -v18
	v_mul_f32_e32 v18, v48, v20
	v_add_f32_e32 v0, v0, v55
	v_add_f32_e32 v15, v52, v15
	v_mul_f32_e32 v54, v5, v26
	v_fmac_f32_e32 v56, v4, v23
	v_mul_f32_e32 v20, v50, v22
	v_add_f32_e32 v0, v0, v59
	v_fma_f32 v18, v47, v19, -v18
	v_add_f32_e32 v15, v15, v17
	s_waitcnt lgkmcnt(2)
	v_mul_f32_e32 v51, v7, v32
	v_fmac_f32_e32 v54, v6, v25
	v_add_f32_e32 v0, v0, v56
	v_mul_f32_e32 v4, v4, v24
	v_fma_f32 v17, v49, v21, -v20
	v_add_f32_e32 v15, v15, v18
	v_mul_f32_e32 v44, v9, v34
	v_fmac_f32_e32 v51, v8, v31
	v_add_f32_e32 v0, v0, v54
	v_mul_f32_e32 v6, v6, v26
	v_fma_f32 v3, v3, v23, -v4
	v_add_f32_e32 v4, v15, v17
	s_waitcnt lgkmcnt(1)
	v_mul_f32_e32 v16, v11, v36
	v_fmac_f32_e32 v44, v10, v33
	v_add_f32_e32 v0, v0, v51
	v_mul_f32_e32 v8, v8, v32
	v_fma_f32 v5, v5, v25, -v6
	v_add_f32_e32 v3, v4, v3
	v_fmac_f32_e32 v16, v12, v35
	v_add_f32_e32 v0, v0, v44
	v_mul_f32_e32 v4, v13, v38
	v_mul_f32_e32 v6, v10, v34
	v_add_f32_e32 v3, v3, v5
	v_fma_f32 v5, v7, v31, -v8
	v_add_f32_e32 v0, v0, v16
	v_fmac_f32_e32 v4, v14, v37
	s_waitcnt lgkmcnt(0)
	v_mul_f32_e32 v7, v27, v40
	v_mul_f32_e32 v8, v14, v38
	v_add_f32_e32 v3, v3, v5
	v_fma_f32 v5, v9, v33, -v6
	v_add_f32_e32 v0, v0, v4
	v_mul_f32_e32 v6, v12, v36
	v_fmac_f32_e32 v7, v28, v39
	s_mul_hi_u32 s4, s0, s7
	v_add_f32_e32 v5, v3, v5
	v_mad_u64_u32 v[3:4], null, s22, v1, 0
	v_fma_f32 v6, v11, v35, -v6
	v_add_f32_e32 v7, v0, v7
	s_mul_i32 s0, s0, s7
	s_add_i32 s1, s4, s1
	v_mul_f32_e32 v9, v29, v42
	v_add_f32_e32 v5, v5, v6
	v_mov_b32_e32 v0, v4
	v_fma_f32 v6, v13, v37, -v8
	v_mul_f32_e32 v8, v28, v40
	s_lshl_b64 s[0:1], s[0:1], 3
	v_fmac_f32_e32 v9, v30, v41
	v_mad_u64_u32 v[0:1], null, s23, v1, v[0:1]
	v_add_f32_e32 v4, v5, v6
	v_fma_f32 v5, v27, v39, -v8
	s_add_u32 s4, s20, s0
	s_addc_u32 s5, s21, s1
	s_mul_i32 s0, s22, s8
	s_mul_hi_u32 s1, s22, s6
	v_add_f32_e32 v1, v4, v5
	v_mov_b32_e32 v4, v0
	v_mul_f32_e32 v6, v30, v42
	s_add_i32 s0, s1, s0
	s_mul_i32 s1, s23, s6
	s_add_i32 s1, s0, s1
	s_mul_i32 s0, s22, s6
	v_lshlrev_b64 v[3:4], 3, v[3:4]
	s_lshl_b64 s[0:1], s[0:1], 3
	v_fma_f32 v5, v29, v41, -v6
	v_add_f32_e32 v6, v7, v9
	s_add_u32 s0, s4, s0
	s_addc_u32 s1, s5, s1
	v_add_co_u32 v3, vcc_lo, s0, v3
	v_add_f32_e32 v0, v1, v5
	v_mul_f32_e32 v1, s2, v6
	v_mul_f32_e32 v5, s3, v6
	v_add_co_ci_u32_e64 v4, null, s1, v4, vcc_lo
	v_add_co_u32 v2, vcc_lo, v3, v2
	v_fmac_f32_e32 v1, s3, v0
	v_fma_f32 v0, s2, v0, -v5
	v_add_co_ci_u32_e64 v3, null, 0, v4, vcc_lo
	global_store_dwordx2 v[2:3], v[0:1], off
.LBB97_15:
	s_endpgm
	.section	.rodata,"a",@progbits
	.p2align	6, 0x0
	.amdhsa_kernel _ZL23rocblas_trmm_lNx_kernelILi16E19rocblas_complex_numIfES1_KS1_S1_Ev13rocblas_fill_17rocblas_diagonal_iiT1_lPT2_llS7_llPT3_lli
		.amdhsa_group_segment_fixed_size 4096
		.amdhsa_private_segment_fixed_size 0
		.amdhsa_kernarg_size 108
		.amdhsa_user_sgpr_count 6
		.amdhsa_user_sgpr_private_segment_buffer 1
		.amdhsa_user_sgpr_dispatch_ptr 0
		.amdhsa_user_sgpr_queue_ptr 0
		.amdhsa_user_sgpr_kernarg_segment_ptr 1
		.amdhsa_user_sgpr_dispatch_id 0
		.amdhsa_user_sgpr_flat_scratch_init 0
		.amdhsa_user_sgpr_private_segment_size 0
		.amdhsa_wavefront_size32 1
		.amdhsa_uses_dynamic_stack 0
		.amdhsa_system_sgpr_private_segment_wavefront_offset 0
		.amdhsa_system_sgpr_workgroup_id_x 1
		.amdhsa_system_sgpr_workgroup_id_y 0
		.amdhsa_system_sgpr_workgroup_id_z 1
		.amdhsa_system_sgpr_workgroup_info 0
		.amdhsa_system_vgpr_workitem_id 1
		.amdhsa_next_free_vgpr 60
		.amdhsa_next_free_sgpr 30
		.amdhsa_reserve_vcc 1
		.amdhsa_reserve_flat_scratch 0
		.amdhsa_float_round_mode_32 0
		.amdhsa_float_round_mode_16_64 0
		.amdhsa_float_denorm_mode_32 3
		.amdhsa_float_denorm_mode_16_64 3
		.amdhsa_dx10_clamp 1
		.amdhsa_ieee_mode 1
		.amdhsa_fp16_overflow 0
		.amdhsa_workgroup_processor_mode 1
		.amdhsa_memory_ordered 1
		.amdhsa_forward_progress 1
		.amdhsa_shared_vgpr_count 0
		.amdhsa_exception_fp_ieee_invalid_op 0
		.amdhsa_exception_fp_denorm_src 0
		.amdhsa_exception_fp_ieee_div_zero 0
		.amdhsa_exception_fp_ieee_overflow 0
		.amdhsa_exception_fp_ieee_underflow 0
		.amdhsa_exception_fp_ieee_inexact 0
		.amdhsa_exception_int_div_zero 0
	.end_amdhsa_kernel
	.section	.text._ZL23rocblas_trmm_lNx_kernelILi16E19rocblas_complex_numIfES1_KS1_S1_Ev13rocblas_fill_17rocblas_diagonal_iiT1_lPT2_llS7_llPT3_lli,"axG",@progbits,_ZL23rocblas_trmm_lNx_kernelILi16E19rocblas_complex_numIfES1_KS1_S1_Ev13rocblas_fill_17rocblas_diagonal_iiT1_lPT2_llS7_llPT3_lli,comdat
.Lfunc_end97:
	.size	_ZL23rocblas_trmm_lNx_kernelILi16E19rocblas_complex_numIfES1_KS1_S1_Ev13rocblas_fill_17rocblas_diagonal_iiT1_lPT2_llS7_llPT3_lli, .Lfunc_end97-_ZL23rocblas_trmm_lNx_kernelILi16E19rocblas_complex_numIfES1_KS1_S1_Ev13rocblas_fill_17rocblas_diagonal_iiT1_lPT2_llS7_llPT3_lli
                                        ; -- End function
	.set _ZL23rocblas_trmm_lNx_kernelILi16E19rocblas_complex_numIfES1_KS1_S1_Ev13rocblas_fill_17rocblas_diagonal_iiT1_lPT2_llS7_llPT3_lli.num_vgpr, 60
	.set _ZL23rocblas_trmm_lNx_kernelILi16E19rocblas_complex_numIfES1_KS1_S1_Ev13rocblas_fill_17rocblas_diagonal_iiT1_lPT2_llS7_llPT3_lli.num_agpr, 0
	.set _ZL23rocblas_trmm_lNx_kernelILi16E19rocblas_complex_numIfES1_KS1_S1_Ev13rocblas_fill_17rocblas_diagonal_iiT1_lPT2_llS7_llPT3_lli.numbered_sgpr, 30
	.set _ZL23rocblas_trmm_lNx_kernelILi16E19rocblas_complex_numIfES1_KS1_S1_Ev13rocblas_fill_17rocblas_diagonal_iiT1_lPT2_llS7_llPT3_lli.num_named_barrier, 0
	.set _ZL23rocblas_trmm_lNx_kernelILi16E19rocblas_complex_numIfES1_KS1_S1_Ev13rocblas_fill_17rocblas_diagonal_iiT1_lPT2_llS7_llPT3_lli.private_seg_size, 0
	.set _ZL23rocblas_trmm_lNx_kernelILi16E19rocblas_complex_numIfES1_KS1_S1_Ev13rocblas_fill_17rocblas_diagonal_iiT1_lPT2_llS7_llPT3_lli.uses_vcc, 1
	.set _ZL23rocblas_trmm_lNx_kernelILi16E19rocblas_complex_numIfES1_KS1_S1_Ev13rocblas_fill_17rocblas_diagonal_iiT1_lPT2_llS7_llPT3_lli.uses_flat_scratch, 0
	.set _ZL23rocblas_trmm_lNx_kernelILi16E19rocblas_complex_numIfES1_KS1_S1_Ev13rocblas_fill_17rocblas_diagonal_iiT1_lPT2_llS7_llPT3_lli.has_dyn_sized_stack, 0
	.set _ZL23rocblas_trmm_lNx_kernelILi16E19rocblas_complex_numIfES1_KS1_S1_Ev13rocblas_fill_17rocblas_diagonal_iiT1_lPT2_llS7_llPT3_lli.has_recursion, 0
	.set _ZL23rocblas_trmm_lNx_kernelILi16E19rocblas_complex_numIfES1_KS1_S1_Ev13rocblas_fill_17rocblas_diagonal_iiT1_lPT2_llS7_llPT3_lli.has_indirect_call, 0
	.section	.AMDGPU.csdata,"",@progbits
; Kernel info:
; codeLenInByte = 1352
; TotalNumSgprs: 32
; NumVgprs: 60
; ScratchSize: 0
; MemoryBound: 0
; FloatMode: 240
; IeeeMode: 1
; LDSByteSize: 4096 bytes/workgroup (compile time only)
; SGPRBlocks: 0
; VGPRBlocks: 7
; NumSGPRsForWavesPerEU: 32
; NumVGPRsForWavesPerEU: 60
; Occupancy: 16
; WaveLimiterHint : 0
; COMPUTE_PGM_RSRC2:SCRATCH_EN: 0
; COMPUTE_PGM_RSRC2:USER_SGPR: 6
; COMPUTE_PGM_RSRC2:TRAP_HANDLER: 0
; COMPUTE_PGM_RSRC2:TGID_X_EN: 1
; COMPUTE_PGM_RSRC2:TGID_Y_EN: 0
; COMPUTE_PGM_RSRC2:TGID_Z_EN: 1
; COMPUTE_PGM_RSRC2:TIDIG_COMP_CNT: 1
	.section	.text._ZL23rocblas_trmm_lTx_kernelILi16ELb0E19rocblas_complex_numIfEPKS1_S2_S1_Ev13rocblas_fill_17rocblas_diagonal_iiT2_lPT3_llS8_llPT4_lli,"axG",@progbits,_ZL23rocblas_trmm_lTx_kernelILi16ELb0E19rocblas_complex_numIfEPKS1_S2_S1_Ev13rocblas_fill_17rocblas_diagonal_iiT2_lPT3_llS8_llPT4_lli,comdat
	.globl	_ZL23rocblas_trmm_lTx_kernelILi16ELb0E19rocblas_complex_numIfEPKS1_S2_S1_Ev13rocblas_fill_17rocblas_diagonal_iiT2_lPT3_llS8_llPT4_lli ; -- Begin function _ZL23rocblas_trmm_lTx_kernelILi16ELb0E19rocblas_complex_numIfEPKS1_S2_S1_Ev13rocblas_fill_17rocblas_diagonal_iiT2_lPT3_llS8_llPT4_lli
	.p2align	8
	.type	_ZL23rocblas_trmm_lTx_kernelILi16ELb0E19rocblas_complex_numIfEPKS1_S2_S1_Ev13rocblas_fill_17rocblas_diagonal_iiT2_lPT3_llS8_llPT4_lli,@function
_ZL23rocblas_trmm_lTx_kernelILi16ELb0E19rocblas_complex_numIfEPKS1_S2_S1_Ev13rocblas_fill_17rocblas_diagonal_iiT2_lPT3_llS8_llPT4_lli: ; @_ZL23rocblas_trmm_lTx_kernelILi16ELb0E19rocblas_complex_numIfEPKS1_S2_S1_Ev13rocblas_fill_17rocblas_diagonal_iiT2_lPT3_llS8_llPT4_lli
; %bb.0:
	s_load_dwordx16 s[8:23], s[4:5], 0x10
	s_waitcnt lgkmcnt(0)
	s_mul_i32 s1, s11, s7
	s_mul_hi_u32 s2, s10, s7
	s_mul_i32 s0, s10, s7
	s_add_i32 s1, s2, s1
	s_lshl_b64 s[0:1], s[0:1], 3
	s_add_u32 s0, s8, s0
	s_addc_u32 s1, s9, s1
	s_load_dwordx2 s[24:25], s[0:1], 0x0
	s_waitcnt lgkmcnt(0)
	v_cmp_neq_f32_e64 s0, s24, 0
	v_cmp_neq_f32_e64 s1, s25, 0
	s_or_b32 s0, s0, s1
	s_andn2_b32 vcc_lo, exec_lo, s0
	s_mov_b32 s0, 0
	s_cbranch_vccnz .LBB98_15
; %bb.1:
	s_load_dwordx4 s[8:11], s[4:5], 0x0
	v_lshlrev_b32_e32 v3, 4, v1
	s_mov_b32 s1, s0
	v_lshlrev_b32_e32 v2, 3, v0
	v_mov_b32_e32 v6, s1
	v_mov_b32_e32 v5, s0
	v_add_lshl_u32 v4, v3, v0, 3
	ds_write2st64_b64 v4, v[5:6], v[5:6] offset1:4
	s_waitcnt lgkmcnt(0)
	s_barrier
	buffer_gl0_inv
	v_cmp_gt_i32_e64 s0, s10, v1
	v_cmp_gt_i32_e32 vcc_lo, s10, v0
	s_and_b32 s0, s0, vcc_lo
	s_and_saveexec_b32 s1, s0
	s_cbranch_execz .LBB98_3
; %bb.2:
	v_mad_u64_u32 v[5:6], null, s14, v1, 0
	s_mul_i32 s0, s17, s7
	s_mul_hi_u32 s3, s16, s7
	s_mul_i32 s2, s16, s7
	s_add_i32 s3, s3, s0
	s_lshl_b64 s[2:3], s[2:3], 3
	v_mad_u64_u32 v[6:7], null, s15, v1, v[6:7]
	s_add_u32 s0, s12, s2
	s_addc_u32 s2, s13, s3
	v_lshlrev_b32_e32 v7, 3, v1
	v_lshlrev_b64 v[5:6], 3, v[5:6]
	v_lshl_add_u32 v7, v0, 7, v7
	v_add_co_u32 v5, s0, s0, v5
	v_add_co_ci_u32_e64 v6, null, s2, v6, s0
	v_add_co_u32 v5, s0, v5, v2
	v_add_co_ci_u32_e64 v6, null, 0, v6, s0
	global_load_dwordx2 v[5:6], v[5:6], off
	s_waitcnt vmcnt(0)
	ds_write_b64 v7, v[5:6]
.LBB98_3:
	s_or_b32 exec_lo, exec_lo, s1
	s_add_i32 s0, s11, -1
	s_ashr_i32 s1, s0, 31
	s_lshr_b32 s1, s1, 28
	s_add_i32 s0, s0, s1
	s_and_b32 s1, s0, -16
	s_ashr_i32 s0, s0, 4
	s_sub_i32 s1, s11, s1
	s_cmp_ge_i32 s6, s0
	s_cselect_b32 s0, s1, 16
	s_lshl_b32 s6, s6, 4
	v_cmp_gt_i32_e64 s0, s0, v1
	s_ashr_i32 s10, s6, 31
	s_and_b32 s0, vcc_lo, s0
	s_and_saveexec_b32 s1, s0
	s_cbranch_execz .LBB98_5
; %bb.4:
	v_mad_u64_u32 v[5:6], null, s20, v1, 0
	s_mul_i32 s3, s23, s7
	s_mul_hi_u32 s11, s22, s7
	s_mul_i32 s2, s22, s7
	s_add_i32 s3, s11, s3
	s_mul_i32 s12, s20, s10
	s_lshl_b64 s[2:3], s[2:3], 3
	v_mad_u64_u32 v[6:7], null, s21, v1, v[6:7]
	s_mul_hi_u32 s11, s20, s6
	s_add_u32 s14, s18, s2
	s_mul_i32 s13, s21, s6
	s_addc_u32 s15, s19, s3
	s_add_i32 s3, s11, s12
	s_mul_i32 s2, s20, s6
	s_add_i32 s3, s3, s13
	v_lshlrev_b64 v[5:6], 3, v[5:6]
	s_lshl_b64 s[2:3], s[2:3], 3
	v_add_nc_u32_e32 v7, 0x800, v4
	s_add_u32 s2, s14, s2
	s_addc_u32 s3, s15, s3
	v_add_co_u32 v5, vcc_lo, s2, v5
	v_add_co_ci_u32_e64 v6, null, s3, v6, vcc_lo
	v_add_co_u32 v5, vcc_lo, v5, v2
	v_add_co_ci_u32_e64 v6, null, 0, v6, vcc_lo
	global_load_dwordx2 v[5:6], v[5:6], off
	s_waitcnt vmcnt(0)
	ds_write_b64 v7, v[5:6]
.LBB98_5:
	s_or_b32 exec_lo, exec_lo, s1
	v_cmp_eq_u32_e32 vcc_lo, v1, v0
	s_cmpk_eq_i32 s9, 0x84
	s_cselect_b32 s1, -1, 0
	s_and_b32 s2, vcc_lo, s1
	s_and_saveexec_b32 s1, s2
; %bb.6:
	v_mov_b32_e32 v5, 1.0
	v_mov_b32_e32 v6, 0
	ds_write_b64 v4, v[5:6]
; %bb.7:
	s_or_b32 exec_lo, exec_lo, s1
	s_cmpk_lg_i32 s8, 0x7a
	s_waitcnt lgkmcnt(0)
	s_barrier
	buffer_gl0_inv
	s_cbranch_scc0 .LBB98_9
; %bb.8:
	v_cmp_lt_u32_e32 vcc_lo, v0, v1
	s_and_b32 s1, vcc_lo, exec_lo
	s_cbranch_execz .LBB98_10
	s_branch .LBB98_11
.LBB98_9:
	s_mov_b32 s1, 0
.LBB98_10:
	v_cmp_gt_u32_e32 vcc_lo, v0, v1
	s_andn2_b32 s1, s1, exec_lo
	s_and_b32 s2, vcc_lo, exec_lo
	s_or_b32 s1, s1, s2
.LBB98_11:
	s_and_saveexec_b32 s2, s1
; %bb.12:
	v_mov_b32_e32 v5, 0
	v_mov_b32_e32 v6, v5
	ds_write_b64 v4, v[5:6]
; %bb.13:
	s_or_b32 exec_lo, exec_lo, s2
	s_waitcnt lgkmcnt(0)
	s_barrier
	buffer_gl0_inv
	s_and_saveexec_b32 s1, s0
	s_cbranch_execz .LBB98_15
; %bb.14:
	v_lshlrev_b32_e32 v0, 3, v3
	ds_read2_b64 v[3:6], v2 offset1:16
	ds_read_b128 v[7:10], v0 offset:2048
	s_clause 0x1
	s_load_dwordx4 s[0:3], s[4:5], 0x50
	s_load_dwordx2 s[4:5], s[4:5], 0x60
	ds_read2_b64 v[11:14], v2 offset0:32 offset1:48
	ds_read2_b64 v[15:18], v2 offset0:64 offset1:80
	ds_read2_b64 v[19:22], v2 offset0:96 offset1:112
	ds_read2_b64 v[23:26], v2 offset0:128 offset1:144
	ds_read_b128 v[27:30], v0 offset:2064
	ds_read2_b64 v[31:34], v2 offset0:160 offset1:176
	ds_read2_b64 v[35:38], v2 offset0:192 offset1:208
	;; [unrolled: 1-line block ×3, first 2 shown]
	ds_read_b128 v[43:46], v0 offset:2080
	ds_read_b128 v[47:50], v0 offset:2096
	s_waitcnt lgkmcnt(0)
	v_mul_f32_e32 v55, v27, v12
	v_mul_f32_e32 v51, v7, v4
	;; [unrolled: 1-line block ×6, first 2 shown]
	v_fmac_f32_e32 v51, v8, v3
	v_fmac_f32_e32 v52, v10, v5
	v_mul_f32_e32 v12, v28, v12
	v_mul_f32_e32 v14, v30, v14
	v_fmac_f32_e32 v55, v28, v11
	v_add_f32_e32 v51, 0, v51
	v_fma_f32 v53, v7, v3, -v4
	v_fma_f32 v54, v9, v5, -v6
	ds_read_b128 v[3:6], v0 offset:2112
	ds_read_b128 v[7:10], v0 offset:2128
	v_fmac_f32_e32 v56, v30, v13
	v_add_f32_e32 v51, v51, v52
	v_fma_f32 v57, v27, v11, -v12
	v_fma_f32 v58, v29, v13, -v14
	ds_read_b128 v[11:14], v0 offset:2144
	ds_read_b128 v[27:30], v0 offset:2160
	v_mul_f32_e32 v0, v43, v16
	v_add_f32_e32 v51, v51, v55
	v_add_f32_e32 v53, 0, v53
	v_mul_f32_e32 v52, v45, v18
	v_mul_f32_e32 v55, v47, v20
	v_fmac_f32_e32 v0, v44, v15
	v_add_f32_e32 v51, v51, v56
	v_add_f32_e32 v53, v53, v54
	v_fmac_f32_e32 v52, v46, v17
	v_mul_f32_e32 v16, v44, v16
	v_mul_f32_e32 v56, v49, v22
	v_add_f32_e32 v0, v51, v0
	v_add_f32_e32 v53, v53, v57
	v_fmac_f32_e32 v55, v48, v19
	v_mul_f32_e32 v18, v46, v18
	v_fma_f32 v15, v43, v15, -v16
	v_add_f32_e32 v0, v0, v52
	v_add_f32_e32 v52, v53, v58
	s_waitcnt lgkmcnt(3)
	v_mul_f32_e32 v59, v3, v24
	v_fmac_f32_e32 v56, v50, v21
	v_mul_f32_e32 v16, v48, v20
	v_add_f32_e32 v0, v0, v55
	v_fma_f32 v17, v45, v17, -v18
	v_add_f32_e32 v15, v52, v15
	v_mul_f32_e32 v51, v5, v26
	v_fmac_f32_e32 v59, v4, v23
	v_add_f32_e32 v0, v0, v56
	v_mul_f32_e32 v18, v50, v22
	v_fma_f32 v16, v47, v19, -v16
	v_add_f32_e32 v15, v15, v17
	s_waitcnt lgkmcnt(2)
	v_mul_f32_e32 v54, v7, v32
	v_fmac_f32_e32 v51, v6, v25
	v_add_f32_e32 v0, v0, v59
	v_mul_f32_e32 v4, v4, v24
	v_fma_f32 v17, v49, v21, -v18
	v_add_f32_e32 v15, v15, v16
	v_mul_f32_e32 v44, v9, v34
	v_fmac_f32_e32 v54, v8, v31
	v_add_f32_e32 v0, v0, v51
	v_mul_f32_e32 v6, v6, v26
	v_fma_f32 v3, v3, v23, -v4
	v_add_f32_e32 v4, v15, v17
	v_fmac_f32_e32 v44, v10, v33
	v_add_f32_e32 v0, v0, v54
	s_waitcnt lgkmcnt(1)
	v_mul_f32_e32 v15, v11, v36
	s_mul_i32 s5, s5, s7
	v_add_f32_e32 v3, v4, v3
	v_fma_f32 v4, v5, v25, -v6
	v_mul_f32_e32 v5, v8, v32
	v_add_f32_e32 v0, v0, v44
	v_fmac_f32_e32 v15, v12, v35
	v_mul_f32_e32 v6, v13, v38
	v_add_f32_e32 v3, v3, v4
	v_fma_f32 v4, v7, v31, -v5
	v_mul_f32_e32 v5, v10, v34
	v_add_f32_e32 v0, v0, v15
	v_fmac_f32_e32 v6, v14, v37
	v_mul_f32_e32 v8, v14, v38
	v_add_f32_e32 v3, v3, v4
	v_fma_f32 v4, v9, v33, -v5
	v_mul_f32_e32 v5, v12, v36
	v_add_f32_e32 v0, v0, v6
	s_waitcnt lgkmcnt(0)
	v_mul_f32_e32 v6, v27, v40
	s_mul_hi_u32 s8, s4, s7
	v_add_f32_e32 v7, v3, v4
	v_mad_u64_u32 v[3:4], null, s2, v1, 0
	v_fmac_f32_e32 v6, v28, v39
	v_fma_f32 v5, v11, v35, -v5
	s_mul_i32 s4, s4, s7
	s_add_i32 s5, s8, s5
	v_mul_f32_e32 v9, v29, v42
	v_add_f32_e32 v6, v0, v6
	v_mov_b32_e32 v0, v4
	v_add_f32_e32 v5, v7, v5
	v_fma_f32 v7, v13, v37, -v8
	v_mul_f32_e32 v8, v28, v40
	s_lshl_b64 s[4:5], s[4:5], 3
	v_mad_u64_u32 v[0:1], null, s3, v1, v[0:1]
	v_add_f32_e32 v4, v5, v7
	v_fma_f32 v5, v27, v39, -v8
	s_add_u32 s4, s0, s4
	s_addc_u32 s5, s1, s5
	s_mul_i32 s0, s2, s10
	s_mul_hi_u32 s1, s2, s6
	v_add_f32_e32 v1, v4, v5
	v_mov_b32_e32 v4, v0
	v_mul_f32_e32 v7, v30, v42
	v_fmac_f32_e32 v9, v30, v41
	s_add_i32 s0, s1, s0
	s_mul_i32 s1, s3, s6
	v_lshlrev_b64 v[3:4], 3, v[3:4]
	s_add_i32 s1, s0, s1
	s_mul_i32 s0, s2, s6
	v_fma_f32 v5, v29, v41, -v7
	s_lshl_b64 s[0:1], s[0:1], 3
	v_add_f32_e32 v6, v6, v9
	s_add_u32 s0, s4, s0
	s_addc_u32 s1, s5, s1
	v_add_co_u32 v3, vcc_lo, s0, v3
	v_add_f32_e32 v0, v1, v5
	v_mul_f32_e32 v1, s24, v6
	v_mul_f32_e32 v5, s25, v6
	v_add_co_ci_u32_e64 v4, null, s1, v4, vcc_lo
	v_add_co_u32 v2, vcc_lo, v3, v2
	v_fmac_f32_e32 v1, s25, v0
	v_fma_f32 v0, s24, v0, -v5
	v_add_co_ci_u32_e64 v3, null, 0, v4, vcc_lo
	global_store_dwordx2 v[2:3], v[0:1], off
.LBB98_15:
	s_endpgm
	.section	.rodata,"a",@progbits
	.p2align	6, 0x0
	.amdhsa_kernel _ZL23rocblas_trmm_lTx_kernelILi16ELb0E19rocblas_complex_numIfEPKS1_S2_S1_Ev13rocblas_fill_17rocblas_diagonal_iiT2_lPT3_llS8_llPT4_lli
		.amdhsa_group_segment_fixed_size 4096
		.amdhsa_private_segment_fixed_size 0
		.amdhsa_kernarg_size 108
		.amdhsa_user_sgpr_count 6
		.amdhsa_user_sgpr_private_segment_buffer 1
		.amdhsa_user_sgpr_dispatch_ptr 0
		.amdhsa_user_sgpr_queue_ptr 0
		.amdhsa_user_sgpr_kernarg_segment_ptr 1
		.amdhsa_user_sgpr_dispatch_id 0
		.amdhsa_user_sgpr_flat_scratch_init 0
		.amdhsa_user_sgpr_private_segment_size 0
		.amdhsa_wavefront_size32 1
		.amdhsa_uses_dynamic_stack 0
		.amdhsa_system_sgpr_private_segment_wavefront_offset 0
		.amdhsa_system_sgpr_workgroup_id_x 1
		.amdhsa_system_sgpr_workgroup_id_y 0
		.amdhsa_system_sgpr_workgroup_id_z 1
		.amdhsa_system_sgpr_workgroup_info 0
		.amdhsa_system_vgpr_workitem_id 1
		.amdhsa_next_free_vgpr 60
		.amdhsa_next_free_sgpr 26
		.amdhsa_reserve_vcc 1
		.amdhsa_reserve_flat_scratch 0
		.amdhsa_float_round_mode_32 0
		.amdhsa_float_round_mode_16_64 0
		.amdhsa_float_denorm_mode_32 3
		.amdhsa_float_denorm_mode_16_64 3
		.amdhsa_dx10_clamp 1
		.amdhsa_ieee_mode 1
		.amdhsa_fp16_overflow 0
		.amdhsa_workgroup_processor_mode 1
		.amdhsa_memory_ordered 1
		.amdhsa_forward_progress 1
		.amdhsa_shared_vgpr_count 0
		.amdhsa_exception_fp_ieee_invalid_op 0
		.amdhsa_exception_fp_denorm_src 0
		.amdhsa_exception_fp_ieee_div_zero 0
		.amdhsa_exception_fp_ieee_overflow 0
		.amdhsa_exception_fp_ieee_underflow 0
		.amdhsa_exception_fp_ieee_inexact 0
		.amdhsa_exception_int_div_zero 0
	.end_amdhsa_kernel
	.section	.text._ZL23rocblas_trmm_lTx_kernelILi16ELb0E19rocblas_complex_numIfEPKS1_S2_S1_Ev13rocblas_fill_17rocblas_diagonal_iiT2_lPT3_llS8_llPT4_lli,"axG",@progbits,_ZL23rocblas_trmm_lTx_kernelILi16ELb0E19rocblas_complex_numIfEPKS1_S2_S1_Ev13rocblas_fill_17rocblas_diagonal_iiT2_lPT3_llS8_llPT4_lli,comdat
.Lfunc_end98:
	.size	_ZL23rocblas_trmm_lTx_kernelILi16ELb0E19rocblas_complex_numIfEPKS1_S2_S1_Ev13rocblas_fill_17rocblas_diagonal_iiT2_lPT3_llS8_llPT4_lli, .Lfunc_end98-_ZL23rocblas_trmm_lTx_kernelILi16ELb0E19rocblas_complex_numIfEPKS1_S2_S1_Ev13rocblas_fill_17rocblas_diagonal_iiT2_lPT3_llS8_llPT4_lli
                                        ; -- End function
	.set _ZL23rocblas_trmm_lTx_kernelILi16ELb0E19rocblas_complex_numIfEPKS1_S2_S1_Ev13rocblas_fill_17rocblas_diagonal_iiT2_lPT3_llS8_llPT4_lli.num_vgpr, 60
	.set _ZL23rocblas_trmm_lTx_kernelILi16ELb0E19rocblas_complex_numIfEPKS1_S2_S1_Ev13rocblas_fill_17rocblas_diagonal_iiT2_lPT3_llS8_llPT4_lli.num_agpr, 0
	.set _ZL23rocblas_trmm_lTx_kernelILi16ELb0E19rocblas_complex_numIfEPKS1_S2_S1_Ev13rocblas_fill_17rocblas_diagonal_iiT2_lPT3_llS8_llPT4_lli.numbered_sgpr, 26
	.set _ZL23rocblas_trmm_lTx_kernelILi16ELb0E19rocblas_complex_numIfEPKS1_S2_S1_Ev13rocblas_fill_17rocblas_diagonal_iiT2_lPT3_llS8_llPT4_lli.num_named_barrier, 0
	.set _ZL23rocblas_trmm_lTx_kernelILi16ELb0E19rocblas_complex_numIfEPKS1_S2_S1_Ev13rocblas_fill_17rocblas_diagonal_iiT2_lPT3_llS8_llPT4_lli.private_seg_size, 0
	.set _ZL23rocblas_trmm_lTx_kernelILi16ELb0E19rocblas_complex_numIfEPKS1_S2_S1_Ev13rocblas_fill_17rocblas_diagonal_iiT2_lPT3_llS8_llPT4_lli.uses_vcc, 1
	.set _ZL23rocblas_trmm_lTx_kernelILi16ELb0E19rocblas_complex_numIfEPKS1_S2_S1_Ev13rocblas_fill_17rocblas_diagonal_iiT2_lPT3_llS8_llPT4_lli.uses_flat_scratch, 0
	.set _ZL23rocblas_trmm_lTx_kernelILi16ELb0E19rocblas_complex_numIfEPKS1_S2_S1_Ev13rocblas_fill_17rocblas_diagonal_iiT2_lPT3_llS8_llPT4_lli.has_dyn_sized_stack, 0
	.set _ZL23rocblas_trmm_lTx_kernelILi16ELb0E19rocblas_complex_numIfEPKS1_S2_S1_Ev13rocblas_fill_17rocblas_diagonal_iiT2_lPT3_llS8_llPT4_lli.has_recursion, 0
	.set _ZL23rocblas_trmm_lTx_kernelILi16ELb0E19rocblas_complex_numIfEPKS1_S2_S1_Ev13rocblas_fill_17rocblas_diagonal_iiT2_lPT3_llS8_llPT4_lli.has_indirect_call, 0
	.section	.AMDGPU.csdata,"",@progbits
; Kernel info:
; codeLenInByte = 1432
; TotalNumSgprs: 28
; NumVgprs: 60
; ScratchSize: 0
; MemoryBound: 0
; FloatMode: 240
; IeeeMode: 1
; LDSByteSize: 4096 bytes/workgroup (compile time only)
; SGPRBlocks: 0
; VGPRBlocks: 7
; NumSGPRsForWavesPerEU: 28
; NumVGPRsForWavesPerEU: 60
; Occupancy: 16
; WaveLimiterHint : 0
; COMPUTE_PGM_RSRC2:SCRATCH_EN: 0
; COMPUTE_PGM_RSRC2:USER_SGPR: 6
; COMPUTE_PGM_RSRC2:TRAP_HANDLER: 0
; COMPUTE_PGM_RSRC2:TGID_X_EN: 1
; COMPUTE_PGM_RSRC2:TGID_Y_EN: 0
; COMPUTE_PGM_RSRC2:TGID_Z_EN: 1
; COMPUTE_PGM_RSRC2:TIDIG_COMP_CNT: 1
	.section	.text._ZL23rocblas_trmm_lTx_kernelILi16ELb0E19rocblas_complex_numIfES1_KS1_S1_Ev13rocblas_fill_17rocblas_diagonal_iiT2_lPT3_llS7_llPT4_lli,"axG",@progbits,_ZL23rocblas_trmm_lTx_kernelILi16ELb0E19rocblas_complex_numIfES1_KS1_S1_Ev13rocblas_fill_17rocblas_diagonal_iiT2_lPT3_llS7_llPT4_lli,comdat
	.globl	_ZL23rocblas_trmm_lTx_kernelILi16ELb0E19rocblas_complex_numIfES1_KS1_S1_Ev13rocblas_fill_17rocblas_diagonal_iiT2_lPT3_llS7_llPT4_lli ; -- Begin function _ZL23rocblas_trmm_lTx_kernelILi16ELb0E19rocblas_complex_numIfES1_KS1_S1_Ev13rocblas_fill_17rocblas_diagonal_iiT2_lPT3_llS7_llPT4_lli
	.p2align	8
	.type	_ZL23rocblas_trmm_lTx_kernelILi16ELb0E19rocblas_complex_numIfES1_KS1_S1_Ev13rocblas_fill_17rocblas_diagonal_iiT2_lPT3_llS7_llPT4_lli,@function
_ZL23rocblas_trmm_lTx_kernelILi16ELb0E19rocblas_complex_numIfES1_KS1_S1_Ev13rocblas_fill_17rocblas_diagonal_iiT2_lPT3_llS7_llPT4_lli: ; @_ZL23rocblas_trmm_lTx_kernelILi16ELb0E19rocblas_complex_numIfES1_KS1_S1_Ev13rocblas_fill_17rocblas_diagonal_iiT2_lPT3_llS7_llPT4_lli
; %bb.0:
	s_load_dwordx2 s[2:3], s[4:5], 0x10
	s_waitcnt lgkmcnt(0)
	v_cmp_neq_f32_e64 s0, s2, 0
	v_cmp_neq_f32_e64 s1, s3, 0
	s_or_b32 s0, s0, s1
	s_andn2_b32 vcc_lo, exec_lo, s0
	s_mov_b32 s0, 0
	s_cbranch_vccnz .LBB99_15
; %bb.1:
	s_clause 0x1
	s_load_dwordx4 s[24:27], s[4:5], 0x0
	s_load_dwordx16 s[8:23], s[4:5], 0x20
	v_lshlrev_b32_e32 v3, 4, v1
	s_mov_b32 s1, s0
	v_lshlrev_b32_e32 v2, 3, v0
	v_mov_b32_e32 v6, s1
	v_mov_b32_e32 v5, s0
	v_add_lshl_u32 v4, v3, v0, 3
	ds_write2st64_b64 v4, v[5:6], v[5:6] offset1:4
	s_waitcnt lgkmcnt(0)
	s_barrier
	buffer_gl0_inv
	v_cmp_gt_i32_e64 s0, s26, v1
	v_cmp_gt_i32_e32 vcc_lo, s26, v0
	s_and_b32 s0, s0, vcc_lo
	s_and_saveexec_b32 s1, s0
	s_cbranch_execz .LBB99_3
; %bb.2:
	v_mad_u64_u32 v[5:6], null, s10, v1, 0
	s_mul_i32 s0, s13, s7
	s_mul_i32 s10, s12, s7
	v_mad_u64_u32 v[6:7], null, s11, v1, v[6:7]
	s_mul_hi_u32 s11, s12, s7
	v_lshlrev_b32_e32 v7, 3, v1
	s_add_i32 s11, s11, s0
	s_lshl_b64 s[10:11], s[10:11], 3
	s_add_u32 s0, s8, s10
	v_lshlrev_b64 v[5:6], 3, v[5:6]
	s_addc_u32 s8, s9, s11
	v_lshl_add_u32 v7, v0, 7, v7
	v_add_co_u32 v5, s0, s0, v5
	v_add_co_ci_u32_e64 v6, null, s8, v6, s0
	v_add_co_u32 v5, s0, v5, v2
	v_add_co_ci_u32_e64 v6, null, 0, v6, s0
	global_load_dwordx2 v[5:6], v[5:6], off
	s_waitcnt vmcnt(0)
	ds_write_b64 v7, v[5:6]
.LBB99_3:
	s_or_b32 exec_lo, exec_lo, s1
	s_add_i32 s0, s27, -1
	s_ashr_i32 s1, s0, 31
	s_lshr_b32 s1, s1, 28
	s_add_i32 s0, s0, s1
	s_and_b32 s1, s0, -16
	s_ashr_i32 s0, s0, 4
	s_sub_i32 s1, s27, s1
	s_cmp_ge_i32 s6, s0
	s_cselect_b32 s0, s1, 16
	s_lshl_b32 s6, s6, 4
	v_cmp_gt_i32_e64 s0, s0, v1
	s_ashr_i32 s8, s6, 31
	s_and_b32 s0, vcc_lo, s0
	s_and_saveexec_b32 s1, s0
	s_cbranch_execz .LBB99_5
; %bb.4:
	v_mad_u64_u32 v[5:6], null, s16, v1, 0
	s_mul_i32 s9, s19, s7
	s_mul_hi_u32 s11, s18, s7
	s_mul_i32 s10, s18, s7
	s_add_i32 s11, s11, s9
	s_mul_i32 s12, s16, s8
	s_lshl_b64 s[10:11], s[10:11], 3
	v_mad_u64_u32 v[6:7], null, s17, v1, v[6:7]
	s_mul_hi_u32 s9, s16, s6
	s_add_u32 s14, s14, s10
	s_mul_i32 s13, s17, s6
	s_addc_u32 s15, s15, s11
	s_add_i32 s9, s9, s12
	s_mul_i32 s10, s16, s6
	s_add_i32 s11, s9, s13
	v_lshlrev_b64 v[5:6], 3, v[5:6]
	s_lshl_b64 s[10:11], s[10:11], 3
	v_add_nc_u32_e32 v7, 0x800, v4
	s_add_u32 s9, s14, s10
	s_addc_u32 s10, s15, s11
	v_add_co_u32 v5, vcc_lo, s9, v5
	v_add_co_ci_u32_e64 v6, null, s10, v6, vcc_lo
	v_add_co_u32 v5, vcc_lo, v5, v2
	v_add_co_ci_u32_e64 v6, null, 0, v6, vcc_lo
	global_load_dwordx2 v[5:6], v[5:6], off
	s_waitcnt vmcnt(0)
	ds_write_b64 v7, v[5:6]
.LBB99_5:
	s_or_b32 exec_lo, exec_lo, s1
	v_cmp_eq_u32_e32 vcc_lo, v1, v0
	s_cmpk_eq_i32 s25, 0x84
	s_cselect_b32 s1, -1, 0
	s_and_b32 s9, vcc_lo, s1
	s_and_saveexec_b32 s1, s9
; %bb.6:
	v_mov_b32_e32 v5, 1.0
	v_mov_b32_e32 v6, 0
	ds_write_b64 v4, v[5:6]
; %bb.7:
	s_or_b32 exec_lo, exec_lo, s1
	s_cmpk_lg_i32 s24, 0x7a
	s_waitcnt lgkmcnt(0)
	s_barrier
	buffer_gl0_inv
	s_cbranch_scc0 .LBB99_9
; %bb.8:
	v_cmp_lt_u32_e32 vcc_lo, v0, v1
	s_and_b32 s1, vcc_lo, exec_lo
	s_cbranch_execz .LBB99_10
	s_branch .LBB99_11
.LBB99_9:
	s_mov_b32 s1, 0
.LBB99_10:
	v_cmp_gt_u32_e32 vcc_lo, v0, v1
	s_andn2_b32 s1, s1, exec_lo
	s_and_b32 s9, vcc_lo, exec_lo
	s_or_b32 s1, s1, s9
.LBB99_11:
	s_and_saveexec_b32 s9, s1
; %bb.12:
	v_mov_b32_e32 v5, 0
	v_mov_b32_e32 v6, v5
	ds_write_b64 v4, v[5:6]
; %bb.13:
	s_or_b32 exec_lo, exec_lo, s9
	s_waitcnt lgkmcnt(0)
	s_barrier
	buffer_gl0_inv
	s_and_saveexec_b32 s1, s0
	s_cbranch_execz .LBB99_15
; %bb.14:
	v_lshlrev_b32_e32 v0, 3, v3
	s_load_dwordx2 s[0:1], s[4:5], 0x60
	ds_read2_b64 v[3:6], v2 offset1:16
	ds_read_b128 v[7:10], v0 offset:2048
	ds_read2_b64 v[11:14], v2 offset0:32 offset1:48
	ds_read2_b64 v[15:18], v2 offset0:64 offset1:80
	;; [unrolled: 1-line block ×4, first 2 shown]
	ds_read_b128 v[27:30], v0 offset:2064
	ds_read2_b64 v[31:34], v2 offset0:160 offset1:176
	ds_read2_b64 v[35:38], v2 offset0:192 offset1:208
	ds_read2_b64 v[39:42], v2 offset0:224 offset1:240
	ds_read_b128 v[43:46], v0 offset:2080
	ds_read_b128 v[47:50], v0 offset:2096
	s_waitcnt lgkmcnt(0)
	s_mul_i32 s1, s1, s7
	v_mul_f32_e32 v55, v27, v12
	v_mul_f32_e32 v56, v29, v14
	;; [unrolled: 1-line block ×7, first 2 shown]
	v_fmac_f32_e32 v51, v8, v3
	v_fmac_f32_e32 v52, v10, v5
	v_fma_f32 v53, v7, v3, -v4
	v_mul_f32_e32 v14, v30, v14
	v_fmac_f32_e32 v55, v28, v11
	v_add_f32_e32 v51, 0, v51
	v_fma_f32 v54, v9, v5, -v6
	ds_read_b128 v[3:6], v0 offset:2112
	ds_read_b128 v[7:10], v0 offset:2128
	v_fmac_f32_e32 v56, v30, v13
	v_fma_f32 v57, v27, v11, -v12
	v_add_f32_e32 v51, v51, v52
	v_fma_f32 v58, v29, v13, -v14
	ds_read_b128 v[11:14], v0 offset:2144
	ds_read_b128 v[27:30], v0 offset:2160
	v_mul_f32_e32 v0, v43, v16
	v_add_f32_e32 v53, 0, v53
	v_add_f32_e32 v51, v51, v55
	v_mul_f32_e32 v52, v45, v18
	v_mul_f32_e32 v55, v47, v20
	v_fmac_f32_e32 v0, v44, v15
	v_add_f32_e32 v53, v53, v54
	v_add_f32_e32 v51, v51, v56
	v_fmac_f32_e32 v52, v46, v17
	v_mul_f32_e32 v16, v44, v16
	v_mul_f32_e32 v59, v49, v22
	v_add_f32_e32 v53, v53, v57
	v_add_f32_e32 v0, v51, v0
	v_fmac_f32_e32 v55, v48, v19
	v_mul_f32_e32 v18, v46, v18
	v_fma_f32 v15, v43, v15, -v16
	s_waitcnt lgkmcnt(3)
	v_mul_f32_e32 v56, v3, v24
	v_add_f32_e32 v0, v0, v52
	v_add_f32_e32 v52, v53, v58
	v_fmac_f32_e32 v59, v50, v21
	v_fma_f32 v17, v45, v17, -v18
	v_mul_f32_e32 v18, v48, v20
	v_add_f32_e32 v0, v0, v55
	v_add_f32_e32 v15, v52, v15
	v_mul_f32_e32 v54, v5, v26
	v_fmac_f32_e32 v56, v4, v23
	v_mul_f32_e32 v20, v50, v22
	v_add_f32_e32 v0, v0, v59
	v_fma_f32 v18, v47, v19, -v18
	v_add_f32_e32 v15, v15, v17
	s_waitcnt lgkmcnt(2)
	v_mul_f32_e32 v51, v7, v32
	v_fmac_f32_e32 v54, v6, v25
	v_add_f32_e32 v0, v0, v56
	v_mul_f32_e32 v4, v4, v24
	v_fma_f32 v17, v49, v21, -v20
	v_add_f32_e32 v15, v15, v18
	v_mul_f32_e32 v44, v9, v34
	v_fmac_f32_e32 v51, v8, v31
	v_add_f32_e32 v0, v0, v54
	v_mul_f32_e32 v6, v6, v26
	v_fma_f32 v3, v3, v23, -v4
	v_add_f32_e32 v4, v15, v17
	s_waitcnt lgkmcnt(1)
	v_mul_f32_e32 v16, v11, v36
	v_fmac_f32_e32 v44, v10, v33
	v_add_f32_e32 v0, v0, v51
	v_mul_f32_e32 v8, v8, v32
	v_fma_f32 v5, v5, v25, -v6
	v_add_f32_e32 v3, v4, v3
	v_fmac_f32_e32 v16, v12, v35
	v_add_f32_e32 v0, v0, v44
	v_mul_f32_e32 v4, v13, v38
	v_mul_f32_e32 v6, v10, v34
	v_add_f32_e32 v3, v3, v5
	v_fma_f32 v5, v7, v31, -v8
	v_add_f32_e32 v0, v0, v16
	v_fmac_f32_e32 v4, v14, v37
	s_waitcnt lgkmcnt(0)
	v_mul_f32_e32 v7, v27, v40
	v_mul_f32_e32 v8, v14, v38
	v_add_f32_e32 v3, v3, v5
	v_fma_f32 v5, v9, v33, -v6
	v_add_f32_e32 v0, v0, v4
	v_mul_f32_e32 v6, v12, v36
	v_fmac_f32_e32 v7, v28, v39
	s_mul_hi_u32 s4, s0, s7
	v_add_f32_e32 v5, v3, v5
	v_mad_u64_u32 v[3:4], null, s22, v1, 0
	v_fma_f32 v6, v11, v35, -v6
	v_add_f32_e32 v7, v0, v7
	s_mul_i32 s0, s0, s7
	s_add_i32 s1, s4, s1
	v_mul_f32_e32 v9, v29, v42
	v_add_f32_e32 v5, v5, v6
	v_mov_b32_e32 v0, v4
	v_fma_f32 v6, v13, v37, -v8
	v_mul_f32_e32 v8, v28, v40
	s_lshl_b64 s[0:1], s[0:1], 3
	v_fmac_f32_e32 v9, v30, v41
	v_mad_u64_u32 v[0:1], null, s23, v1, v[0:1]
	v_add_f32_e32 v4, v5, v6
	v_fma_f32 v5, v27, v39, -v8
	s_add_u32 s4, s20, s0
	s_addc_u32 s5, s21, s1
	s_mul_i32 s0, s22, s8
	s_mul_hi_u32 s1, s22, s6
	v_add_f32_e32 v1, v4, v5
	v_mov_b32_e32 v4, v0
	v_mul_f32_e32 v6, v30, v42
	s_add_i32 s0, s1, s0
	s_mul_i32 s1, s23, s6
	s_add_i32 s1, s0, s1
	s_mul_i32 s0, s22, s6
	v_lshlrev_b64 v[3:4], 3, v[3:4]
	s_lshl_b64 s[0:1], s[0:1], 3
	v_fma_f32 v5, v29, v41, -v6
	v_add_f32_e32 v6, v7, v9
	s_add_u32 s0, s4, s0
	s_addc_u32 s1, s5, s1
	v_add_co_u32 v3, vcc_lo, s0, v3
	v_add_f32_e32 v0, v1, v5
	v_mul_f32_e32 v1, s2, v6
	v_mul_f32_e32 v5, s3, v6
	v_add_co_ci_u32_e64 v4, null, s1, v4, vcc_lo
	v_add_co_u32 v2, vcc_lo, v3, v2
	v_fmac_f32_e32 v1, s3, v0
	v_fma_f32 v0, s2, v0, -v5
	v_add_co_ci_u32_e64 v3, null, 0, v4, vcc_lo
	global_store_dwordx2 v[2:3], v[0:1], off
.LBB99_15:
	s_endpgm
	.section	.rodata,"a",@progbits
	.p2align	6, 0x0
	.amdhsa_kernel _ZL23rocblas_trmm_lTx_kernelILi16ELb0E19rocblas_complex_numIfES1_KS1_S1_Ev13rocblas_fill_17rocblas_diagonal_iiT2_lPT3_llS7_llPT4_lli
		.amdhsa_group_segment_fixed_size 4096
		.amdhsa_private_segment_fixed_size 0
		.amdhsa_kernarg_size 108
		.amdhsa_user_sgpr_count 6
		.amdhsa_user_sgpr_private_segment_buffer 1
		.amdhsa_user_sgpr_dispatch_ptr 0
		.amdhsa_user_sgpr_queue_ptr 0
		.amdhsa_user_sgpr_kernarg_segment_ptr 1
		.amdhsa_user_sgpr_dispatch_id 0
		.amdhsa_user_sgpr_flat_scratch_init 0
		.amdhsa_user_sgpr_private_segment_size 0
		.amdhsa_wavefront_size32 1
		.amdhsa_uses_dynamic_stack 0
		.amdhsa_system_sgpr_private_segment_wavefront_offset 0
		.amdhsa_system_sgpr_workgroup_id_x 1
		.amdhsa_system_sgpr_workgroup_id_y 0
		.amdhsa_system_sgpr_workgroup_id_z 1
		.amdhsa_system_sgpr_workgroup_info 0
		.amdhsa_system_vgpr_workitem_id 1
		.amdhsa_next_free_vgpr 60
		.amdhsa_next_free_sgpr 28
		.amdhsa_reserve_vcc 1
		.amdhsa_reserve_flat_scratch 0
		.amdhsa_float_round_mode_32 0
		.amdhsa_float_round_mode_16_64 0
		.amdhsa_float_denorm_mode_32 3
		.amdhsa_float_denorm_mode_16_64 3
		.amdhsa_dx10_clamp 1
		.amdhsa_ieee_mode 1
		.amdhsa_fp16_overflow 0
		.amdhsa_workgroup_processor_mode 1
		.amdhsa_memory_ordered 1
		.amdhsa_forward_progress 1
		.amdhsa_shared_vgpr_count 0
		.amdhsa_exception_fp_ieee_invalid_op 0
		.amdhsa_exception_fp_denorm_src 0
		.amdhsa_exception_fp_ieee_div_zero 0
		.amdhsa_exception_fp_ieee_overflow 0
		.amdhsa_exception_fp_ieee_underflow 0
		.amdhsa_exception_fp_ieee_inexact 0
		.amdhsa_exception_int_div_zero 0
	.end_amdhsa_kernel
	.section	.text._ZL23rocblas_trmm_lTx_kernelILi16ELb0E19rocblas_complex_numIfES1_KS1_S1_Ev13rocblas_fill_17rocblas_diagonal_iiT2_lPT3_llS7_llPT4_lli,"axG",@progbits,_ZL23rocblas_trmm_lTx_kernelILi16ELb0E19rocblas_complex_numIfES1_KS1_S1_Ev13rocblas_fill_17rocblas_diagonal_iiT2_lPT3_llS7_llPT4_lli,comdat
.Lfunc_end99:
	.size	_ZL23rocblas_trmm_lTx_kernelILi16ELb0E19rocblas_complex_numIfES1_KS1_S1_Ev13rocblas_fill_17rocblas_diagonal_iiT2_lPT3_llS7_llPT4_lli, .Lfunc_end99-_ZL23rocblas_trmm_lTx_kernelILi16ELb0E19rocblas_complex_numIfES1_KS1_S1_Ev13rocblas_fill_17rocblas_diagonal_iiT2_lPT3_llS7_llPT4_lli
                                        ; -- End function
	.set _ZL23rocblas_trmm_lTx_kernelILi16ELb0E19rocblas_complex_numIfES1_KS1_S1_Ev13rocblas_fill_17rocblas_diagonal_iiT2_lPT3_llS7_llPT4_lli.num_vgpr, 60
	.set _ZL23rocblas_trmm_lTx_kernelILi16ELb0E19rocblas_complex_numIfES1_KS1_S1_Ev13rocblas_fill_17rocblas_diagonal_iiT2_lPT3_llS7_llPT4_lli.num_agpr, 0
	.set _ZL23rocblas_trmm_lTx_kernelILi16ELb0E19rocblas_complex_numIfES1_KS1_S1_Ev13rocblas_fill_17rocblas_diagonal_iiT2_lPT3_llS7_llPT4_lli.numbered_sgpr, 28
	.set _ZL23rocblas_trmm_lTx_kernelILi16ELb0E19rocblas_complex_numIfES1_KS1_S1_Ev13rocblas_fill_17rocblas_diagonal_iiT2_lPT3_llS7_llPT4_lli.num_named_barrier, 0
	.set _ZL23rocblas_trmm_lTx_kernelILi16ELb0E19rocblas_complex_numIfES1_KS1_S1_Ev13rocblas_fill_17rocblas_diagonal_iiT2_lPT3_llS7_llPT4_lli.private_seg_size, 0
	.set _ZL23rocblas_trmm_lTx_kernelILi16ELb0E19rocblas_complex_numIfES1_KS1_S1_Ev13rocblas_fill_17rocblas_diagonal_iiT2_lPT3_llS7_llPT4_lli.uses_vcc, 1
	.set _ZL23rocblas_trmm_lTx_kernelILi16ELb0E19rocblas_complex_numIfES1_KS1_S1_Ev13rocblas_fill_17rocblas_diagonal_iiT2_lPT3_llS7_llPT4_lli.uses_flat_scratch, 0
	.set _ZL23rocblas_trmm_lTx_kernelILi16ELb0E19rocblas_complex_numIfES1_KS1_S1_Ev13rocblas_fill_17rocblas_diagonal_iiT2_lPT3_llS7_llPT4_lli.has_dyn_sized_stack, 0
	.set _ZL23rocblas_trmm_lTx_kernelILi16ELb0E19rocblas_complex_numIfES1_KS1_S1_Ev13rocblas_fill_17rocblas_diagonal_iiT2_lPT3_llS7_llPT4_lli.has_recursion, 0
	.set _ZL23rocblas_trmm_lTx_kernelILi16ELb0E19rocblas_complex_numIfES1_KS1_S1_Ev13rocblas_fill_17rocblas_diagonal_iiT2_lPT3_llS7_llPT4_lli.has_indirect_call, 0
	.section	.AMDGPU.csdata,"",@progbits
; Kernel info:
; codeLenInByte = 1392
; TotalNumSgprs: 30
; NumVgprs: 60
; ScratchSize: 0
; MemoryBound: 0
; FloatMode: 240
; IeeeMode: 1
; LDSByteSize: 4096 bytes/workgroup (compile time only)
; SGPRBlocks: 0
; VGPRBlocks: 7
; NumSGPRsForWavesPerEU: 30
; NumVGPRsForWavesPerEU: 60
; Occupancy: 16
; WaveLimiterHint : 0
; COMPUTE_PGM_RSRC2:SCRATCH_EN: 0
; COMPUTE_PGM_RSRC2:USER_SGPR: 6
; COMPUTE_PGM_RSRC2:TRAP_HANDLER: 0
; COMPUTE_PGM_RSRC2:TGID_X_EN: 1
; COMPUTE_PGM_RSRC2:TGID_Y_EN: 0
; COMPUTE_PGM_RSRC2:TGID_Z_EN: 1
; COMPUTE_PGM_RSRC2:TIDIG_COMP_CNT: 1
	.section	.text._ZL23rocblas_trmm_lTx_kernelILi16ELb1E19rocblas_complex_numIfEPKS1_S2_S1_Ev13rocblas_fill_17rocblas_diagonal_iiT2_lPT3_llS8_llPT4_lli,"axG",@progbits,_ZL23rocblas_trmm_lTx_kernelILi16ELb1E19rocblas_complex_numIfEPKS1_S2_S1_Ev13rocblas_fill_17rocblas_diagonal_iiT2_lPT3_llS8_llPT4_lli,comdat
	.globl	_ZL23rocblas_trmm_lTx_kernelILi16ELb1E19rocblas_complex_numIfEPKS1_S2_S1_Ev13rocblas_fill_17rocblas_diagonal_iiT2_lPT3_llS8_llPT4_lli ; -- Begin function _ZL23rocblas_trmm_lTx_kernelILi16ELb1E19rocblas_complex_numIfEPKS1_S2_S1_Ev13rocblas_fill_17rocblas_diagonal_iiT2_lPT3_llS8_llPT4_lli
	.p2align	8
	.type	_ZL23rocblas_trmm_lTx_kernelILi16ELb1E19rocblas_complex_numIfEPKS1_S2_S1_Ev13rocblas_fill_17rocblas_diagonal_iiT2_lPT3_llS8_llPT4_lli,@function
_ZL23rocblas_trmm_lTx_kernelILi16ELb1E19rocblas_complex_numIfEPKS1_S2_S1_Ev13rocblas_fill_17rocblas_diagonal_iiT2_lPT3_llS8_llPT4_lli: ; @_ZL23rocblas_trmm_lTx_kernelILi16ELb1E19rocblas_complex_numIfEPKS1_S2_S1_Ev13rocblas_fill_17rocblas_diagonal_iiT2_lPT3_llS8_llPT4_lli
; %bb.0:
	s_load_dwordx16 s[8:23], s[4:5], 0x10
	s_waitcnt lgkmcnt(0)
	s_mul_i32 s1, s11, s7
	s_mul_hi_u32 s2, s10, s7
	s_mul_i32 s0, s10, s7
	s_add_i32 s1, s2, s1
	s_lshl_b64 s[0:1], s[0:1], 3
	s_add_u32 s0, s8, s0
	s_addc_u32 s1, s9, s1
	s_load_dwordx2 s[24:25], s[0:1], 0x0
	s_waitcnt lgkmcnt(0)
	v_cmp_neq_f32_e64 s0, s24, 0
	v_cmp_neq_f32_e64 s1, s25, 0
	s_or_b32 s0, s0, s1
	s_andn2_b32 vcc_lo, exec_lo, s0
	s_mov_b32 s0, 0
	s_cbranch_vccnz .LBB100_15
; %bb.1:
	s_load_dwordx4 s[8:11], s[4:5], 0x0
	v_lshlrev_b32_e32 v3, 4, v1
	s_mov_b32 s1, s0
	v_lshlrev_b32_e32 v2, 3, v0
	v_mov_b32_e32 v6, s1
	v_mov_b32_e32 v5, s0
	v_add_lshl_u32 v4, v3, v0, 3
	ds_write2st64_b64 v4, v[5:6], v[5:6] offset1:4
	s_waitcnt lgkmcnt(0)
	s_barrier
	buffer_gl0_inv
	v_cmp_gt_i32_e64 s0, s10, v1
	v_cmp_gt_i32_e32 vcc_lo, s10, v0
	s_and_b32 s0, s0, vcc_lo
	s_and_saveexec_b32 s1, s0
	s_cbranch_execz .LBB100_3
; %bb.2:
	v_mad_u64_u32 v[5:6], null, s14, v1, 0
	s_mul_i32 s0, s17, s7
	s_mul_hi_u32 s3, s16, s7
	s_mul_i32 s2, s16, s7
	s_add_i32 s3, s3, s0
	s_lshl_b64 s[2:3], s[2:3], 3
	v_mad_u64_u32 v[6:7], null, s15, v1, v[6:7]
	s_add_u32 s0, s12, s2
	s_addc_u32 s2, s13, s3
	v_lshlrev_b32_e32 v7, 3, v1
	v_lshlrev_b64 v[5:6], 3, v[5:6]
	v_lshl_add_u32 v7, v0, 7, v7
	v_add_co_u32 v5, s0, s0, v5
	v_add_co_ci_u32_e64 v6, null, s2, v6, s0
	v_add_co_u32 v5, s0, v5, v2
	v_add_co_ci_u32_e64 v6, null, 0, v6, s0
	global_load_dwordx2 v[5:6], v[5:6], off
	s_waitcnt vmcnt(0)
	v_xor_b32_e32 v6, 0x80000000, v6
	ds_write_b64 v7, v[5:6]
.LBB100_3:
	s_or_b32 exec_lo, exec_lo, s1
	s_add_i32 s0, s11, -1
	s_ashr_i32 s1, s0, 31
	s_lshr_b32 s1, s1, 28
	s_add_i32 s0, s0, s1
	s_and_b32 s1, s0, -16
	s_ashr_i32 s0, s0, 4
	s_sub_i32 s1, s11, s1
	s_cmp_ge_i32 s6, s0
	s_cselect_b32 s0, s1, 16
	s_lshl_b32 s6, s6, 4
	v_cmp_gt_i32_e64 s0, s0, v1
	s_ashr_i32 s10, s6, 31
	s_and_b32 s0, vcc_lo, s0
	s_and_saveexec_b32 s1, s0
	s_cbranch_execz .LBB100_5
; %bb.4:
	v_mad_u64_u32 v[5:6], null, s20, v1, 0
	s_mul_i32 s3, s23, s7
	s_mul_hi_u32 s11, s22, s7
	s_mul_i32 s2, s22, s7
	s_add_i32 s3, s11, s3
	s_mul_i32 s12, s20, s10
	s_lshl_b64 s[2:3], s[2:3], 3
	v_mad_u64_u32 v[6:7], null, s21, v1, v[6:7]
	s_mul_hi_u32 s11, s20, s6
	s_add_u32 s14, s18, s2
	s_mul_i32 s13, s21, s6
	s_addc_u32 s15, s19, s3
	s_add_i32 s3, s11, s12
	s_mul_i32 s2, s20, s6
	s_add_i32 s3, s3, s13
	v_lshlrev_b64 v[5:6], 3, v[5:6]
	s_lshl_b64 s[2:3], s[2:3], 3
	v_add_nc_u32_e32 v7, 0x800, v4
	s_add_u32 s2, s14, s2
	s_addc_u32 s3, s15, s3
	v_add_co_u32 v5, vcc_lo, s2, v5
	v_add_co_ci_u32_e64 v6, null, s3, v6, vcc_lo
	v_add_co_u32 v5, vcc_lo, v5, v2
	v_add_co_ci_u32_e64 v6, null, 0, v6, vcc_lo
	global_load_dwordx2 v[5:6], v[5:6], off
	s_waitcnt vmcnt(0)
	ds_write_b64 v7, v[5:6]
.LBB100_5:
	s_or_b32 exec_lo, exec_lo, s1
	v_cmp_eq_u32_e32 vcc_lo, v1, v0
	s_cmpk_eq_i32 s9, 0x84
	s_cselect_b32 s1, -1, 0
	s_and_b32 s2, vcc_lo, s1
	s_and_saveexec_b32 s1, s2
; %bb.6:
	v_mov_b32_e32 v5, 1.0
	v_mov_b32_e32 v6, 0
	ds_write_b64 v4, v[5:6]
; %bb.7:
	s_or_b32 exec_lo, exec_lo, s1
	s_cmpk_lg_i32 s8, 0x7a
	s_waitcnt lgkmcnt(0)
	s_barrier
	buffer_gl0_inv
	s_cbranch_scc0 .LBB100_9
; %bb.8:
	v_cmp_lt_u32_e32 vcc_lo, v0, v1
	s_and_b32 s1, vcc_lo, exec_lo
	s_cbranch_execz .LBB100_10
	s_branch .LBB100_11
.LBB100_9:
	s_mov_b32 s1, 0
.LBB100_10:
	v_cmp_gt_u32_e32 vcc_lo, v0, v1
	s_andn2_b32 s1, s1, exec_lo
	s_and_b32 s2, vcc_lo, exec_lo
	s_or_b32 s1, s1, s2
.LBB100_11:
	s_and_saveexec_b32 s2, s1
; %bb.12:
	v_mov_b32_e32 v5, 0
	v_mov_b32_e32 v6, v5
	ds_write_b64 v4, v[5:6]
; %bb.13:
	s_or_b32 exec_lo, exec_lo, s2
	s_waitcnt lgkmcnt(0)
	s_barrier
	buffer_gl0_inv
	s_and_saveexec_b32 s1, s0
	s_cbranch_execz .LBB100_15
; %bb.14:
	v_lshlrev_b32_e32 v0, 3, v3
	ds_read2_b64 v[3:6], v2 offset1:16
	ds_read_b128 v[7:10], v0 offset:2048
	s_clause 0x1
	s_load_dwordx4 s[0:3], s[4:5], 0x50
	s_load_dwordx2 s[4:5], s[4:5], 0x60
	ds_read2_b64 v[11:14], v2 offset0:32 offset1:48
	ds_read2_b64 v[15:18], v2 offset0:64 offset1:80
	;; [unrolled: 1-line block ×4, first 2 shown]
	ds_read_b128 v[27:30], v0 offset:2064
	ds_read2_b64 v[31:34], v2 offset0:160 offset1:176
	ds_read2_b64 v[35:38], v2 offset0:192 offset1:208
	;; [unrolled: 1-line block ×3, first 2 shown]
	ds_read_b128 v[43:46], v0 offset:2080
	ds_read_b128 v[47:50], v0 offset:2096
	s_waitcnt lgkmcnt(0)
	v_mul_f32_e32 v55, v27, v12
	v_mul_f32_e32 v51, v7, v4
	;; [unrolled: 1-line block ×6, first 2 shown]
	v_fmac_f32_e32 v51, v8, v3
	v_fmac_f32_e32 v52, v10, v5
	v_mul_f32_e32 v12, v28, v12
	v_mul_f32_e32 v14, v30, v14
	v_fmac_f32_e32 v55, v28, v11
	v_add_f32_e32 v51, 0, v51
	v_fma_f32 v53, v7, v3, -v4
	v_fma_f32 v54, v9, v5, -v6
	ds_read_b128 v[3:6], v0 offset:2112
	ds_read_b128 v[7:10], v0 offset:2128
	v_fmac_f32_e32 v56, v30, v13
	v_add_f32_e32 v51, v51, v52
	v_fma_f32 v57, v27, v11, -v12
	v_fma_f32 v58, v29, v13, -v14
	ds_read_b128 v[11:14], v0 offset:2144
	ds_read_b128 v[27:30], v0 offset:2160
	v_mul_f32_e32 v0, v43, v16
	v_add_f32_e32 v51, v51, v55
	v_add_f32_e32 v53, 0, v53
	v_mul_f32_e32 v52, v45, v18
	v_mul_f32_e32 v55, v47, v20
	v_fmac_f32_e32 v0, v44, v15
	v_add_f32_e32 v51, v51, v56
	v_add_f32_e32 v53, v53, v54
	v_fmac_f32_e32 v52, v46, v17
	v_mul_f32_e32 v16, v44, v16
	v_mul_f32_e32 v56, v49, v22
	v_add_f32_e32 v0, v51, v0
	v_add_f32_e32 v53, v53, v57
	v_fmac_f32_e32 v55, v48, v19
	v_mul_f32_e32 v18, v46, v18
	v_fma_f32 v15, v43, v15, -v16
	v_add_f32_e32 v0, v0, v52
	v_add_f32_e32 v52, v53, v58
	s_waitcnt lgkmcnt(3)
	v_mul_f32_e32 v59, v3, v24
	v_fmac_f32_e32 v56, v50, v21
	v_mul_f32_e32 v16, v48, v20
	v_add_f32_e32 v0, v0, v55
	v_fma_f32 v17, v45, v17, -v18
	v_add_f32_e32 v15, v52, v15
	v_mul_f32_e32 v51, v5, v26
	v_fmac_f32_e32 v59, v4, v23
	v_add_f32_e32 v0, v0, v56
	v_mul_f32_e32 v18, v50, v22
	v_fma_f32 v16, v47, v19, -v16
	v_add_f32_e32 v15, v15, v17
	s_waitcnt lgkmcnt(2)
	v_mul_f32_e32 v54, v7, v32
	v_fmac_f32_e32 v51, v6, v25
	v_add_f32_e32 v0, v0, v59
	v_mul_f32_e32 v4, v4, v24
	v_fma_f32 v17, v49, v21, -v18
	v_add_f32_e32 v15, v15, v16
	v_mul_f32_e32 v44, v9, v34
	v_fmac_f32_e32 v54, v8, v31
	v_add_f32_e32 v0, v0, v51
	v_mul_f32_e32 v6, v6, v26
	v_fma_f32 v3, v3, v23, -v4
	v_add_f32_e32 v4, v15, v17
	v_fmac_f32_e32 v44, v10, v33
	v_add_f32_e32 v0, v0, v54
	s_waitcnt lgkmcnt(1)
	v_mul_f32_e32 v15, v11, v36
	s_mul_i32 s5, s5, s7
	v_add_f32_e32 v3, v4, v3
	v_fma_f32 v4, v5, v25, -v6
	v_mul_f32_e32 v5, v8, v32
	v_add_f32_e32 v0, v0, v44
	v_fmac_f32_e32 v15, v12, v35
	v_mul_f32_e32 v6, v13, v38
	v_add_f32_e32 v3, v3, v4
	v_fma_f32 v4, v7, v31, -v5
	v_mul_f32_e32 v5, v10, v34
	v_add_f32_e32 v0, v0, v15
	v_fmac_f32_e32 v6, v14, v37
	v_mul_f32_e32 v8, v14, v38
	v_add_f32_e32 v3, v3, v4
	v_fma_f32 v4, v9, v33, -v5
	v_mul_f32_e32 v5, v12, v36
	v_add_f32_e32 v0, v0, v6
	s_waitcnt lgkmcnt(0)
	v_mul_f32_e32 v6, v27, v40
	s_mul_hi_u32 s8, s4, s7
	v_add_f32_e32 v7, v3, v4
	v_mad_u64_u32 v[3:4], null, s2, v1, 0
	v_fmac_f32_e32 v6, v28, v39
	v_fma_f32 v5, v11, v35, -v5
	s_mul_i32 s4, s4, s7
	s_add_i32 s5, s8, s5
	v_mul_f32_e32 v9, v29, v42
	v_add_f32_e32 v6, v0, v6
	v_mov_b32_e32 v0, v4
	v_add_f32_e32 v5, v7, v5
	v_fma_f32 v7, v13, v37, -v8
	v_mul_f32_e32 v8, v28, v40
	s_lshl_b64 s[4:5], s[4:5], 3
	v_mad_u64_u32 v[0:1], null, s3, v1, v[0:1]
	v_add_f32_e32 v4, v5, v7
	v_fma_f32 v5, v27, v39, -v8
	s_add_u32 s4, s0, s4
	s_addc_u32 s5, s1, s5
	s_mul_i32 s0, s2, s10
	s_mul_hi_u32 s1, s2, s6
	v_add_f32_e32 v1, v4, v5
	v_mov_b32_e32 v4, v0
	v_mul_f32_e32 v7, v30, v42
	v_fmac_f32_e32 v9, v30, v41
	s_add_i32 s0, s1, s0
	s_mul_i32 s1, s3, s6
	v_lshlrev_b64 v[3:4], 3, v[3:4]
	s_add_i32 s1, s0, s1
	s_mul_i32 s0, s2, s6
	v_fma_f32 v5, v29, v41, -v7
	s_lshl_b64 s[0:1], s[0:1], 3
	v_add_f32_e32 v6, v6, v9
	s_add_u32 s0, s4, s0
	s_addc_u32 s1, s5, s1
	v_add_co_u32 v3, vcc_lo, s0, v3
	v_add_f32_e32 v0, v1, v5
	v_mul_f32_e32 v1, s24, v6
	v_mul_f32_e32 v5, s25, v6
	v_add_co_ci_u32_e64 v4, null, s1, v4, vcc_lo
	v_add_co_u32 v2, vcc_lo, v3, v2
	v_fmac_f32_e32 v1, s25, v0
	v_fma_f32 v0, s24, v0, -v5
	v_add_co_ci_u32_e64 v3, null, 0, v4, vcc_lo
	global_store_dwordx2 v[2:3], v[0:1], off
.LBB100_15:
	s_endpgm
	.section	.rodata,"a",@progbits
	.p2align	6, 0x0
	.amdhsa_kernel _ZL23rocblas_trmm_lTx_kernelILi16ELb1E19rocblas_complex_numIfEPKS1_S2_S1_Ev13rocblas_fill_17rocblas_diagonal_iiT2_lPT3_llS8_llPT4_lli
		.amdhsa_group_segment_fixed_size 4096
		.amdhsa_private_segment_fixed_size 0
		.amdhsa_kernarg_size 108
		.amdhsa_user_sgpr_count 6
		.amdhsa_user_sgpr_private_segment_buffer 1
		.amdhsa_user_sgpr_dispatch_ptr 0
		.amdhsa_user_sgpr_queue_ptr 0
		.amdhsa_user_sgpr_kernarg_segment_ptr 1
		.amdhsa_user_sgpr_dispatch_id 0
		.amdhsa_user_sgpr_flat_scratch_init 0
		.amdhsa_user_sgpr_private_segment_size 0
		.amdhsa_wavefront_size32 1
		.amdhsa_uses_dynamic_stack 0
		.amdhsa_system_sgpr_private_segment_wavefront_offset 0
		.amdhsa_system_sgpr_workgroup_id_x 1
		.amdhsa_system_sgpr_workgroup_id_y 0
		.amdhsa_system_sgpr_workgroup_id_z 1
		.amdhsa_system_sgpr_workgroup_info 0
		.amdhsa_system_vgpr_workitem_id 1
		.amdhsa_next_free_vgpr 60
		.amdhsa_next_free_sgpr 26
		.amdhsa_reserve_vcc 1
		.amdhsa_reserve_flat_scratch 0
		.amdhsa_float_round_mode_32 0
		.amdhsa_float_round_mode_16_64 0
		.amdhsa_float_denorm_mode_32 3
		.amdhsa_float_denorm_mode_16_64 3
		.amdhsa_dx10_clamp 1
		.amdhsa_ieee_mode 1
		.amdhsa_fp16_overflow 0
		.amdhsa_workgroup_processor_mode 1
		.amdhsa_memory_ordered 1
		.amdhsa_forward_progress 1
		.amdhsa_shared_vgpr_count 0
		.amdhsa_exception_fp_ieee_invalid_op 0
		.amdhsa_exception_fp_denorm_src 0
		.amdhsa_exception_fp_ieee_div_zero 0
		.amdhsa_exception_fp_ieee_overflow 0
		.amdhsa_exception_fp_ieee_underflow 0
		.amdhsa_exception_fp_ieee_inexact 0
		.amdhsa_exception_int_div_zero 0
	.end_amdhsa_kernel
	.section	.text._ZL23rocblas_trmm_lTx_kernelILi16ELb1E19rocblas_complex_numIfEPKS1_S2_S1_Ev13rocblas_fill_17rocblas_diagonal_iiT2_lPT3_llS8_llPT4_lli,"axG",@progbits,_ZL23rocblas_trmm_lTx_kernelILi16ELb1E19rocblas_complex_numIfEPKS1_S2_S1_Ev13rocblas_fill_17rocblas_diagonal_iiT2_lPT3_llS8_llPT4_lli,comdat
.Lfunc_end100:
	.size	_ZL23rocblas_trmm_lTx_kernelILi16ELb1E19rocblas_complex_numIfEPKS1_S2_S1_Ev13rocblas_fill_17rocblas_diagonal_iiT2_lPT3_llS8_llPT4_lli, .Lfunc_end100-_ZL23rocblas_trmm_lTx_kernelILi16ELb1E19rocblas_complex_numIfEPKS1_S2_S1_Ev13rocblas_fill_17rocblas_diagonal_iiT2_lPT3_llS8_llPT4_lli
                                        ; -- End function
	.set _ZL23rocblas_trmm_lTx_kernelILi16ELb1E19rocblas_complex_numIfEPKS1_S2_S1_Ev13rocblas_fill_17rocblas_diagonal_iiT2_lPT3_llS8_llPT4_lli.num_vgpr, 60
	.set _ZL23rocblas_trmm_lTx_kernelILi16ELb1E19rocblas_complex_numIfEPKS1_S2_S1_Ev13rocblas_fill_17rocblas_diagonal_iiT2_lPT3_llS8_llPT4_lli.num_agpr, 0
	.set _ZL23rocblas_trmm_lTx_kernelILi16ELb1E19rocblas_complex_numIfEPKS1_S2_S1_Ev13rocblas_fill_17rocblas_diagonal_iiT2_lPT3_llS8_llPT4_lli.numbered_sgpr, 26
	.set _ZL23rocblas_trmm_lTx_kernelILi16ELb1E19rocblas_complex_numIfEPKS1_S2_S1_Ev13rocblas_fill_17rocblas_diagonal_iiT2_lPT3_llS8_llPT4_lli.num_named_barrier, 0
	.set _ZL23rocblas_trmm_lTx_kernelILi16ELb1E19rocblas_complex_numIfEPKS1_S2_S1_Ev13rocblas_fill_17rocblas_diagonal_iiT2_lPT3_llS8_llPT4_lli.private_seg_size, 0
	.set _ZL23rocblas_trmm_lTx_kernelILi16ELb1E19rocblas_complex_numIfEPKS1_S2_S1_Ev13rocblas_fill_17rocblas_diagonal_iiT2_lPT3_llS8_llPT4_lli.uses_vcc, 1
	.set _ZL23rocblas_trmm_lTx_kernelILi16ELb1E19rocblas_complex_numIfEPKS1_S2_S1_Ev13rocblas_fill_17rocblas_diagonal_iiT2_lPT3_llS8_llPT4_lli.uses_flat_scratch, 0
	.set _ZL23rocblas_trmm_lTx_kernelILi16ELb1E19rocblas_complex_numIfEPKS1_S2_S1_Ev13rocblas_fill_17rocblas_diagonal_iiT2_lPT3_llS8_llPT4_lli.has_dyn_sized_stack, 0
	.set _ZL23rocblas_trmm_lTx_kernelILi16ELb1E19rocblas_complex_numIfEPKS1_S2_S1_Ev13rocblas_fill_17rocblas_diagonal_iiT2_lPT3_llS8_llPT4_lli.has_recursion, 0
	.set _ZL23rocblas_trmm_lTx_kernelILi16ELb1E19rocblas_complex_numIfEPKS1_S2_S1_Ev13rocblas_fill_17rocblas_diagonal_iiT2_lPT3_llS8_llPT4_lli.has_indirect_call, 0
	.section	.AMDGPU.csdata,"",@progbits
; Kernel info:
; codeLenInByte = 1440
; TotalNumSgprs: 28
; NumVgprs: 60
; ScratchSize: 0
; MemoryBound: 0
; FloatMode: 240
; IeeeMode: 1
; LDSByteSize: 4096 bytes/workgroup (compile time only)
; SGPRBlocks: 0
; VGPRBlocks: 7
; NumSGPRsForWavesPerEU: 28
; NumVGPRsForWavesPerEU: 60
; Occupancy: 16
; WaveLimiterHint : 0
; COMPUTE_PGM_RSRC2:SCRATCH_EN: 0
; COMPUTE_PGM_RSRC2:USER_SGPR: 6
; COMPUTE_PGM_RSRC2:TRAP_HANDLER: 0
; COMPUTE_PGM_RSRC2:TGID_X_EN: 1
; COMPUTE_PGM_RSRC2:TGID_Y_EN: 0
; COMPUTE_PGM_RSRC2:TGID_Z_EN: 1
; COMPUTE_PGM_RSRC2:TIDIG_COMP_CNT: 1
	.section	.text._ZL23rocblas_trmm_lTx_kernelILi16ELb1E19rocblas_complex_numIfES1_KS1_S1_Ev13rocblas_fill_17rocblas_diagonal_iiT2_lPT3_llS7_llPT4_lli,"axG",@progbits,_ZL23rocblas_trmm_lTx_kernelILi16ELb1E19rocblas_complex_numIfES1_KS1_S1_Ev13rocblas_fill_17rocblas_diagonal_iiT2_lPT3_llS7_llPT4_lli,comdat
	.globl	_ZL23rocblas_trmm_lTx_kernelILi16ELb1E19rocblas_complex_numIfES1_KS1_S1_Ev13rocblas_fill_17rocblas_diagonal_iiT2_lPT3_llS7_llPT4_lli ; -- Begin function _ZL23rocblas_trmm_lTx_kernelILi16ELb1E19rocblas_complex_numIfES1_KS1_S1_Ev13rocblas_fill_17rocblas_diagonal_iiT2_lPT3_llS7_llPT4_lli
	.p2align	8
	.type	_ZL23rocblas_trmm_lTx_kernelILi16ELb1E19rocblas_complex_numIfES1_KS1_S1_Ev13rocblas_fill_17rocblas_diagonal_iiT2_lPT3_llS7_llPT4_lli,@function
_ZL23rocblas_trmm_lTx_kernelILi16ELb1E19rocblas_complex_numIfES1_KS1_S1_Ev13rocblas_fill_17rocblas_diagonal_iiT2_lPT3_llS7_llPT4_lli: ; @_ZL23rocblas_trmm_lTx_kernelILi16ELb1E19rocblas_complex_numIfES1_KS1_S1_Ev13rocblas_fill_17rocblas_diagonal_iiT2_lPT3_llS7_llPT4_lli
; %bb.0:
	s_load_dwordx2 s[2:3], s[4:5], 0x10
	s_waitcnt lgkmcnt(0)
	v_cmp_neq_f32_e64 s0, s2, 0
	v_cmp_neq_f32_e64 s1, s3, 0
	s_or_b32 s0, s0, s1
	s_andn2_b32 vcc_lo, exec_lo, s0
	s_mov_b32 s0, 0
	s_cbranch_vccnz .LBB101_15
; %bb.1:
	s_clause 0x1
	s_load_dwordx4 s[24:27], s[4:5], 0x0
	s_load_dwordx16 s[8:23], s[4:5], 0x20
	v_lshlrev_b32_e32 v3, 4, v1
	s_mov_b32 s1, s0
	v_lshlrev_b32_e32 v2, 3, v0
	v_mov_b32_e32 v6, s1
	v_mov_b32_e32 v5, s0
	v_add_lshl_u32 v4, v3, v0, 3
	ds_write2st64_b64 v4, v[5:6], v[5:6] offset1:4
	s_waitcnt lgkmcnt(0)
	s_barrier
	buffer_gl0_inv
	v_cmp_gt_i32_e64 s0, s26, v1
	v_cmp_gt_i32_e32 vcc_lo, s26, v0
	s_and_b32 s0, s0, vcc_lo
	s_and_saveexec_b32 s1, s0
	s_cbranch_execz .LBB101_3
; %bb.2:
	v_mad_u64_u32 v[5:6], null, s10, v1, 0
	s_mul_i32 s0, s13, s7
	s_mul_i32 s10, s12, s7
	v_mad_u64_u32 v[6:7], null, s11, v1, v[6:7]
	s_mul_hi_u32 s11, s12, s7
	v_lshlrev_b32_e32 v7, 3, v1
	s_add_i32 s11, s11, s0
	s_lshl_b64 s[10:11], s[10:11], 3
	s_add_u32 s0, s8, s10
	v_lshlrev_b64 v[5:6], 3, v[5:6]
	s_addc_u32 s8, s9, s11
	v_lshl_add_u32 v7, v0, 7, v7
	v_add_co_u32 v5, s0, s0, v5
	v_add_co_ci_u32_e64 v6, null, s8, v6, s0
	v_add_co_u32 v5, s0, v5, v2
	v_add_co_ci_u32_e64 v6, null, 0, v6, s0
	global_load_dwordx2 v[5:6], v[5:6], off
	s_waitcnt vmcnt(0)
	v_xor_b32_e32 v6, 0x80000000, v6
	ds_write_b64 v7, v[5:6]
.LBB101_3:
	s_or_b32 exec_lo, exec_lo, s1
	s_add_i32 s0, s27, -1
	s_ashr_i32 s1, s0, 31
	s_lshr_b32 s1, s1, 28
	s_add_i32 s0, s0, s1
	s_and_b32 s1, s0, -16
	s_ashr_i32 s0, s0, 4
	s_sub_i32 s1, s27, s1
	s_cmp_ge_i32 s6, s0
	s_cselect_b32 s0, s1, 16
	s_lshl_b32 s6, s6, 4
	v_cmp_gt_i32_e64 s0, s0, v1
	s_ashr_i32 s8, s6, 31
	s_and_b32 s0, vcc_lo, s0
	s_and_saveexec_b32 s1, s0
	s_cbranch_execz .LBB101_5
; %bb.4:
	v_mad_u64_u32 v[5:6], null, s16, v1, 0
	s_mul_i32 s9, s19, s7
	s_mul_hi_u32 s11, s18, s7
	s_mul_i32 s10, s18, s7
	s_add_i32 s11, s11, s9
	s_mul_i32 s12, s16, s8
	s_lshl_b64 s[10:11], s[10:11], 3
	v_mad_u64_u32 v[6:7], null, s17, v1, v[6:7]
	s_mul_hi_u32 s9, s16, s6
	s_add_u32 s14, s14, s10
	s_mul_i32 s13, s17, s6
	s_addc_u32 s15, s15, s11
	s_add_i32 s9, s9, s12
	s_mul_i32 s10, s16, s6
	s_add_i32 s11, s9, s13
	v_lshlrev_b64 v[5:6], 3, v[5:6]
	s_lshl_b64 s[10:11], s[10:11], 3
	v_add_nc_u32_e32 v7, 0x800, v4
	s_add_u32 s9, s14, s10
	s_addc_u32 s10, s15, s11
	v_add_co_u32 v5, vcc_lo, s9, v5
	v_add_co_ci_u32_e64 v6, null, s10, v6, vcc_lo
	v_add_co_u32 v5, vcc_lo, v5, v2
	v_add_co_ci_u32_e64 v6, null, 0, v6, vcc_lo
	global_load_dwordx2 v[5:6], v[5:6], off
	s_waitcnt vmcnt(0)
	ds_write_b64 v7, v[5:6]
.LBB101_5:
	s_or_b32 exec_lo, exec_lo, s1
	v_cmp_eq_u32_e32 vcc_lo, v1, v0
	s_cmpk_eq_i32 s25, 0x84
	s_cselect_b32 s1, -1, 0
	s_and_b32 s9, vcc_lo, s1
	s_and_saveexec_b32 s1, s9
; %bb.6:
	v_mov_b32_e32 v5, 1.0
	v_mov_b32_e32 v6, 0
	ds_write_b64 v4, v[5:6]
; %bb.7:
	s_or_b32 exec_lo, exec_lo, s1
	s_cmpk_lg_i32 s24, 0x7a
	s_waitcnt lgkmcnt(0)
	s_barrier
	buffer_gl0_inv
	s_cbranch_scc0 .LBB101_9
; %bb.8:
	v_cmp_lt_u32_e32 vcc_lo, v0, v1
	s_and_b32 s1, vcc_lo, exec_lo
	s_cbranch_execz .LBB101_10
	s_branch .LBB101_11
.LBB101_9:
	s_mov_b32 s1, 0
.LBB101_10:
	v_cmp_gt_u32_e32 vcc_lo, v0, v1
	s_andn2_b32 s1, s1, exec_lo
	s_and_b32 s9, vcc_lo, exec_lo
	s_or_b32 s1, s1, s9
.LBB101_11:
	s_and_saveexec_b32 s9, s1
; %bb.12:
	v_mov_b32_e32 v5, 0
	v_mov_b32_e32 v6, v5
	ds_write_b64 v4, v[5:6]
; %bb.13:
	s_or_b32 exec_lo, exec_lo, s9
	s_waitcnt lgkmcnt(0)
	s_barrier
	buffer_gl0_inv
	s_and_saveexec_b32 s1, s0
	s_cbranch_execz .LBB101_15
; %bb.14:
	v_lshlrev_b32_e32 v0, 3, v3
	s_load_dwordx2 s[0:1], s[4:5], 0x60
	ds_read2_b64 v[3:6], v2 offset1:16
	ds_read_b128 v[7:10], v0 offset:2048
	ds_read2_b64 v[11:14], v2 offset0:32 offset1:48
	ds_read2_b64 v[15:18], v2 offset0:64 offset1:80
	;; [unrolled: 1-line block ×4, first 2 shown]
	ds_read_b128 v[27:30], v0 offset:2064
	ds_read2_b64 v[31:34], v2 offset0:160 offset1:176
	ds_read2_b64 v[35:38], v2 offset0:192 offset1:208
	;; [unrolled: 1-line block ×3, first 2 shown]
	ds_read_b128 v[43:46], v0 offset:2080
	ds_read_b128 v[47:50], v0 offset:2096
	s_waitcnt lgkmcnt(0)
	s_mul_i32 s1, s1, s7
	v_mul_f32_e32 v55, v27, v12
	v_mul_f32_e32 v56, v29, v14
	;; [unrolled: 1-line block ×7, first 2 shown]
	v_fmac_f32_e32 v51, v8, v3
	v_fmac_f32_e32 v52, v10, v5
	v_fma_f32 v53, v7, v3, -v4
	v_mul_f32_e32 v14, v30, v14
	v_fmac_f32_e32 v55, v28, v11
	v_add_f32_e32 v51, 0, v51
	v_fma_f32 v54, v9, v5, -v6
	ds_read_b128 v[3:6], v0 offset:2112
	ds_read_b128 v[7:10], v0 offset:2128
	v_fmac_f32_e32 v56, v30, v13
	v_fma_f32 v57, v27, v11, -v12
	v_add_f32_e32 v51, v51, v52
	v_fma_f32 v58, v29, v13, -v14
	ds_read_b128 v[11:14], v0 offset:2144
	ds_read_b128 v[27:30], v0 offset:2160
	v_mul_f32_e32 v0, v43, v16
	v_add_f32_e32 v53, 0, v53
	v_add_f32_e32 v51, v51, v55
	v_mul_f32_e32 v52, v45, v18
	v_mul_f32_e32 v55, v47, v20
	v_fmac_f32_e32 v0, v44, v15
	v_add_f32_e32 v53, v53, v54
	v_add_f32_e32 v51, v51, v56
	v_fmac_f32_e32 v52, v46, v17
	v_mul_f32_e32 v16, v44, v16
	v_mul_f32_e32 v59, v49, v22
	v_add_f32_e32 v53, v53, v57
	v_add_f32_e32 v0, v51, v0
	v_fmac_f32_e32 v55, v48, v19
	v_mul_f32_e32 v18, v46, v18
	v_fma_f32 v15, v43, v15, -v16
	s_waitcnt lgkmcnt(3)
	v_mul_f32_e32 v56, v3, v24
	v_add_f32_e32 v0, v0, v52
	v_add_f32_e32 v52, v53, v58
	v_fmac_f32_e32 v59, v50, v21
	v_fma_f32 v17, v45, v17, -v18
	v_mul_f32_e32 v18, v48, v20
	v_add_f32_e32 v0, v0, v55
	v_add_f32_e32 v15, v52, v15
	v_mul_f32_e32 v54, v5, v26
	v_fmac_f32_e32 v56, v4, v23
	v_mul_f32_e32 v20, v50, v22
	v_add_f32_e32 v0, v0, v59
	v_fma_f32 v18, v47, v19, -v18
	v_add_f32_e32 v15, v15, v17
	s_waitcnt lgkmcnt(2)
	v_mul_f32_e32 v51, v7, v32
	v_fmac_f32_e32 v54, v6, v25
	v_add_f32_e32 v0, v0, v56
	v_mul_f32_e32 v4, v4, v24
	v_fma_f32 v17, v49, v21, -v20
	v_add_f32_e32 v15, v15, v18
	v_mul_f32_e32 v44, v9, v34
	v_fmac_f32_e32 v51, v8, v31
	v_add_f32_e32 v0, v0, v54
	v_mul_f32_e32 v6, v6, v26
	v_fma_f32 v3, v3, v23, -v4
	v_add_f32_e32 v4, v15, v17
	s_waitcnt lgkmcnt(1)
	v_mul_f32_e32 v16, v11, v36
	v_fmac_f32_e32 v44, v10, v33
	v_add_f32_e32 v0, v0, v51
	v_mul_f32_e32 v8, v8, v32
	v_fma_f32 v5, v5, v25, -v6
	v_add_f32_e32 v3, v4, v3
	v_fmac_f32_e32 v16, v12, v35
	v_add_f32_e32 v0, v0, v44
	v_mul_f32_e32 v4, v13, v38
	v_mul_f32_e32 v6, v10, v34
	v_add_f32_e32 v3, v3, v5
	v_fma_f32 v5, v7, v31, -v8
	v_add_f32_e32 v0, v0, v16
	v_fmac_f32_e32 v4, v14, v37
	s_waitcnt lgkmcnt(0)
	v_mul_f32_e32 v7, v27, v40
	v_mul_f32_e32 v8, v14, v38
	v_add_f32_e32 v3, v3, v5
	v_fma_f32 v5, v9, v33, -v6
	v_add_f32_e32 v0, v0, v4
	v_mul_f32_e32 v6, v12, v36
	v_fmac_f32_e32 v7, v28, v39
	s_mul_hi_u32 s4, s0, s7
	v_add_f32_e32 v5, v3, v5
	v_mad_u64_u32 v[3:4], null, s22, v1, 0
	v_fma_f32 v6, v11, v35, -v6
	v_add_f32_e32 v7, v0, v7
	s_mul_i32 s0, s0, s7
	s_add_i32 s1, s4, s1
	v_mul_f32_e32 v9, v29, v42
	v_add_f32_e32 v5, v5, v6
	v_mov_b32_e32 v0, v4
	v_fma_f32 v6, v13, v37, -v8
	v_mul_f32_e32 v8, v28, v40
	s_lshl_b64 s[0:1], s[0:1], 3
	v_fmac_f32_e32 v9, v30, v41
	v_mad_u64_u32 v[0:1], null, s23, v1, v[0:1]
	v_add_f32_e32 v4, v5, v6
	v_fma_f32 v5, v27, v39, -v8
	s_add_u32 s4, s20, s0
	s_addc_u32 s5, s21, s1
	s_mul_i32 s0, s22, s8
	s_mul_hi_u32 s1, s22, s6
	v_add_f32_e32 v1, v4, v5
	v_mov_b32_e32 v4, v0
	v_mul_f32_e32 v6, v30, v42
	s_add_i32 s0, s1, s0
	s_mul_i32 s1, s23, s6
	s_add_i32 s1, s0, s1
	s_mul_i32 s0, s22, s6
	v_lshlrev_b64 v[3:4], 3, v[3:4]
	s_lshl_b64 s[0:1], s[0:1], 3
	v_fma_f32 v5, v29, v41, -v6
	v_add_f32_e32 v6, v7, v9
	s_add_u32 s0, s4, s0
	s_addc_u32 s1, s5, s1
	v_add_co_u32 v3, vcc_lo, s0, v3
	v_add_f32_e32 v0, v1, v5
	v_mul_f32_e32 v1, s2, v6
	v_mul_f32_e32 v5, s3, v6
	v_add_co_ci_u32_e64 v4, null, s1, v4, vcc_lo
	v_add_co_u32 v2, vcc_lo, v3, v2
	v_fmac_f32_e32 v1, s3, v0
	v_fma_f32 v0, s2, v0, -v5
	v_add_co_ci_u32_e64 v3, null, 0, v4, vcc_lo
	global_store_dwordx2 v[2:3], v[0:1], off
.LBB101_15:
	s_endpgm
	.section	.rodata,"a",@progbits
	.p2align	6, 0x0
	.amdhsa_kernel _ZL23rocblas_trmm_lTx_kernelILi16ELb1E19rocblas_complex_numIfES1_KS1_S1_Ev13rocblas_fill_17rocblas_diagonal_iiT2_lPT3_llS7_llPT4_lli
		.amdhsa_group_segment_fixed_size 4096
		.amdhsa_private_segment_fixed_size 0
		.amdhsa_kernarg_size 108
		.amdhsa_user_sgpr_count 6
		.amdhsa_user_sgpr_private_segment_buffer 1
		.amdhsa_user_sgpr_dispatch_ptr 0
		.amdhsa_user_sgpr_queue_ptr 0
		.amdhsa_user_sgpr_kernarg_segment_ptr 1
		.amdhsa_user_sgpr_dispatch_id 0
		.amdhsa_user_sgpr_flat_scratch_init 0
		.amdhsa_user_sgpr_private_segment_size 0
		.amdhsa_wavefront_size32 1
		.amdhsa_uses_dynamic_stack 0
		.amdhsa_system_sgpr_private_segment_wavefront_offset 0
		.amdhsa_system_sgpr_workgroup_id_x 1
		.amdhsa_system_sgpr_workgroup_id_y 0
		.amdhsa_system_sgpr_workgroup_id_z 1
		.amdhsa_system_sgpr_workgroup_info 0
		.amdhsa_system_vgpr_workitem_id 1
		.amdhsa_next_free_vgpr 60
		.amdhsa_next_free_sgpr 28
		.amdhsa_reserve_vcc 1
		.amdhsa_reserve_flat_scratch 0
		.amdhsa_float_round_mode_32 0
		.amdhsa_float_round_mode_16_64 0
		.amdhsa_float_denorm_mode_32 3
		.amdhsa_float_denorm_mode_16_64 3
		.amdhsa_dx10_clamp 1
		.amdhsa_ieee_mode 1
		.amdhsa_fp16_overflow 0
		.amdhsa_workgroup_processor_mode 1
		.amdhsa_memory_ordered 1
		.amdhsa_forward_progress 1
		.amdhsa_shared_vgpr_count 0
		.amdhsa_exception_fp_ieee_invalid_op 0
		.amdhsa_exception_fp_denorm_src 0
		.amdhsa_exception_fp_ieee_div_zero 0
		.amdhsa_exception_fp_ieee_overflow 0
		.amdhsa_exception_fp_ieee_underflow 0
		.amdhsa_exception_fp_ieee_inexact 0
		.amdhsa_exception_int_div_zero 0
	.end_amdhsa_kernel
	.section	.text._ZL23rocblas_trmm_lTx_kernelILi16ELb1E19rocblas_complex_numIfES1_KS1_S1_Ev13rocblas_fill_17rocblas_diagonal_iiT2_lPT3_llS7_llPT4_lli,"axG",@progbits,_ZL23rocblas_trmm_lTx_kernelILi16ELb1E19rocblas_complex_numIfES1_KS1_S1_Ev13rocblas_fill_17rocblas_diagonal_iiT2_lPT3_llS7_llPT4_lli,comdat
.Lfunc_end101:
	.size	_ZL23rocblas_trmm_lTx_kernelILi16ELb1E19rocblas_complex_numIfES1_KS1_S1_Ev13rocblas_fill_17rocblas_diagonal_iiT2_lPT3_llS7_llPT4_lli, .Lfunc_end101-_ZL23rocblas_trmm_lTx_kernelILi16ELb1E19rocblas_complex_numIfES1_KS1_S1_Ev13rocblas_fill_17rocblas_diagonal_iiT2_lPT3_llS7_llPT4_lli
                                        ; -- End function
	.set _ZL23rocblas_trmm_lTx_kernelILi16ELb1E19rocblas_complex_numIfES1_KS1_S1_Ev13rocblas_fill_17rocblas_diagonal_iiT2_lPT3_llS7_llPT4_lli.num_vgpr, 60
	.set _ZL23rocblas_trmm_lTx_kernelILi16ELb1E19rocblas_complex_numIfES1_KS1_S1_Ev13rocblas_fill_17rocblas_diagonal_iiT2_lPT3_llS7_llPT4_lli.num_agpr, 0
	.set _ZL23rocblas_trmm_lTx_kernelILi16ELb1E19rocblas_complex_numIfES1_KS1_S1_Ev13rocblas_fill_17rocblas_diagonal_iiT2_lPT3_llS7_llPT4_lli.numbered_sgpr, 28
	.set _ZL23rocblas_trmm_lTx_kernelILi16ELb1E19rocblas_complex_numIfES1_KS1_S1_Ev13rocblas_fill_17rocblas_diagonal_iiT2_lPT3_llS7_llPT4_lli.num_named_barrier, 0
	.set _ZL23rocblas_trmm_lTx_kernelILi16ELb1E19rocblas_complex_numIfES1_KS1_S1_Ev13rocblas_fill_17rocblas_diagonal_iiT2_lPT3_llS7_llPT4_lli.private_seg_size, 0
	.set _ZL23rocblas_trmm_lTx_kernelILi16ELb1E19rocblas_complex_numIfES1_KS1_S1_Ev13rocblas_fill_17rocblas_diagonal_iiT2_lPT3_llS7_llPT4_lli.uses_vcc, 1
	.set _ZL23rocblas_trmm_lTx_kernelILi16ELb1E19rocblas_complex_numIfES1_KS1_S1_Ev13rocblas_fill_17rocblas_diagonal_iiT2_lPT3_llS7_llPT4_lli.uses_flat_scratch, 0
	.set _ZL23rocblas_trmm_lTx_kernelILi16ELb1E19rocblas_complex_numIfES1_KS1_S1_Ev13rocblas_fill_17rocblas_diagonal_iiT2_lPT3_llS7_llPT4_lli.has_dyn_sized_stack, 0
	.set _ZL23rocblas_trmm_lTx_kernelILi16ELb1E19rocblas_complex_numIfES1_KS1_S1_Ev13rocblas_fill_17rocblas_diagonal_iiT2_lPT3_llS7_llPT4_lli.has_recursion, 0
	.set _ZL23rocblas_trmm_lTx_kernelILi16ELb1E19rocblas_complex_numIfES1_KS1_S1_Ev13rocblas_fill_17rocblas_diagonal_iiT2_lPT3_llS7_llPT4_lli.has_indirect_call, 0
	.section	.AMDGPU.csdata,"",@progbits
; Kernel info:
; codeLenInByte = 1400
; TotalNumSgprs: 30
; NumVgprs: 60
; ScratchSize: 0
; MemoryBound: 0
; FloatMode: 240
; IeeeMode: 1
; LDSByteSize: 4096 bytes/workgroup (compile time only)
; SGPRBlocks: 0
; VGPRBlocks: 7
; NumSGPRsForWavesPerEU: 30
; NumVGPRsForWavesPerEU: 60
; Occupancy: 16
; WaveLimiterHint : 0
; COMPUTE_PGM_RSRC2:SCRATCH_EN: 0
; COMPUTE_PGM_RSRC2:USER_SGPR: 6
; COMPUTE_PGM_RSRC2:TRAP_HANDLER: 0
; COMPUTE_PGM_RSRC2:TGID_X_EN: 1
; COMPUTE_PGM_RSRC2:TGID_Y_EN: 0
; COMPUTE_PGM_RSRC2:TGID_Z_EN: 1
; COMPUTE_PGM_RSRC2:TIDIG_COMP_CNT: 1
	.section	.text._ZL23rocblas_trmm_rNx_kernelILi16E19rocblas_complex_numIfEPKS1_S2_S1_Ev13rocblas_fill_17rocblas_diagonal_iiT1_lPT2_llS8_llPT3_lli,"axG",@progbits,_ZL23rocblas_trmm_rNx_kernelILi16E19rocblas_complex_numIfEPKS1_S2_S1_Ev13rocblas_fill_17rocblas_diagonal_iiT1_lPT2_llS8_llPT3_lli,comdat
	.globl	_ZL23rocblas_trmm_rNx_kernelILi16E19rocblas_complex_numIfEPKS1_S2_S1_Ev13rocblas_fill_17rocblas_diagonal_iiT1_lPT2_llS8_llPT3_lli ; -- Begin function _ZL23rocblas_trmm_rNx_kernelILi16E19rocblas_complex_numIfEPKS1_S2_S1_Ev13rocblas_fill_17rocblas_diagonal_iiT1_lPT2_llS8_llPT3_lli
	.p2align	8
	.type	_ZL23rocblas_trmm_rNx_kernelILi16E19rocblas_complex_numIfEPKS1_S2_S1_Ev13rocblas_fill_17rocblas_diagonal_iiT1_lPT2_llS8_llPT3_lli,@function
_ZL23rocblas_trmm_rNx_kernelILi16E19rocblas_complex_numIfEPKS1_S2_S1_Ev13rocblas_fill_17rocblas_diagonal_iiT1_lPT2_llS8_llPT3_lli: ; @_ZL23rocblas_trmm_rNx_kernelILi16E19rocblas_complex_numIfEPKS1_S2_S1_Ev13rocblas_fill_17rocblas_diagonal_iiT1_lPT2_llS8_llPT3_lli
; %bb.0:
	s_load_dwordx16 s[8:23], s[4:5], 0x10
	s_waitcnt lgkmcnt(0)
	s_mul_i32 s1, s11, s7
	s_mul_hi_u32 s2, s10, s7
	s_mul_i32 s0, s10, s7
	s_add_i32 s1, s2, s1
	s_mov_b32 s2, 0
	s_lshl_b64 s[0:1], s[0:1], 3
	s_add_u32 s0, s8, s0
	s_addc_u32 s1, s9, s1
	s_load_dwordx2 s[24:25], s[0:1], 0x0
	s_waitcnt lgkmcnt(0)
	v_cmp_neq_f32_e64 s0, s24, 0
	v_cmp_neq_f32_e64 s1, s25, 0
	s_or_b32 s0, s0, s1
	s_andn2_b32 vcc_lo, exec_lo, s0
	s_cbranch_vccnz .LBB102_15
; %bb.1:
	s_load_dwordx4 s[8:11], s[4:5], 0x0
	v_lshlrev_b32_e32 v3, 4, v1
	s_mov_b32 s3, s2
	v_lshlrev_b32_e32 v2, 3, v0
	v_mov_b32_e32 v6, s3
	v_mov_b32_e32 v5, s2
	v_add_lshl_u32 v4, v3, v0, 3
	ds_write2st64_b64 v4, v[5:6], v[5:6] offset1:4
	s_waitcnt lgkmcnt(0)
	v_cmp_gt_i32_e32 vcc_lo, s11, v1
	v_cmp_gt_i32_e64 s0, s11, v0
	s_and_b32 s0, vcc_lo, s0
	s_and_saveexec_b32 s1, s0
	s_cbranch_execz .LBB102_3
; %bb.2:
	v_mad_u64_u32 v[5:6], null, s14, v1, 0
	s_mul_i32 s0, s17, s7
	s_mul_hi_u32 s3, s16, s7
	s_mul_i32 s2, s16, s7
	s_add_i32 s3, s3, s0
	s_lshl_b64 s[2:3], s[2:3], 3
	v_mad_u64_u32 v[6:7], null, s15, v1, v[6:7]
	s_add_u32 s0, s12, s2
	s_addc_u32 s2, s13, s3
	v_lshlrev_b64 v[5:6], 3, v[5:6]
	v_add_co_u32 v5, s0, s0, v5
	v_add_co_ci_u32_e64 v6, null, s2, v6, s0
	v_add_co_u32 v5, s0, v5, v2
	v_add_co_ci_u32_e64 v6, null, 0, v6, s0
	global_load_dwordx2 v[5:6], v[5:6], off
	s_waitcnt vmcnt(0)
	ds_write_b64 v4, v[5:6]
.LBB102_3:
	s_or_b32 exec_lo, exec_lo, s1
	s_add_i32 s0, s10, -1
	s_ashr_i32 s1, s0, 31
	s_lshr_b32 s1, s1, 28
	s_add_i32 s0, s0, s1
	s_and_b32 s1, s0, -16
	s_ashr_i32 s0, s0, 4
	s_sub_i32 s1, s10, s1
	s_cmp_ge_i32 s6, s0
	s_cselect_b32 s0, s1, 16
	s_lshl_b32 s10, s6, 4
	v_cmp_gt_i32_e64 s0, s0, v0
	s_ashr_i32 s11, s10, 31
	s_and_b32 s0, vcc_lo, s0
	s_and_saveexec_b32 s1, s0
	s_cbranch_execz .LBB102_5
; %bb.4:
	v_mad_u64_u32 v[5:6], null, s20, v1, 0
	s_mul_i32 s3, s23, s7
	s_mul_hi_u32 s6, s22, s7
	s_mul_i32 s2, s22, s7
	s_add_i32 s3, s6, s3
	s_lshl_b64 s[2:3], s[2:3], 3
	v_mad_u64_u32 v[6:7], null, s21, v1, v[6:7]
	s_add_u32 s6, s18, s2
	s_addc_u32 s12, s19, s3
	s_lshl_b64 s[2:3], s[10:11], 3
	v_add_nc_u32_e32 v7, 0x800, v4
	s_add_u32 s2, s6, s2
	s_addc_u32 s3, s12, s3
	v_lshlrev_b64 v[5:6], 3, v[5:6]
	v_add_co_u32 v5, vcc_lo, s2, v5
	v_add_co_ci_u32_e64 v6, null, s3, v6, vcc_lo
	v_add_co_u32 v5, vcc_lo, v5, v2
	v_add_co_ci_u32_e64 v6, null, 0, v6, vcc_lo
	global_load_dwordx2 v[5:6], v[5:6], off
	s_waitcnt vmcnt(0)
	ds_write_b64 v7, v[5:6]
.LBB102_5:
	s_or_b32 exec_lo, exec_lo, s1
	v_cmp_eq_u32_e32 vcc_lo, v1, v0
	s_cmpk_eq_i32 s9, 0x84
	s_cselect_b32 s1, -1, 0
	s_and_b32 s2, vcc_lo, s1
	s_and_saveexec_b32 s1, s2
; %bb.6:
	v_mov_b32_e32 v5, 1.0
	v_mov_b32_e32 v6, 0
	ds_write_b64 v4, v[5:6]
; %bb.7:
	s_or_b32 exec_lo, exec_lo, s1
	s_cmpk_lg_i32 s8, 0x79
	s_cbranch_scc0 .LBB102_9
; %bb.8:
	v_cmp_lt_u32_e32 vcc_lo, v0, v1
	s_and_b32 s1, vcc_lo, exec_lo
	s_cbranch_execz .LBB102_10
	s_branch .LBB102_11
.LBB102_9:
	s_mov_b32 s1, 0
.LBB102_10:
	v_cmp_gt_u32_e32 vcc_lo, v0, v1
	s_andn2_b32 s1, s1, exec_lo
	s_and_b32 s2, vcc_lo, exec_lo
	s_or_b32 s1, s1, s2
.LBB102_11:
	s_and_saveexec_b32 s2, s1
; %bb.12:
	v_mov_b32_e32 v5, 0
	v_mov_b32_e32 v6, v5
	ds_write_b64 v4, v[5:6]
; %bb.13:
	s_or_b32 exec_lo, exec_lo, s2
	s_waitcnt lgkmcnt(0)
	s_barrier
	buffer_gl0_inv
	s_and_saveexec_b32 s1, s0
	s_cbranch_execz .LBB102_15
; %bb.14:
	v_add_nc_u32_e32 v0, 0x800, v2
	v_lshlrev_b32_e32 v51, 3, v3
	ds_read2_b64 v[3:6], v0 offset1:16
	ds_read_b128 v[7:10], v51
	ds_read_b128 v[11:14], v51 offset:16
	ds_read2_b64 v[15:18], v0 offset0:32 offset1:48
	s_clause 0x1
	s_load_dwordx4 s[0:3], s[4:5], 0x50
	s_load_dwordx2 s[4:5], s[4:5], 0x60
	ds_read_b128 v[19:22], v51 offset:32
	ds_read_b128 v[23:26], v51 offset:48
	ds_read2_b64 v[27:30], v0 offset0:64 offset1:80
	ds_read2_b64 v[31:34], v0 offset0:96 offset1:112
	;; [unrolled: 1-line block ×3, first 2 shown]
	ds_read_b128 v[39:42], v51 offset:64
	ds_read_b128 v[43:46], v51 offset:80
	ds_read2_b64 v[47:50], v0 offset0:160 offset1:176
	s_waitcnt lgkmcnt(0)
	v_mul_f32_e32 v52, v7, v4
	v_mul_f32_e32 v53, v9, v6
	;; [unrolled: 1-line block ×5, first 2 shown]
	v_fmac_f32_e32 v52, v8, v3
	v_mul_f32_e32 v6, v10, v6
	v_mul_f32_e32 v16, v12, v16
	v_fmac_f32_e32 v53, v10, v5
	v_fma_f32 v56, v7, v3, -v4
	v_mul_f32_e32 v7, v14, v18
	v_add_f32_e32 v52, 0, v52
	v_fma_f32 v57, v9, v5, -v6
	ds_read2_b64 v[3:6], v0 offset0:192 offset1:208
	v_fmac_f32_e32 v54, v12, v15
	v_fmac_f32_e32 v55, v14, v17
	v_fma_f32 v58, v11, v15, -v16
	v_fma_f32 v59, v13, v17, -v7
	ds_read_b128 v[7:10], v51 offset:96
	ds_read_b128 v[11:14], v51 offset:112
	ds_read2_b64 v[15:18], v0 offset0:224 offset1:240
	v_add_f32_e32 v0, v52, v53
	v_mul_f32_e32 v51, v19, v28
	v_mul_f32_e32 v28, v20, v28
	;; [unrolled: 1-line block ×4, first 2 shown]
	v_add_f32_e32 v0, v0, v54
	v_fmac_f32_e32 v51, v20, v27
	v_add_f32_e32 v20, 0, v56
	v_fmac_f32_e32 v52, v22, v29
	v_mul_f32_e32 v22, v23, v32
	v_add_f32_e32 v0, v0, v55
	v_fma_f32 v19, v19, v27, -v28
	v_add_f32_e32 v20, v20, v57
	v_mul_f32_e32 v27, v25, v34
	v_fmac_f32_e32 v22, v24, v31
	v_add_f32_e32 v0, v0, v51
	v_mul_f32_e32 v28, v39, v36
	v_add_f32_e32 v20, v20, v58
	v_fmac_f32_e32 v27, v26, v33
	v_fma_f32 v21, v21, v29, -v30
	v_add_f32_e32 v0, v0, v52
	v_mul_f32_e32 v29, v41, v38
	v_add_f32_e32 v20, v20, v59
	v_fmac_f32_e32 v28, v40, v35
	v_mul_f32_e32 v30, v43, v48
	v_add_f32_e32 v0, v0, v22
	v_mul_f32_e32 v22, v24, v32
	v_add_f32_e32 v19, v20, v19
	v_mul_f32_e32 v20, v26, v34
	v_fmac_f32_e32 v29, v42, v37
	v_add_f32_e32 v0, v0, v27
	v_fma_f32 v22, v23, v31, -v22
	v_add_f32_e32 v19, v19, v21
	v_mul_f32_e32 v21, v40, v36
	v_fma_f32 v20, v25, v33, -v20
	v_add_f32_e32 v0, v0, v28
	v_mul_f32_e32 v51, v45, v50
	v_add_f32_e32 v19, v19, v22
	v_fmac_f32_e32 v30, v44, v47
	v_mul_f32_e32 v22, v42, v38
	v_add_f32_e32 v0, v0, v29
	v_fma_f32 v21, v39, v35, -v21
	v_add_f32_e32 v19, v19, v20
	s_waitcnt lgkmcnt(2)
	v_mul_f32_e32 v52, v7, v4
	v_fmac_f32_e32 v51, v46, v49
	v_add_f32_e32 v0, v0, v30
	v_mul_f32_e32 v20, v44, v48
	v_fma_f32 v22, v41, v37, -v22
	v_add_f32_e32 v19, v19, v21
	v_mul_f32_e32 v53, v9, v6
	v_fmac_f32_e32 v52, v8, v3
	v_add_f32_e32 v0, v0, v51
	v_mul_f32_e32 v4, v8, v4
	v_mul_f32_e32 v21, v46, v50
	v_fma_f32 v20, v43, v47, -v20
	v_add_f32_e32 v19, v19, v22
	v_fmac_f32_e32 v53, v10, v5
	v_add_f32_e32 v0, v0, v52
	s_waitcnt lgkmcnt(0)
	v_mul_f32_e32 v8, v11, v16
	v_fma_f32 v7, v7, v3, -v4
	v_mad_u64_u32 v[3:4], null, s2, v1, 0
	v_fma_f32 v21, v45, v49, -v21
	v_add_f32_e32 v19, v19, v20
	v_add_f32_e32 v0, v0, v53
	v_fmac_f32_e32 v8, v12, v15
	v_mul_f32_e32 v6, v10, v6
	s_mul_i32 s5, s5, s7
	v_add_f32_e32 v19, v19, v21
	s_mul_hi_u32 s6, s4, s7
	v_add_f32_e32 v8, v0, v8
	v_mov_b32_e32 v0, v4
	v_fma_f32 v5, v9, v5, -v6
	v_add_f32_e32 v7, v19, v7
	v_mul_f32_e32 v6, v12, v16
	v_mul_f32_e32 v9, v13, v18
	v_mad_u64_u32 v[0:1], null, s3, v1, v[0:1]
	v_add_f32_e32 v4, v7, v5
	v_fma_f32 v5, v11, v15, -v6
	s_add_i32 s5, s6, s5
	s_mul_i32 s4, s4, s7
	v_mul_f32_e32 v6, v14, v18
	v_fmac_f32_e32 v9, v14, v17
	v_add_f32_e32 v1, v4, v5
	v_mov_b32_e32 v4, v0
	s_lshl_b64 s[2:3], s[4:5], 3
	v_fma_f32 v5, v13, v17, -v6
	s_add_u32 s2, s0, s2
	s_addc_u32 s3, s1, s3
	v_lshlrev_b64 v[3:4], 3, v[3:4]
	s_lshl_b64 s[0:1], s[10:11], 3
	v_add_f32_e32 v6, v8, v9
	s_add_u32 s0, s2, s0
	s_addc_u32 s1, s3, s1
	v_add_f32_e32 v0, v1, v5
	v_add_co_u32 v3, vcc_lo, s0, v3
	v_mul_f32_e32 v1, s24, v6
	v_mul_f32_e32 v5, s25, v6
	v_add_co_ci_u32_e64 v4, null, s1, v4, vcc_lo
	v_add_co_u32 v2, vcc_lo, v3, v2
	v_fmac_f32_e32 v1, s25, v0
	v_fma_f32 v0, s24, v0, -v5
	v_add_co_ci_u32_e64 v3, null, 0, v4, vcc_lo
	global_store_dwordx2 v[2:3], v[0:1], off
.LBB102_15:
	s_endpgm
	.section	.rodata,"a",@progbits
	.p2align	6, 0x0
	.amdhsa_kernel _ZL23rocblas_trmm_rNx_kernelILi16E19rocblas_complex_numIfEPKS1_S2_S1_Ev13rocblas_fill_17rocblas_diagonal_iiT1_lPT2_llS8_llPT3_lli
		.amdhsa_group_segment_fixed_size 4096
		.amdhsa_private_segment_fixed_size 0
		.amdhsa_kernarg_size 108
		.amdhsa_user_sgpr_count 6
		.amdhsa_user_sgpr_private_segment_buffer 1
		.amdhsa_user_sgpr_dispatch_ptr 0
		.amdhsa_user_sgpr_queue_ptr 0
		.amdhsa_user_sgpr_kernarg_segment_ptr 1
		.amdhsa_user_sgpr_dispatch_id 0
		.amdhsa_user_sgpr_flat_scratch_init 0
		.amdhsa_user_sgpr_private_segment_size 0
		.amdhsa_wavefront_size32 1
		.amdhsa_uses_dynamic_stack 0
		.amdhsa_system_sgpr_private_segment_wavefront_offset 0
		.amdhsa_system_sgpr_workgroup_id_x 1
		.amdhsa_system_sgpr_workgroup_id_y 0
		.amdhsa_system_sgpr_workgroup_id_z 1
		.amdhsa_system_sgpr_workgroup_info 0
		.amdhsa_system_vgpr_workitem_id 1
		.amdhsa_next_free_vgpr 60
		.amdhsa_next_free_sgpr 26
		.amdhsa_reserve_vcc 1
		.amdhsa_reserve_flat_scratch 0
		.amdhsa_float_round_mode_32 0
		.amdhsa_float_round_mode_16_64 0
		.amdhsa_float_denorm_mode_32 3
		.amdhsa_float_denorm_mode_16_64 3
		.amdhsa_dx10_clamp 1
		.amdhsa_ieee_mode 1
		.amdhsa_fp16_overflow 0
		.amdhsa_workgroup_processor_mode 1
		.amdhsa_memory_ordered 1
		.amdhsa_forward_progress 1
		.amdhsa_shared_vgpr_count 0
		.amdhsa_exception_fp_ieee_invalid_op 0
		.amdhsa_exception_fp_denorm_src 0
		.amdhsa_exception_fp_ieee_div_zero 0
		.amdhsa_exception_fp_ieee_overflow 0
		.amdhsa_exception_fp_ieee_underflow 0
		.amdhsa_exception_fp_ieee_inexact 0
		.amdhsa_exception_int_div_zero 0
	.end_amdhsa_kernel
	.section	.text._ZL23rocblas_trmm_rNx_kernelILi16E19rocblas_complex_numIfEPKS1_S2_S1_Ev13rocblas_fill_17rocblas_diagonal_iiT1_lPT2_llS8_llPT3_lli,"axG",@progbits,_ZL23rocblas_trmm_rNx_kernelILi16E19rocblas_complex_numIfEPKS1_S2_S1_Ev13rocblas_fill_17rocblas_diagonal_iiT1_lPT2_llS8_llPT3_lli,comdat
.Lfunc_end102:
	.size	_ZL23rocblas_trmm_rNx_kernelILi16E19rocblas_complex_numIfEPKS1_S2_S1_Ev13rocblas_fill_17rocblas_diagonal_iiT1_lPT2_llS8_llPT3_lli, .Lfunc_end102-_ZL23rocblas_trmm_rNx_kernelILi16E19rocblas_complex_numIfEPKS1_S2_S1_Ev13rocblas_fill_17rocblas_diagonal_iiT1_lPT2_llS8_llPT3_lli
                                        ; -- End function
	.set _ZL23rocblas_trmm_rNx_kernelILi16E19rocblas_complex_numIfEPKS1_S2_S1_Ev13rocblas_fill_17rocblas_diagonal_iiT1_lPT2_llS8_llPT3_lli.num_vgpr, 60
	.set _ZL23rocblas_trmm_rNx_kernelILi16E19rocblas_complex_numIfEPKS1_S2_S1_Ev13rocblas_fill_17rocblas_diagonal_iiT1_lPT2_llS8_llPT3_lli.num_agpr, 0
	.set _ZL23rocblas_trmm_rNx_kernelILi16E19rocblas_complex_numIfEPKS1_S2_S1_Ev13rocblas_fill_17rocblas_diagonal_iiT1_lPT2_llS8_llPT3_lli.numbered_sgpr, 26
	.set _ZL23rocblas_trmm_rNx_kernelILi16E19rocblas_complex_numIfEPKS1_S2_S1_Ev13rocblas_fill_17rocblas_diagonal_iiT1_lPT2_llS8_llPT3_lli.num_named_barrier, 0
	.set _ZL23rocblas_trmm_rNx_kernelILi16E19rocblas_complex_numIfEPKS1_S2_S1_Ev13rocblas_fill_17rocblas_diagonal_iiT1_lPT2_llS8_llPT3_lli.private_seg_size, 0
	.set _ZL23rocblas_trmm_rNx_kernelILi16E19rocblas_complex_numIfEPKS1_S2_S1_Ev13rocblas_fill_17rocblas_diagonal_iiT1_lPT2_llS8_llPT3_lli.uses_vcc, 1
	.set _ZL23rocblas_trmm_rNx_kernelILi16E19rocblas_complex_numIfEPKS1_S2_S1_Ev13rocblas_fill_17rocblas_diagonal_iiT1_lPT2_llS8_llPT3_lli.uses_flat_scratch, 0
	.set _ZL23rocblas_trmm_rNx_kernelILi16E19rocblas_complex_numIfEPKS1_S2_S1_Ev13rocblas_fill_17rocblas_diagonal_iiT1_lPT2_llS8_llPT3_lli.has_dyn_sized_stack, 0
	.set _ZL23rocblas_trmm_rNx_kernelILi16E19rocblas_complex_numIfEPKS1_S2_S1_Ev13rocblas_fill_17rocblas_diagonal_iiT1_lPT2_llS8_llPT3_lli.has_recursion, 0
	.set _ZL23rocblas_trmm_rNx_kernelILi16E19rocblas_complex_numIfEPKS1_S2_S1_Ev13rocblas_fill_17rocblas_diagonal_iiT1_lPT2_llS8_llPT3_lli.has_indirect_call, 0
	.section	.AMDGPU.csdata,"",@progbits
; Kernel info:
; codeLenInByte = 1344
; TotalNumSgprs: 28
; NumVgprs: 60
; ScratchSize: 0
; MemoryBound: 0
; FloatMode: 240
; IeeeMode: 1
; LDSByteSize: 4096 bytes/workgroup (compile time only)
; SGPRBlocks: 0
; VGPRBlocks: 7
; NumSGPRsForWavesPerEU: 28
; NumVGPRsForWavesPerEU: 60
; Occupancy: 16
; WaveLimiterHint : 0
; COMPUTE_PGM_RSRC2:SCRATCH_EN: 0
; COMPUTE_PGM_RSRC2:USER_SGPR: 6
; COMPUTE_PGM_RSRC2:TRAP_HANDLER: 0
; COMPUTE_PGM_RSRC2:TGID_X_EN: 1
; COMPUTE_PGM_RSRC2:TGID_Y_EN: 0
; COMPUTE_PGM_RSRC2:TGID_Z_EN: 1
; COMPUTE_PGM_RSRC2:TIDIG_COMP_CNT: 1
	.section	.text._ZL23rocblas_trmm_rNx_kernelILi16E19rocblas_complex_numIfES1_KS1_S1_Ev13rocblas_fill_17rocblas_diagonal_iiT1_lPT2_llS7_llPT3_lli,"axG",@progbits,_ZL23rocblas_trmm_rNx_kernelILi16E19rocblas_complex_numIfES1_KS1_S1_Ev13rocblas_fill_17rocblas_diagonal_iiT1_lPT2_llS7_llPT3_lli,comdat
	.globl	_ZL23rocblas_trmm_rNx_kernelILi16E19rocblas_complex_numIfES1_KS1_S1_Ev13rocblas_fill_17rocblas_diagonal_iiT1_lPT2_llS7_llPT3_lli ; -- Begin function _ZL23rocblas_trmm_rNx_kernelILi16E19rocblas_complex_numIfES1_KS1_S1_Ev13rocblas_fill_17rocblas_diagonal_iiT1_lPT2_llS7_llPT3_lli
	.p2align	8
	.type	_ZL23rocblas_trmm_rNx_kernelILi16E19rocblas_complex_numIfES1_KS1_S1_Ev13rocblas_fill_17rocblas_diagonal_iiT1_lPT2_llS7_llPT3_lli,@function
_ZL23rocblas_trmm_rNx_kernelILi16E19rocblas_complex_numIfES1_KS1_S1_Ev13rocblas_fill_17rocblas_diagonal_iiT1_lPT2_llS7_llPT3_lli: ; @_ZL23rocblas_trmm_rNx_kernelILi16E19rocblas_complex_numIfES1_KS1_S1_Ev13rocblas_fill_17rocblas_diagonal_iiT1_lPT2_llS7_llPT3_lli
; %bb.0:
	s_load_dwordx2 s[2:3], s[4:5], 0x10
	s_mov_b32 s28, 0
	s_waitcnt lgkmcnt(0)
	v_cmp_neq_f32_e64 s0, s2, 0
	v_cmp_neq_f32_e64 s1, s3, 0
	s_or_b32 s0, s0, s1
	s_andn2_b32 vcc_lo, exec_lo, s0
	s_cbranch_vccnz .LBB103_15
; %bb.1:
	s_clause 0x1
	s_load_dwordx4 s[24:27], s[4:5], 0x0
	s_load_dwordx16 s[8:23], s[4:5], 0x20
	v_lshlrev_b32_e32 v3, 4, v1
	s_mov_b32 s29, s28
	v_mov_b32_e32 v5, s28
	v_mov_b32_e32 v6, s29
	v_lshlrev_b32_e32 v2, 3, v0
	v_add_lshl_u32 v4, v3, v0, 3
	ds_write2st64_b64 v4, v[5:6], v[5:6] offset1:4
	s_waitcnt lgkmcnt(0)
	v_cmp_gt_i32_e32 vcc_lo, s27, v1
	v_cmp_gt_i32_e64 s0, s27, v0
	s_and_b32 s0, vcc_lo, s0
	s_and_saveexec_b32 s1, s0
	s_cbranch_execz .LBB103_3
; %bb.2:
	v_mad_u64_u32 v[5:6], null, s10, v1, 0
	s_mul_i32 s0, s13, s7
	s_mul_i32 s10, s12, s7
	v_mad_u64_u32 v[6:7], null, s11, v1, v[6:7]
	s_mul_hi_u32 s11, s12, s7
	s_add_i32 s11, s11, s0
	s_lshl_b64 s[10:11], s[10:11], 3
	s_add_u32 s0, s8, s10
	v_lshlrev_b64 v[5:6], 3, v[5:6]
	s_addc_u32 s8, s9, s11
	v_add_co_u32 v5, s0, s0, v5
	v_add_co_ci_u32_e64 v6, null, s8, v6, s0
	v_add_co_u32 v5, s0, v5, v2
	v_add_co_ci_u32_e64 v6, null, 0, v6, s0
	global_load_dwordx2 v[5:6], v[5:6], off
	s_waitcnt vmcnt(0)
	ds_write_b64 v4, v[5:6]
.LBB103_3:
	s_or_b32 exec_lo, exec_lo, s1
	s_add_i32 s0, s26, -1
	s_ashr_i32 s1, s0, 31
	s_lshr_b32 s1, s1, 28
	s_add_i32 s0, s0, s1
	s_and_b32 s1, s0, -16
	s_ashr_i32 s0, s0, 4
	s_sub_i32 s1, s26, s1
	s_cmp_ge_i32 s6, s0
	s_cselect_b32 s0, s1, 16
	s_lshl_b32 s8, s6, 4
	v_cmp_gt_i32_e64 s0, s0, v0
	s_ashr_i32 s9, s8, 31
	s_and_b32 s0, vcc_lo, s0
	s_and_saveexec_b32 s1, s0
	s_cbranch_execz .LBB103_5
; %bb.4:
	v_mad_u64_u32 v[5:6], null, s16, v1, 0
	s_mul_i32 s6, s19, s7
	s_mul_hi_u32 s11, s18, s7
	s_mul_i32 s10, s18, s7
	s_add_i32 s11, s11, s6
	s_lshl_b64 s[10:11], s[10:11], 3
	v_mad_u64_u32 v[6:7], null, s17, v1, v[6:7]
	s_add_u32 s6, s14, s10
	s_addc_u32 s12, s15, s11
	s_lshl_b64 s[10:11], s[8:9], 3
	v_add_nc_u32_e32 v7, 0x800, v4
	s_add_u32 s6, s6, s10
	s_addc_u32 s10, s12, s11
	v_lshlrev_b64 v[5:6], 3, v[5:6]
	v_add_co_u32 v5, vcc_lo, s6, v5
	v_add_co_ci_u32_e64 v6, null, s10, v6, vcc_lo
	v_add_co_u32 v5, vcc_lo, v5, v2
	v_add_co_ci_u32_e64 v6, null, 0, v6, vcc_lo
	global_load_dwordx2 v[5:6], v[5:6], off
	s_waitcnt vmcnt(0)
	ds_write_b64 v7, v[5:6]
.LBB103_5:
	s_or_b32 exec_lo, exec_lo, s1
	v_cmp_eq_u32_e32 vcc_lo, v1, v0
	s_cmpk_eq_i32 s25, 0x84
	s_cselect_b32 s1, -1, 0
	s_and_b32 s6, vcc_lo, s1
	s_and_saveexec_b32 s1, s6
; %bb.6:
	v_mov_b32_e32 v5, 1.0
	v_mov_b32_e32 v6, 0
	ds_write_b64 v4, v[5:6]
; %bb.7:
	s_or_b32 exec_lo, exec_lo, s1
	s_cmpk_lg_i32 s24, 0x79
	s_cbranch_scc0 .LBB103_9
; %bb.8:
	v_cmp_lt_u32_e32 vcc_lo, v0, v1
	s_and_b32 s1, vcc_lo, exec_lo
	s_cbranch_execz .LBB103_10
	s_branch .LBB103_11
.LBB103_9:
	s_mov_b32 s1, 0
.LBB103_10:
	v_cmp_gt_u32_e32 vcc_lo, v0, v1
	s_andn2_b32 s1, s1, exec_lo
	s_and_b32 s6, vcc_lo, exec_lo
	s_or_b32 s1, s1, s6
.LBB103_11:
	s_and_saveexec_b32 s6, s1
; %bb.12:
	v_mov_b32_e32 v5, 0
	v_mov_b32_e32 v6, v5
	ds_write_b64 v4, v[5:6]
; %bb.13:
	s_or_b32 exec_lo, exec_lo, s6
	s_waitcnt lgkmcnt(0)
	s_barrier
	buffer_gl0_inv
	s_and_saveexec_b32 s1, s0
	s_cbranch_execz .LBB103_15
; %bb.14:
	v_add_nc_u32_e32 v0, 0x800, v2
	v_lshlrev_b32_e32 v51, 3, v3
	s_load_dwordx2 s[0:1], s[4:5], 0x60
	ds_read2_b64 v[3:6], v0 offset1:16
	ds_read_b128 v[7:10], v51
	ds_read_b128 v[11:14], v51 offset:16
	ds_read2_b64 v[15:18], v0 offset0:32 offset1:48
	ds_read_b128 v[19:22], v51 offset:32
	ds_read_b128 v[23:26], v51 offset:48
	ds_read2_b64 v[27:30], v0 offset0:64 offset1:80
	ds_read2_b64 v[31:34], v0 offset0:96 offset1:112
	;; [unrolled: 1-line block ×3, first 2 shown]
	ds_read_b128 v[39:42], v51 offset:64
	ds_read_b128 v[43:46], v51 offset:80
	ds_read2_b64 v[47:50], v0 offset0:160 offset1:176
	s_waitcnt lgkmcnt(0)
	s_mul_i32 s1, s1, s7
	v_mul_f32_e32 v52, v7, v4
	v_mul_f32_e32 v53, v9, v6
	;; [unrolled: 1-line block ×5, first 2 shown]
	v_fmac_f32_e32 v52, v8, v3
	v_mul_f32_e32 v6, v10, v6
	v_mul_f32_e32 v16, v12, v16
	v_fmac_f32_e32 v53, v10, v5
	v_fma_f32 v56, v7, v3, -v4
	v_mul_f32_e32 v7, v14, v18
	v_add_f32_e32 v52, 0, v52
	v_fma_f32 v57, v9, v5, -v6
	ds_read2_b64 v[3:6], v0 offset0:192 offset1:208
	v_fmac_f32_e32 v54, v12, v15
	v_fmac_f32_e32 v55, v14, v17
	v_fma_f32 v58, v11, v15, -v16
	v_fma_f32 v59, v13, v17, -v7
	ds_read_b128 v[7:10], v51 offset:96
	ds_read_b128 v[11:14], v51 offset:112
	ds_read2_b64 v[15:18], v0 offset0:224 offset1:240
	v_add_f32_e32 v0, v52, v53
	v_mul_f32_e32 v51, v19, v28
	v_mul_f32_e32 v28, v20, v28
	;; [unrolled: 1-line block ×4, first 2 shown]
	v_add_f32_e32 v0, v0, v54
	v_fmac_f32_e32 v51, v20, v27
	v_add_f32_e32 v20, 0, v56
	v_fmac_f32_e32 v52, v22, v29
	v_mul_f32_e32 v22, v23, v32
	v_add_f32_e32 v0, v0, v55
	v_fma_f32 v19, v19, v27, -v28
	v_add_f32_e32 v20, v20, v57
	v_mul_f32_e32 v27, v25, v34
	v_fmac_f32_e32 v22, v24, v31
	v_add_f32_e32 v0, v0, v51
	v_mul_f32_e32 v28, v39, v36
	v_add_f32_e32 v20, v20, v58
	v_fmac_f32_e32 v27, v26, v33
	v_fma_f32 v21, v21, v29, -v30
	v_add_f32_e32 v0, v0, v52
	v_mul_f32_e32 v24, v24, v32
	v_add_f32_e32 v20, v20, v59
	v_mul_f32_e32 v29, v41, v38
	v_fmac_f32_e32 v28, v40, v35
	v_add_f32_e32 v0, v0, v22
	v_fma_f32 v22, v23, v31, -v24
	v_add_f32_e32 v19, v20, v19
	v_mul_f32_e32 v20, v26, v34
	v_mul_f32_e32 v30, v43, v48
	v_add_f32_e32 v0, v0, v27
	v_fmac_f32_e32 v29, v42, v37
	v_add_f32_e32 v19, v19, v21
	v_mul_f32_e32 v21, v40, v36
	v_fma_f32 v20, v25, v33, -v20
	v_add_f32_e32 v0, v0, v28
	v_mul_f32_e32 v51, v45, v50
	v_add_f32_e32 v19, v19, v22
	v_fmac_f32_e32 v30, v44, v47
	v_mul_f32_e32 v22, v42, v38
	v_add_f32_e32 v0, v0, v29
	v_fma_f32 v21, v39, v35, -v21
	v_add_f32_e32 v19, v19, v20
	s_waitcnt lgkmcnt(2)
	v_mul_f32_e32 v53, v7, v4
	v_fmac_f32_e32 v51, v46, v49
	v_add_f32_e32 v0, v0, v30
	v_mul_f32_e32 v20, v44, v48
	v_fma_f32 v22, v41, v37, -v22
	v_add_f32_e32 v19, v19, v21
	v_mul_f32_e32 v52, v9, v6
	v_fmac_f32_e32 v53, v8, v3
	v_add_f32_e32 v0, v0, v51
	v_mul_f32_e32 v4, v8, v4
	v_mul_f32_e32 v21, v46, v50
	v_fma_f32 v20, v43, v47, -v20
	v_add_f32_e32 v19, v19, v22
	v_fmac_f32_e32 v52, v10, v5
	v_add_f32_e32 v0, v0, v53
	s_waitcnt lgkmcnt(0)
	v_mul_f32_e32 v8, v11, v16
	v_fma_f32 v7, v7, v3, -v4
	v_mad_u64_u32 v[3:4], null, s22, v1, 0
	v_fma_f32 v21, v45, v49, -v21
	v_add_f32_e32 v19, v19, v20
	v_add_f32_e32 v0, v0, v52
	v_fmac_f32_e32 v8, v12, v15
	v_mul_f32_e32 v6, v10, v6
	s_mul_hi_u32 s4, s0, s7
	v_add_f32_e32 v19, v19, v21
	s_add_i32 s1, s4, s1
	v_add_f32_e32 v8, v0, v8
	v_mov_b32_e32 v0, v4
	v_fma_f32 v5, v9, v5, -v6
	v_add_f32_e32 v7, v19, v7
	v_mul_f32_e32 v6, v12, v16
	v_mul_f32_e32 v9, v13, v18
	v_mad_u64_u32 v[0:1], null, s23, v1, v[0:1]
	v_add_f32_e32 v4, v7, v5
	v_fma_f32 v5, v11, v15, -v6
	s_mul_i32 s0, s0, s7
	v_mul_f32_e32 v6, v14, v18
	v_fmac_f32_e32 v9, v14, v17
	s_lshl_b64 s[0:1], s[0:1], 3
	v_add_f32_e32 v1, v4, v5
	v_mov_b32_e32 v4, v0
	s_add_u32 s4, s20, s0
	s_addc_u32 s5, s21, s1
	s_lshl_b64 s[0:1], s[8:9], 3
	v_fma_f32 v5, v13, v17, -v6
	v_lshlrev_b64 v[3:4], 3, v[3:4]
	v_add_f32_e32 v6, v8, v9
	s_add_u32 s0, s4, s0
	s_addc_u32 s1, s5, s1
	v_add_f32_e32 v0, v1, v5
	v_add_co_u32 v3, vcc_lo, s0, v3
	v_mul_f32_e32 v1, s2, v6
	v_mul_f32_e32 v5, s3, v6
	v_add_co_ci_u32_e64 v4, null, s1, v4, vcc_lo
	v_add_co_u32 v2, vcc_lo, v3, v2
	v_fmac_f32_e32 v1, s3, v0
	v_fma_f32 v0, s2, v0, -v5
	v_add_co_ci_u32_e64 v3, null, 0, v4, vcc_lo
	global_store_dwordx2 v[2:3], v[0:1], off
.LBB103_15:
	s_endpgm
	.section	.rodata,"a",@progbits
	.p2align	6, 0x0
	.amdhsa_kernel _ZL23rocblas_trmm_rNx_kernelILi16E19rocblas_complex_numIfES1_KS1_S1_Ev13rocblas_fill_17rocblas_diagonal_iiT1_lPT2_llS7_llPT3_lli
		.amdhsa_group_segment_fixed_size 4096
		.amdhsa_private_segment_fixed_size 0
		.amdhsa_kernarg_size 108
		.amdhsa_user_sgpr_count 6
		.amdhsa_user_sgpr_private_segment_buffer 1
		.amdhsa_user_sgpr_dispatch_ptr 0
		.amdhsa_user_sgpr_queue_ptr 0
		.amdhsa_user_sgpr_kernarg_segment_ptr 1
		.amdhsa_user_sgpr_dispatch_id 0
		.amdhsa_user_sgpr_flat_scratch_init 0
		.amdhsa_user_sgpr_private_segment_size 0
		.amdhsa_wavefront_size32 1
		.amdhsa_uses_dynamic_stack 0
		.amdhsa_system_sgpr_private_segment_wavefront_offset 0
		.amdhsa_system_sgpr_workgroup_id_x 1
		.amdhsa_system_sgpr_workgroup_id_y 0
		.amdhsa_system_sgpr_workgroup_id_z 1
		.amdhsa_system_sgpr_workgroup_info 0
		.amdhsa_system_vgpr_workitem_id 1
		.amdhsa_next_free_vgpr 60
		.amdhsa_next_free_sgpr 30
		.amdhsa_reserve_vcc 1
		.amdhsa_reserve_flat_scratch 0
		.amdhsa_float_round_mode_32 0
		.amdhsa_float_round_mode_16_64 0
		.amdhsa_float_denorm_mode_32 3
		.amdhsa_float_denorm_mode_16_64 3
		.amdhsa_dx10_clamp 1
		.amdhsa_ieee_mode 1
		.amdhsa_fp16_overflow 0
		.amdhsa_workgroup_processor_mode 1
		.amdhsa_memory_ordered 1
		.amdhsa_forward_progress 1
		.amdhsa_shared_vgpr_count 0
		.amdhsa_exception_fp_ieee_invalid_op 0
		.amdhsa_exception_fp_denorm_src 0
		.amdhsa_exception_fp_ieee_div_zero 0
		.amdhsa_exception_fp_ieee_overflow 0
		.amdhsa_exception_fp_ieee_underflow 0
		.amdhsa_exception_fp_ieee_inexact 0
		.amdhsa_exception_int_div_zero 0
	.end_amdhsa_kernel
	.section	.text._ZL23rocblas_trmm_rNx_kernelILi16E19rocblas_complex_numIfES1_KS1_S1_Ev13rocblas_fill_17rocblas_diagonal_iiT1_lPT2_llS7_llPT3_lli,"axG",@progbits,_ZL23rocblas_trmm_rNx_kernelILi16E19rocblas_complex_numIfES1_KS1_S1_Ev13rocblas_fill_17rocblas_diagonal_iiT1_lPT2_llS7_llPT3_lli,comdat
.Lfunc_end103:
	.size	_ZL23rocblas_trmm_rNx_kernelILi16E19rocblas_complex_numIfES1_KS1_S1_Ev13rocblas_fill_17rocblas_diagonal_iiT1_lPT2_llS7_llPT3_lli, .Lfunc_end103-_ZL23rocblas_trmm_rNx_kernelILi16E19rocblas_complex_numIfES1_KS1_S1_Ev13rocblas_fill_17rocblas_diagonal_iiT1_lPT2_llS7_llPT3_lli
                                        ; -- End function
	.set _ZL23rocblas_trmm_rNx_kernelILi16E19rocblas_complex_numIfES1_KS1_S1_Ev13rocblas_fill_17rocblas_diagonal_iiT1_lPT2_llS7_llPT3_lli.num_vgpr, 60
	.set _ZL23rocblas_trmm_rNx_kernelILi16E19rocblas_complex_numIfES1_KS1_S1_Ev13rocblas_fill_17rocblas_diagonal_iiT1_lPT2_llS7_llPT3_lli.num_agpr, 0
	.set _ZL23rocblas_trmm_rNx_kernelILi16E19rocblas_complex_numIfES1_KS1_S1_Ev13rocblas_fill_17rocblas_diagonal_iiT1_lPT2_llS7_llPT3_lli.numbered_sgpr, 30
	.set _ZL23rocblas_trmm_rNx_kernelILi16E19rocblas_complex_numIfES1_KS1_S1_Ev13rocblas_fill_17rocblas_diagonal_iiT1_lPT2_llS7_llPT3_lli.num_named_barrier, 0
	.set _ZL23rocblas_trmm_rNx_kernelILi16E19rocblas_complex_numIfES1_KS1_S1_Ev13rocblas_fill_17rocblas_diagonal_iiT1_lPT2_llS7_llPT3_lli.private_seg_size, 0
	.set _ZL23rocblas_trmm_rNx_kernelILi16E19rocblas_complex_numIfES1_KS1_S1_Ev13rocblas_fill_17rocblas_diagonal_iiT1_lPT2_llS7_llPT3_lli.uses_vcc, 1
	.set _ZL23rocblas_trmm_rNx_kernelILi16E19rocblas_complex_numIfES1_KS1_S1_Ev13rocblas_fill_17rocblas_diagonal_iiT1_lPT2_llS7_llPT3_lli.uses_flat_scratch, 0
	.set _ZL23rocblas_trmm_rNx_kernelILi16E19rocblas_complex_numIfES1_KS1_S1_Ev13rocblas_fill_17rocblas_diagonal_iiT1_lPT2_llS7_llPT3_lli.has_dyn_sized_stack, 0
	.set _ZL23rocblas_trmm_rNx_kernelILi16E19rocblas_complex_numIfES1_KS1_S1_Ev13rocblas_fill_17rocblas_diagonal_iiT1_lPT2_llS7_llPT3_lli.has_recursion, 0
	.set _ZL23rocblas_trmm_rNx_kernelILi16E19rocblas_complex_numIfES1_KS1_S1_Ev13rocblas_fill_17rocblas_diagonal_iiT1_lPT2_llS7_llPT3_lli.has_indirect_call, 0
	.section	.AMDGPU.csdata,"",@progbits
; Kernel info:
; codeLenInByte = 1304
; TotalNumSgprs: 32
; NumVgprs: 60
; ScratchSize: 0
; MemoryBound: 0
; FloatMode: 240
; IeeeMode: 1
; LDSByteSize: 4096 bytes/workgroup (compile time only)
; SGPRBlocks: 0
; VGPRBlocks: 7
; NumSGPRsForWavesPerEU: 32
; NumVGPRsForWavesPerEU: 60
; Occupancy: 16
; WaveLimiterHint : 0
; COMPUTE_PGM_RSRC2:SCRATCH_EN: 0
; COMPUTE_PGM_RSRC2:USER_SGPR: 6
; COMPUTE_PGM_RSRC2:TRAP_HANDLER: 0
; COMPUTE_PGM_RSRC2:TGID_X_EN: 1
; COMPUTE_PGM_RSRC2:TGID_Y_EN: 0
; COMPUTE_PGM_RSRC2:TGID_Z_EN: 1
; COMPUTE_PGM_RSRC2:TIDIG_COMP_CNT: 1
	.section	.text._ZL23rocblas_trmm_rTx_kernelILi16ELb0E19rocblas_complex_numIfEPKS1_S2_S1_Ev13rocblas_fill_17rocblas_diagonal_iiT2_lPT3_llS8_llPT4_lli,"axG",@progbits,_ZL23rocblas_trmm_rTx_kernelILi16ELb0E19rocblas_complex_numIfEPKS1_S2_S1_Ev13rocblas_fill_17rocblas_diagonal_iiT2_lPT3_llS8_llPT4_lli,comdat
	.globl	_ZL23rocblas_trmm_rTx_kernelILi16ELb0E19rocblas_complex_numIfEPKS1_S2_S1_Ev13rocblas_fill_17rocblas_diagonal_iiT2_lPT3_llS8_llPT4_lli ; -- Begin function _ZL23rocblas_trmm_rTx_kernelILi16ELb0E19rocblas_complex_numIfEPKS1_S2_S1_Ev13rocblas_fill_17rocblas_diagonal_iiT2_lPT3_llS8_llPT4_lli
	.p2align	8
	.type	_ZL23rocblas_trmm_rTx_kernelILi16ELb0E19rocblas_complex_numIfEPKS1_S2_S1_Ev13rocblas_fill_17rocblas_diagonal_iiT2_lPT3_llS8_llPT4_lli,@function
_ZL23rocblas_trmm_rTx_kernelILi16ELb0E19rocblas_complex_numIfEPKS1_S2_S1_Ev13rocblas_fill_17rocblas_diagonal_iiT2_lPT3_llS8_llPT4_lli: ; @_ZL23rocblas_trmm_rTx_kernelILi16ELb0E19rocblas_complex_numIfEPKS1_S2_S1_Ev13rocblas_fill_17rocblas_diagonal_iiT2_lPT3_llS8_llPT4_lli
; %bb.0:
	s_load_dwordx16 s[8:23], s[4:5], 0x10
	s_waitcnt lgkmcnt(0)
	s_mul_i32 s1, s11, s7
	s_mul_hi_u32 s2, s10, s7
	s_mul_i32 s0, s10, s7
	s_add_i32 s1, s2, s1
	s_mov_b32 s2, 0
	s_lshl_b64 s[0:1], s[0:1], 3
	s_add_u32 s0, s8, s0
	s_addc_u32 s1, s9, s1
	s_load_dwordx2 s[24:25], s[0:1], 0x0
	s_waitcnt lgkmcnt(0)
	v_cmp_neq_f32_e64 s0, s24, 0
	v_cmp_neq_f32_e64 s1, s25, 0
	s_or_b32 s0, s0, s1
	s_andn2_b32 vcc_lo, exec_lo, s0
	s_cbranch_vccnz .LBB104_15
; %bb.1:
	s_load_dwordx4 s[8:11], s[4:5], 0x0
	v_lshlrev_b32_e32 v2, 4, v1
	s_mov_b32 s3, s2
	v_mov_b32_e32 v5, s3
	v_mov_b32_e32 v4, s2
	v_add_lshl_u32 v3, v2, v0, 3
	v_lshlrev_b32_e32 v2, 3, v0
	ds_write2st64_b64 v3, v[4:5], v[4:5] offset1:4
	s_waitcnt lgkmcnt(0)
	v_cmp_gt_i32_e32 vcc_lo, s11, v1
	v_cmp_gt_i32_e64 s0, s11, v0
	s_and_b32 s0, vcc_lo, s0
	s_and_saveexec_b32 s1, s0
	s_cbranch_execz .LBB104_3
; %bb.2:
	v_mad_u64_u32 v[4:5], null, s14, v1, 0
	s_mul_i32 s0, s17, s7
	s_mul_hi_u32 s3, s16, s7
	s_mul_i32 s2, s16, s7
	s_add_i32 s3, s3, s0
	s_lshl_b64 s[2:3], s[2:3], 3
	v_mad_u64_u32 v[5:6], null, s15, v1, v[5:6]
	s_add_u32 s0, s12, s2
	s_addc_u32 s2, s13, s3
	v_lshlrev_b64 v[4:5], 3, v[4:5]
	v_add_co_u32 v4, s0, s0, v4
	v_add_co_ci_u32_e64 v5, null, s2, v5, s0
	v_add_co_u32 v4, s0, v4, v2
	v_add_co_ci_u32_e64 v5, null, 0, v5, s0
	global_load_dwordx2 v[4:5], v[4:5], off
	s_waitcnt vmcnt(0)
	ds_write_b64 v3, v[4:5]
.LBB104_3:
	s_or_b32 exec_lo, exec_lo, s1
	s_add_i32 s0, s10, -1
	s_ashr_i32 s1, s0, 31
	s_lshr_b32 s1, s1, 28
	s_add_i32 s0, s0, s1
	s_and_b32 s1, s0, -16
	s_ashr_i32 s0, s0, 4
	s_sub_i32 s1, s10, s1
	s_cmp_ge_i32 s6, s0
	s_cselect_b32 s0, s1, 16
	s_lshl_b32 s10, s6, 4
	v_cmp_gt_i32_e64 s0, s0, v0
	s_ashr_i32 s11, s10, 31
	s_and_b32 s0, vcc_lo, s0
	s_and_saveexec_b32 s1, s0
	s_cbranch_execz .LBB104_5
; %bb.4:
	v_mad_u64_u32 v[4:5], null, s20, v1, 0
	s_mul_i32 s3, s23, s7
	s_mul_hi_u32 s6, s22, s7
	s_mul_i32 s2, s22, s7
	s_add_i32 s3, s6, s3
	s_lshl_b64 s[2:3], s[2:3], 3
	v_mad_u64_u32 v[5:6], null, s21, v1, v[5:6]
	s_add_u32 s6, s18, s2
	s_addc_u32 s12, s19, s3
	s_lshl_b64 s[2:3], s[10:11], 3
	v_add_nc_u32_e32 v6, 0x800, v3
	s_add_u32 s2, s6, s2
	s_addc_u32 s3, s12, s3
	v_lshlrev_b64 v[4:5], 3, v[4:5]
	v_add_co_u32 v4, vcc_lo, s2, v4
	v_add_co_ci_u32_e64 v5, null, s3, v5, vcc_lo
	v_add_co_u32 v4, vcc_lo, v4, v2
	v_add_co_ci_u32_e64 v5, null, 0, v5, vcc_lo
	global_load_dwordx2 v[4:5], v[4:5], off
	s_waitcnt vmcnt(0)
	ds_write_b64 v6, v[4:5]
.LBB104_5:
	s_or_b32 exec_lo, exec_lo, s1
	v_cmp_eq_u32_e32 vcc_lo, v1, v0
	s_cmpk_eq_i32 s9, 0x84
	s_cselect_b32 s1, -1, 0
	s_and_b32 s2, vcc_lo, s1
	s_and_saveexec_b32 s1, s2
; %bb.6:
	v_mov_b32_e32 v4, 1.0
	v_mov_b32_e32 v5, 0
	ds_write_b64 v3, v[4:5]
; %bb.7:
	s_or_b32 exec_lo, exec_lo, s1
	s_cmpk_lg_i32 s8, 0x79
	s_cbranch_scc0 .LBB104_9
; %bb.8:
	v_cmp_lt_u32_e32 vcc_lo, v0, v1
	s_and_b32 s1, vcc_lo, exec_lo
	s_cbranch_execz .LBB104_10
	s_branch .LBB104_11
.LBB104_9:
	s_mov_b32 s1, 0
.LBB104_10:
	v_cmp_gt_u32_e32 vcc_lo, v0, v1
	s_andn2_b32 s1, s1, exec_lo
	s_and_b32 s2, vcc_lo, exec_lo
	s_or_b32 s1, s1, s2
.LBB104_11:
	s_and_saveexec_b32 s2, s1
; %bb.12:
	v_mov_b32_e32 v4, 0
	v_mov_b32_e32 v5, v4
	ds_write_b64 v3, v[4:5]
; %bb.13:
	s_or_b32 exec_lo, exec_lo, s2
	s_waitcnt lgkmcnt(0)
	s_barrier
	buffer_gl0_inv
	s_and_saveexec_b32 s1, s0
	s_cbranch_execz .LBB104_15
; %bb.14:
	v_lshlrev_b32_e32 v0, 3, v1
	v_add_nc_u32_e32 v55, 0x800, v2
	ds_read2_b64 v[3:6], v0 offset1:16
	ds_read2_b64 v[7:10], v55 offset1:16
	ds_read2_b64 v[11:14], v0 offset0:32 offset1:48
	ds_read2_b64 v[15:18], v55 offset0:32 offset1:48
	s_clause 0x1
	s_load_dwordx4 s[0:3], s[4:5], 0x50
	s_load_dwordx2 s[4:5], s[4:5], 0x60
	ds_read2_b64 v[19:22], v0 offset0:64 offset1:80
	ds_read2_b64 v[23:26], v55 offset0:64 offset1:80
	;; [unrolled: 1-line block ×9, first 2 shown]
	s_waitcnt lgkmcnt(0)
	v_mul_f32_e32 v56, v3, v8
	v_mul_f32_e32 v57, v5, v10
	;; [unrolled: 1-line block ×5, first 2 shown]
	v_fmac_f32_e32 v56, v4, v7
	v_fmac_f32_e32 v57, v6, v9
	v_fma_f32 v58, v3, v7, -v8
	v_mul_f32_e32 v61, v13, v18
	v_mul_f32_e32 v7, v12, v16
	;; [unrolled: 1-line block ×3, first 2 shown]
	v_add_f32_e32 v16, 0, v56
	v_fma_f32 v59, v5, v9, -v10
	ds_read2_b64 v[3:6], v55 offset0:192 offset1:208
	v_fmac_f32_e32 v60, v12, v15
	v_fmac_f32_e32 v61, v14, v17
	v_fma_f32 v15, v11, v15, -v7
	v_fma_f32 v17, v13, v17, -v8
	ds_read2_b64 v[7:10], v0 offset0:224 offset1:240
	ds_read2_b64 v[11:14], v55 offset0:224 offset1:240
	v_add_f32_e32 v0, v16, v57
	v_mul_f32_e32 v16, v19, v24
	v_mul_f32_e32 v24, v20, v24
	;; [unrolled: 1-line block ×4, first 2 shown]
	v_add_f32_e32 v0, v0, v60
	v_fmac_f32_e32 v16, v20, v23
	v_add_f32_e32 v20, 0, v58
	v_fmac_f32_e32 v18, v22, v25
	v_mul_f32_e32 v22, v27, v32
	v_add_f32_e32 v0, v0, v61
	v_fma_f32 v19, v19, v23, -v24
	v_add_f32_e32 v20, v20, v59
	v_mul_f32_e32 v23, v29, v34
	v_fmac_f32_e32 v22, v28, v31
	v_add_f32_e32 v0, v0, v16
	v_mul_f32_e32 v24, v35, v40
	v_add_f32_e32 v15, v20, v15
	v_fmac_f32_e32 v23, v30, v33
	v_fma_f32 v21, v21, v25, -v26
	v_add_f32_e32 v0, v0, v18
	v_mul_f32_e32 v25, v37, v42
	v_add_f32_e32 v15, v15, v17
	v_fmac_f32_e32 v24, v36, v39
	v_mul_f32_e32 v16, v43, v48
	v_add_f32_e32 v0, v0, v22
	v_mul_f32_e32 v22, v28, v32
	v_add_f32_e32 v15, v15, v19
	v_mul_f32_e32 v19, v30, v34
	v_fmac_f32_e32 v25, v38, v41
	v_add_f32_e32 v0, v0, v23
	v_fma_f32 v22, v27, v31, -v22
	v_add_f32_e32 v15, v15, v21
	v_mul_f32_e32 v21, v36, v40
	v_fma_f32 v19, v29, v33, -v19
	v_add_f32_e32 v0, v0, v24
	v_mul_f32_e32 v20, v45, v50
	v_add_f32_e32 v15, v15, v22
	v_fmac_f32_e32 v16, v44, v47
	v_mul_f32_e32 v22, v38, v42
	v_add_f32_e32 v0, v0, v25
	v_fma_f32 v21, v35, v39, -v21
	v_add_f32_e32 v15, v15, v19
	s_waitcnt lgkmcnt(2)
	v_mul_f32_e32 v18, v51, v4
	v_fmac_f32_e32 v20, v46, v49
	v_add_f32_e32 v0, v0, v16
	v_mul_f32_e32 v19, v44, v48
	v_fma_f32 v16, v37, v41, -v22
	v_add_f32_e32 v15, v15, v21
	v_mul_f32_e32 v17, v53, v6
	v_fmac_f32_e32 v18, v52, v3
	v_add_f32_e32 v0, v0, v20
	v_mul_f32_e32 v21, v46, v50
	v_fma_f32 v19, v43, v47, -v19
	v_add_f32_e32 v15, v15, v16
	v_fmac_f32_e32 v17, v54, v5
	v_add_f32_e32 v0, v0, v18
	v_fma_f32 v16, v45, v49, -v21
	v_mul_f32_e32 v4, v52, v4
	v_add_f32_e32 v15, v15, v19
	v_mul_f32_e32 v6, v54, v6
	v_add_f32_e32 v0, v0, v17
	s_waitcnt lgkmcnt(0)
	v_mul_f32_e32 v17, v7, v12
	s_mul_i32 s5, s5, s7
	v_add_f32_e32 v15, v15, v16
	v_fma_f32 v16, v51, v3, -v4
	v_mad_u64_u32 v[3:4], null, s2, v1, 0
	v_fmac_f32_e32 v17, v8, v11
	v_fma_f32 v5, v53, v5, -v6
	v_mul_f32_e32 v6, v8, v12
	v_add_f32_e32 v15, v15, v16
	v_mul_f32_e32 v12, v9, v14
	v_add_f32_e32 v8, v0, v17
	v_mov_b32_e32 v0, v4
	s_mul_hi_u32 s6, s4, s7
	v_add_f32_e32 v4, v15, v5
	v_fma_f32 v5, v7, v11, -v6
	s_add_i32 s5, s6, s5
	v_mad_u64_u32 v[0:1], null, s3, v1, v[0:1]
	s_mul_i32 s4, s4, s7
	v_add_f32_e32 v1, v4, v5
	v_mul_f32_e32 v6, v10, v14
	v_fmac_f32_e32 v12, v10, v13
	s_lshl_b64 s[2:3], s[4:5], 3
	v_mov_b32_e32 v4, v0
	s_add_u32 s2, s0, s2
	s_addc_u32 s3, s1, s3
	s_lshl_b64 s[0:1], s[10:11], 3
	v_fma_f32 v5, v9, v13, -v6
	v_lshlrev_b64 v[3:4], 3, v[3:4]
	v_add_f32_e32 v6, v8, v12
	s_add_u32 s0, s2, s0
	s_addc_u32 s1, s3, s1
	v_add_f32_e32 v0, v1, v5
	v_add_co_u32 v3, vcc_lo, s0, v3
	v_mul_f32_e32 v1, s24, v6
	v_mul_f32_e32 v5, s25, v6
	v_add_co_ci_u32_e64 v4, null, s1, v4, vcc_lo
	v_add_co_u32 v2, vcc_lo, v3, v2
	v_fmac_f32_e32 v1, s25, v0
	v_fma_f32 v0, s24, v0, -v5
	v_add_co_ci_u32_e64 v3, null, 0, v4, vcc_lo
	global_store_dwordx2 v[2:3], v[0:1], off
.LBB104_15:
	s_endpgm
	.section	.rodata,"a",@progbits
	.p2align	6, 0x0
	.amdhsa_kernel _ZL23rocblas_trmm_rTx_kernelILi16ELb0E19rocblas_complex_numIfEPKS1_S2_S1_Ev13rocblas_fill_17rocblas_diagonal_iiT2_lPT3_llS8_llPT4_lli
		.amdhsa_group_segment_fixed_size 4096
		.amdhsa_private_segment_fixed_size 0
		.amdhsa_kernarg_size 108
		.amdhsa_user_sgpr_count 6
		.amdhsa_user_sgpr_private_segment_buffer 1
		.amdhsa_user_sgpr_dispatch_ptr 0
		.amdhsa_user_sgpr_queue_ptr 0
		.amdhsa_user_sgpr_kernarg_segment_ptr 1
		.amdhsa_user_sgpr_dispatch_id 0
		.amdhsa_user_sgpr_flat_scratch_init 0
		.amdhsa_user_sgpr_private_segment_size 0
		.amdhsa_wavefront_size32 1
		.amdhsa_uses_dynamic_stack 0
		.amdhsa_system_sgpr_private_segment_wavefront_offset 0
		.amdhsa_system_sgpr_workgroup_id_x 1
		.amdhsa_system_sgpr_workgroup_id_y 0
		.amdhsa_system_sgpr_workgroup_id_z 1
		.amdhsa_system_sgpr_workgroup_info 0
		.amdhsa_system_vgpr_workitem_id 1
		.amdhsa_next_free_vgpr 62
		.amdhsa_next_free_sgpr 26
		.amdhsa_reserve_vcc 1
		.amdhsa_reserve_flat_scratch 0
		.amdhsa_float_round_mode_32 0
		.amdhsa_float_round_mode_16_64 0
		.amdhsa_float_denorm_mode_32 3
		.amdhsa_float_denorm_mode_16_64 3
		.amdhsa_dx10_clamp 1
		.amdhsa_ieee_mode 1
		.amdhsa_fp16_overflow 0
		.amdhsa_workgroup_processor_mode 1
		.amdhsa_memory_ordered 1
		.amdhsa_forward_progress 1
		.amdhsa_shared_vgpr_count 0
		.amdhsa_exception_fp_ieee_invalid_op 0
		.amdhsa_exception_fp_denorm_src 0
		.amdhsa_exception_fp_ieee_div_zero 0
		.amdhsa_exception_fp_ieee_overflow 0
		.amdhsa_exception_fp_ieee_underflow 0
		.amdhsa_exception_fp_ieee_inexact 0
		.amdhsa_exception_int_div_zero 0
	.end_amdhsa_kernel
	.section	.text._ZL23rocblas_trmm_rTx_kernelILi16ELb0E19rocblas_complex_numIfEPKS1_S2_S1_Ev13rocblas_fill_17rocblas_diagonal_iiT2_lPT3_llS8_llPT4_lli,"axG",@progbits,_ZL23rocblas_trmm_rTx_kernelILi16ELb0E19rocblas_complex_numIfEPKS1_S2_S1_Ev13rocblas_fill_17rocblas_diagonal_iiT2_lPT3_llS8_llPT4_lli,comdat
.Lfunc_end104:
	.size	_ZL23rocblas_trmm_rTx_kernelILi16ELb0E19rocblas_complex_numIfEPKS1_S2_S1_Ev13rocblas_fill_17rocblas_diagonal_iiT2_lPT3_llS8_llPT4_lli, .Lfunc_end104-_ZL23rocblas_trmm_rTx_kernelILi16ELb0E19rocblas_complex_numIfEPKS1_S2_S1_Ev13rocblas_fill_17rocblas_diagonal_iiT2_lPT3_llS8_llPT4_lli
                                        ; -- End function
	.set _ZL23rocblas_trmm_rTx_kernelILi16ELb0E19rocblas_complex_numIfEPKS1_S2_S1_Ev13rocblas_fill_17rocblas_diagonal_iiT2_lPT3_llS8_llPT4_lli.num_vgpr, 62
	.set _ZL23rocblas_trmm_rTx_kernelILi16ELb0E19rocblas_complex_numIfEPKS1_S2_S1_Ev13rocblas_fill_17rocblas_diagonal_iiT2_lPT3_llS8_llPT4_lli.num_agpr, 0
	.set _ZL23rocblas_trmm_rTx_kernelILi16ELb0E19rocblas_complex_numIfEPKS1_S2_S1_Ev13rocblas_fill_17rocblas_diagonal_iiT2_lPT3_llS8_llPT4_lli.numbered_sgpr, 26
	.set _ZL23rocblas_trmm_rTx_kernelILi16ELb0E19rocblas_complex_numIfEPKS1_S2_S1_Ev13rocblas_fill_17rocblas_diagonal_iiT2_lPT3_llS8_llPT4_lli.num_named_barrier, 0
	.set _ZL23rocblas_trmm_rTx_kernelILi16ELb0E19rocblas_complex_numIfEPKS1_S2_S1_Ev13rocblas_fill_17rocblas_diagonal_iiT2_lPT3_llS8_llPT4_lli.private_seg_size, 0
	.set _ZL23rocblas_trmm_rTx_kernelILi16ELb0E19rocblas_complex_numIfEPKS1_S2_S1_Ev13rocblas_fill_17rocblas_diagonal_iiT2_lPT3_llS8_llPT4_lli.uses_vcc, 1
	.set _ZL23rocblas_trmm_rTx_kernelILi16ELb0E19rocblas_complex_numIfEPKS1_S2_S1_Ev13rocblas_fill_17rocblas_diagonal_iiT2_lPT3_llS8_llPT4_lli.uses_flat_scratch, 0
	.set _ZL23rocblas_trmm_rTx_kernelILi16ELb0E19rocblas_complex_numIfEPKS1_S2_S1_Ev13rocblas_fill_17rocblas_diagonal_iiT2_lPT3_llS8_llPT4_lli.has_dyn_sized_stack, 0
	.set _ZL23rocblas_trmm_rTx_kernelILi16ELb0E19rocblas_complex_numIfEPKS1_S2_S1_Ev13rocblas_fill_17rocblas_diagonal_iiT2_lPT3_llS8_llPT4_lli.has_recursion, 0
	.set _ZL23rocblas_trmm_rTx_kernelILi16ELb0E19rocblas_complex_numIfEPKS1_S2_S1_Ev13rocblas_fill_17rocblas_diagonal_iiT2_lPT3_llS8_llPT4_lli.has_indirect_call, 0
	.section	.AMDGPU.csdata,"",@progbits
; Kernel info:
; codeLenInByte = 1344
; TotalNumSgprs: 28
; NumVgprs: 62
; ScratchSize: 0
; MemoryBound: 0
; FloatMode: 240
; IeeeMode: 1
; LDSByteSize: 4096 bytes/workgroup (compile time only)
; SGPRBlocks: 0
; VGPRBlocks: 7
; NumSGPRsForWavesPerEU: 28
; NumVGPRsForWavesPerEU: 62
; Occupancy: 16
; WaveLimiterHint : 0
; COMPUTE_PGM_RSRC2:SCRATCH_EN: 0
; COMPUTE_PGM_RSRC2:USER_SGPR: 6
; COMPUTE_PGM_RSRC2:TRAP_HANDLER: 0
; COMPUTE_PGM_RSRC2:TGID_X_EN: 1
; COMPUTE_PGM_RSRC2:TGID_Y_EN: 0
; COMPUTE_PGM_RSRC2:TGID_Z_EN: 1
; COMPUTE_PGM_RSRC2:TIDIG_COMP_CNT: 1
	.section	.text._ZL23rocblas_trmm_rTx_kernelILi16ELb0E19rocblas_complex_numIfES1_KS1_S1_Ev13rocblas_fill_17rocblas_diagonal_iiT2_lPT3_llS7_llPT4_lli,"axG",@progbits,_ZL23rocblas_trmm_rTx_kernelILi16ELb0E19rocblas_complex_numIfES1_KS1_S1_Ev13rocblas_fill_17rocblas_diagonal_iiT2_lPT3_llS7_llPT4_lli,comdat
	.globl	_ZL23rocblas_trmm_rTx_kernelILi16ELb0E19rocblas_complex_numIfES1_KS1_S1_Ev13rocblas_fill_17rocblas_diagonal_iiT2_lPT3_llS7_llPT4_lli ; -- Begin function _ZL23rocblas_trmm_rTx_kernelILi16ELb0E19rocblas_complex_numIfES1_KS1_S1_Ev13rocblas_fill_17rocblas_diagonal_iiT2_lPT3_llS7_llPT4_lli
	.p2align	8
	.type	_ZL23rocblas_trmm_rTx_kernelILi16ELb0E19rocblas_complex_numIfES1_KS1_S1_Ev13rocblas_fill_17rocblas_diagonal_iiT2_lPT3_llS7_llPT4_lli,@function
_ZL23rocblas_trmm_rTx_kernelILi16ELb0E19rocblas_complex_numIfES1_KS1_S1_Ev13rocblas_fill_17rocblas_diagonal_iiT2_lPT3_llS7_llPT4_lli: ; @_ZL23rocblas_trmm_rTx_kernelILi16ELb0E19rocblas_complex_numIfES1_KS1_S1_Ev13rocblas_fill_17rocblas_diagonal_iiT2_lPT3_llS7_llPT4_lli
; %bb.0:
	s_load_dwordx2 s[2:3], s[4:5], 0x10
	s_mov_b32 s28, 0
	s_waitcnt lgkmcnt(0)
	v_cmp_neq_f32_e64 s0, s2, 0
	v_cmp_neq_f32_e64 s1, s3, 0
	s_or_b32 s0, s0, s1
	s_andn2_b32 vcc_lo, exec_lo, s0
	s_cbranch_vccnz .LBB105_15
; %bb.1:
	s_clause 0x1
	s_load_dwordx4 s[24:27], s[4:5], 0x0
	s_load_dwordx16 s[8:23], s[4:5], 0x20
	v_lshlrev_b32_e32 v2, 4, v1
	s_mov_b32 s29, s28
	v_mov_b32_e32 v4, s28
	v_mov_b32_e32 v5, s29
	v_add_lshl_u32 v3, v2, v0, 3
	v_lshlrev_b32_e32 v2, 3, v0
	ds_write2st64_b64 v3, v[4:5], v[4:5] offset1:4
	s_waitcnt lgkmcnt(0)
	v_cmp_gt_i32_e32 vcc_lo, s27, v1
	v_cmp_gt_i32_e64 s0, s27, v0
	s_and_b32 s0, vcc_lo, s0
	s_and_saveexec_b32 s1, s0
	s_cbranch_execz .LBB105_3
; %bb.2:
	v_mad_u64_u32 v[4:5], null, s10, v1, 0
	s_mul_i32 s0, s13, s7
	s_mul_i32 s10, s12, s7
	v_mad_u64_u32 v[5:6], null, s11, v1, v[5:6]
	s_mul_hi_u32 s11, s12, s7
	s_add_i32 s11, s11, s0
	s_lshl_b64 s[10:11], s[10:11], 3
	s_add_u32 s0, s8, s10
	v_lshlrev_b64 v[4:5], 3, v[4:5]
	s_addc_u32 s8, s9, s11
	v_add_co_u32 v4, s0, s0, v4
	v_add_co_ci_u32_e64 v5, null, s8, v5, s0
	v_add_co_u32 v4, s0, v4, v2
	v_add_co_ci_u32_e64 v5, null, 0, v5, s0
	global_load_dwordx2 v[4:5], v[4:5], off
	s_waitcnt vmcnt(0)
	ds_write_b64 v3, v[4:5]
.LBB105_3:
	s_or_b32 exec_lo, exec_lo, s1
	s_add_i32 s0, s26, -1
	s_ashr_i32 s1, s0, 31
	s_lshr_b32 s1, s1, 28
	s_add_i32 s0, s0, s1
	s_and_b32 s1, s0, -16
	s_ashr_i32 s0, s0, 4
	s_sub_i32 s1, s26, s1
	s_cmp_ge_i32 s6, s0
	s_cselect_b32 s0, s1, 16
	s_lshl_b32 s8, s6, 4
	v_cmp_gt_i32_e64 s0, s0, v0
	s_ashr_i32 s9, s8, 31
	s_and_b32 s0, vcc_lo, s0
	s_and_saveexec_b32 s1, s0
	s_cbranch_execz .LBB105_5
; %bb.4:
	v_mad_u64_u32 v[4:5], null, s16, v1, 0
	s_mul_i32 s6, s19, s7
	s_mul_hi_u32 s11, s18, s7
	s_mul_i32 s10, s18, s7
	s_add_i32 s11, s11, s6
	s_lshl_b64 s[10:11], s[10:11], 3
	v_mad_u64_u32 v[5:6], null, s17, v1, v[5:6]
	s_add_u32 s6, s14, s10
	s_addc_u32 s12, s15, s11
	s_lshl_b64 s[10:11], s[8:9], 3
	v_add_nc_u32_e32 v6, 0x800, v3
	s_add_u32 s6, s6, s10
	s_addc_u32 s10, s12, s11
	v_lshlrev_b64 v[4:5], 3, v[4:5]
	v_add_co_u32 v4, vcc_lo, s6, v4
	v_add_co_ci_u32_e64 v5, null, s10, v5, vcc_lo
	v_add_co_u32 v4, vcc_lo, v4, v2
	v_add_co_ci_u32_e64 v5, null, 0, v5, vcc_lo
	global_load_dwordx2 v[4:5], v[4:5], off
	s_waitcnt vmcnt(0)
	ds_write_b64 v6, v[4:5]
.LBB105_5:
	s_or_b32 exec_lo, exec_lo, s1
	v_cmp_eq_u32_e32 vcc_lo, v1, v0
	s_cmpk_eq_i32 s25, 0x84
	s_cselect_b32 s1, -1, 0
	s_and_b32 s6, vcc_lo, s1
	s_and_saveexec_b32 s1, s6
; %bb.6:
	v_mov_b32_e32 v4, 1.0
	v_mov_b32_e32 v5, 0
	ds_write_b64 v3, v[4:5]
; %bb.7:
	s_or_b32 exec_lo, exec_lo, s1
	s_cmpk_lg_i32 s24, 0x79
	s_cbranch_scc0 .LBB105_9
; %bb.8:
	v_cmp_lt_u32_e32 vcc_lo, v0, v1
	s_and_b32 s1, vcc_lo, exec_lo
	s_cbranch_execz .LBB105_10
	s_branch .LBB105_11
.LBB105_9:
	s_mov_b32 s1, 0
.LBB105_10:
	v_cmp_gt_u32_e32 vcc_lo, v0, v1
	s_andn2_b32 s1, s1, exec_lo
	s_and_b32 s6, vcc_lo, exec_lo
	s_or_b32 s1, s1, s6
.LBB105_11:
	s_and_saveexec_b32 s6, s1
; %bb.12:
	v_mov_b32_e32 v4, 0
	v_mov_b32_e32 v5, v4
	ds_write_b64 v3, v[4:5]
; %bb.13:
	s_or_b32 exec_lo, exec_lo, s6
	s_waitcnt lgkmcnt(0)
	s_barrier
	buffer_gl0_inv
	s_and_saveexec_b32 s1, s0
	s_cbranch_execz .LBB105_15
; %bb.14:
	v_lshlrev_b32_e32 v0, 3, v1
	v_add_nc_u32_e32 v55, 0x800, v2
	s_load_dwordx2 s[0:1], s[4:5], 0x60
	ds_read2_b64 v[3:6], v0 offset1:16
	ds_read2_b64 v[7:10], v55 offset1:16
	ds_read2_b64 v[11:14], v0 offset0:32 offset1:48
	ds_read2_b64 v[15:18], v55 offset0:32 offset1:48
	;; [unrolled: 1-line block ×11, first 2 shown]
	s_waitcnt lgkmcnt(0)
	s_mul_i32 s1, s1, s7
	v_mul_f32_e32 v56, v3, v8
	v_mul_f32_e32 v57, v5, v10
	;; [unrolled: 1-line block ×5, first 2 shown]
	v_fmac_f32_e32 v56, v4, v7
	v_fmac_f32_e32 v57, v6, v9
	v_fma_f32 v58, v3, v7, -v8
	v_mul_f32_e32 v61, v13, v18
	v_mul_f32_e32 v7, v12, v16
	;; [unrolled: 1-line block ×3, first 2 shown]
	v_add_f32_e32 v16, 0, v56
	v_fma_f32 v59, v5, v9, -v10
	ds_read2_b64 v[3:6], v55 offset0:192 offset1:208
	v_fmac_f32_e32 v60, v12, v15
	v_fmac_f32_e32 v61, v14, v17
	v_fma_f32 v15, v11, v15, -v7
	v_fma_f32 v17, v13, v17, -v8
	ds_read2_b64 v[7:10], v0 offset0:224 offset1:240
	ds_read2_b64 v[11:14], v55 offset0:224 offset1:240
	v_add_f32_e32 v0, v16, v57
	v_mul_f32_e32 v16, v19, v24
	v_mul_f32_e32 v24, v20, v24
	;; [unrolled: 1-line block ×4, first 2 shown]
	v_add_f32_e32 v0, v0, v60
	v_fmac_f32_e32 v16, v20, v23
	v_add_f32_e32 v20, 0, v58
	v_fmac_f32_e32 v18, v22, v25
	v_mul_f32_e32 v22, v27, v32
	v_add_f32_e32 v0, v0, v61
	v_fma_f32 v19, v19, v23, -v24
	v_add_f32_e32 v20, v20, v59
	v_mul_f32_e32 v23, v29, v34
	v_fmac_f32_e32 v22, v28, v31
	v_add_f32_e32 v0, v0, v16
	v_fma_f32 v21, v21, v25, -v26
	v_add_f32_e32 v15, v20, v15
	v_mul_f32_e32 v24, v35, v40
	v_fmac_f32_e32 v23, v30, v33
	v_add_f32_e32 v0, v0, v18
	v_mul_f32_e32 v18, v28, v32
	v_add_f32_e32 v15, v15, v17
	v_mul_f32_e32 v25, v37, v42
	v_fmac_f32_e32 v24, v36, v39
	v_add_f32_e32 v0, v0, v22
	v_fma_f32 v18, v27, v31, -v18
	v_add_f32_e32 v15, v15, v19
	v_mul_f32_e32 v19, v30, v34
	v_mul_f32_e32 v26, v43, v48
	v_add_f32_e32 v0, v0, v23
	v_fmac_f32_e32 v25, v38, v41
	v_add_f32_e32 v15, v15, v21
	v_mul_f32_e32 v21, v36, v40
	v_fma_f32 v19, v29, v33, -v19
	v_add_f32_e32 v0, v0, v24
	v_mul_f32_e32 v16, v45, v50
	v_add_f32_e32 v15, v15, v18
	v_mul_f32_e32 v18, v38, v42
	v_fma_f32 v21, v35, v39, -v21
	v_fmac_f32_e32 v26, v44, v47
	v_add_f32_e32 v0, v0, v25
	v_add_f32_e32 v15, v15, v19
	v_mul_f32_e32 v19, v44, v48
	v_fma_f32 v18, v37, v41, -v18
	s_waitcnt lgkmcnt(2)
	v_mul_f32_e32 v20, v51, v4
	v_fmac_f32_e32 v16, v46, v49
	v_add_f32_e32 v15, v15, v21
	v_add_f32_e32 v0, v0, v26
	v_mul_f32_e32 v21, v46, v50
	v_fma_f32 v19, v43, v47, -v19
	v_mul_f32_e32 v17, v53, v6
	v_add_f32_e32 v15, v15, v18
	v_fmac_f32_e32 v20, v52, v3
	v_add_f32_e32 v0, v0, v16
	v_fma_f32 v16, v45, v49, -v21
	v_mul_f32_e32 v4, v52, v4
	v_add_f32_e32 v15, v15, v19
	v_fmac_f32_e32 v17, v54, v5
	v_add_f32_e32 v0, v0, v20
	s_waitcnt lgkmcnt(0)
	v_mul_f32_e32 v18, v7, v12
	v_mul_f32_e32 v6, v54, v6
	v_add_f32_e32 v15, v15, v16
	v_fma_f32 v16, v51, v3, -v4
	v_mad_u64_u32 v[3:4], null, s22, v1, 0
	v_add_f32_e32 v0, v0, v17
	v_fmac_f32_e32 v18, v8, v11
	v_fma_f32 v5, v53, v5, -v6
	v_mul_f32_e32 v6, v8, v12
	v_add_f32_e32 v15, v15, v16
	v_mul_f32_e32 v12, v9, v14
	v_add_f32_e32 v8, v0, v18
	v_mov_b32_e32 v0, v4
	s_mul_hi_u32 s4, s0, s7
	v_add_f32_e32 v4, v15, v5
	v_fma_f32 v5, v7, v11, -v6
	s_add_i32 s1, s4, s1
	v_mad_u64_u32 v[0:1], null, s23, v1, v[0:1]
	s_mul_i32 s0, s0, s7
	v_add_f32_e32 v1, v4, v5
	v_mul_f32_e32 v6, v10, v14
	v_fmac_f32_e32 v12, v10, v13
	s_lshl_b64 s[0:1], s[0:1], 3
	v_mov_b32_e32 v4, v0
	s_add_u32 s4, s20, s0
	s_addc_u32 s5, s21, s1
	s_lshl_b64 s[0:1], s[8:9], 3
	v_fma_f32 v5, v9, v13, -v6
	v_lshlrev_b64 v[3:4], 3, v[3:4]
	v_add_f32_e32 v6, v8, v12
	s_add_u32 s0, s4, s0
	s_addc_u32 s1, s5, s1
	v_add_f32_e32 v0, v1, v5
	v_add_co_u32 v3, vcc_lo, s0, v3
	v_mul_f32_e32 v1, s2, v6
	v_mul_f32_e32 v5, s3, v6
	v_add_co_ci_u32_e64 v4, null, s1, v4, vcc_lo
	v_add_co_u32 v2, vcc_lo, v3, v2
	v_fmac_f32_e32 v1, s3, v0
	v_fma_f32 v0, s2, v0, -v5
	v_add_co_ci_u32_e64 v3, null, 0, v4, vcc_lo
	global_store_dwordx2 v[2:3], v[0:1], off
.LBB105_15:
	s_endpgm
	.section	.rodata,"a",@progbits
	.p2align	6, 0x0
	.amdhsa_kernel _ZL23rocblas_trmm_rTx_kernelILi16ELb0E19rocblas_complex_numIfES1_KS1_S1_Ev13rocblas_fill_17rocblas_diagonal_iiT2_lPT3_llS7_llPT4_lli
		.amdhsa_group_segment_fixed_size 4096
		.amdhsa_private_segment_fixed_size 0
		.amdhsa_kernarg_size 108
		.amdhsa_user_sgpr_count 6
		.amdhsa_user_sgpr_private_segment_buffer 1
		.amdhsa_user_sgpr_dispatch_ptr 0
		.amdhsa_user_sgpr_queue_ptr 0
		.amdhsa_user_sgpr_kernarg_segment_ptr 1
		.amdhsa_user_sgpr_dispatch_id 0
		.amdhsa_user_sgpr_flat_scratch_init 0
		.amdhsa_user_sgpr_private_segment_size 0
		.amdhsa_wavefront_size32 1
		.amdhsa_uses_dynamic_stack 0
		.amdhsa_system_sgpr_private_segment_wavefront_offset 0
		.amdhsa_system_sgpr_workgroup_id_x 1
		.amdhsa_system_sgpr_workgroup_id_y 0
		.amdhsa_system_sgpr_workgroup_id_z 1
		.amdhsa_system_sgpr_workgroup_info 0
		.amdhsa_system_vgpr_workitem_id 1
		.amdhsa_next_free_vgpr 62
		.amdhsa_next_free_sgpr 30
		.amdhsa_reserve_vcc 1
		.amdhsa_reserve_flat_scratch 0
		.amdhsa_float_round_mode_32 0
		.amdhsa_float_round_mode_16_64 0
		.amdhsa_float_denorm_mode_32 3
		.amdhsa_float_denorm_mode_16_64 3
		.amdhsa_dx10_clamp 1
		.amdhsa_ieee_mode 1
		.amdhsa_fp16_overflow 0
		.amdhsa_workgroup_processor_mode 1
		.amdhsa_memory_ordered 1
		.amdhsa_forward_progress 1
		.amdhsa_shared_vgpr_count 0
		.amdhsa_exception_fp_ieee_invalid_op 0
		.amdhsa_exception_fp_denorm_src 0
		.amdhsa_exception_fp_ieee_div_zero 0
		.amdhsa_exception_fp_ieee_overflow 0
		.amdhsa_exception_fp_ieee_underflow 0
		.amdhsa_exception_fp_ieee_inexact 0
		.amdhsa_exception_int_div_zero 0
	.end_amdhsa_kernel
	.section	.text._ZL23rocblas_trmm_rTx_kernelILi16ELb0E19rocblas_complex_numIfES1_KS1_S1_Ev13rocblas_fill_17rocblas_diagonal_iiT2_lPT3_llS7_llPT4_lli,"axG",@progbits,_ZL23rocblas_trmm_rTx_kernelILi16ELb0E19rocblas_complex_numIfES1_KS1_S1_Ev13rocblas_fill_17rocblas_diagonal_iiT2_lPT3_llS7_llPT4_lli,comdat
.Lfunc_end105:
	.size	_ZL23rocblas_trmm_rTx_kernelILi16ELb0E19rocblas_complex_numIfES1_KS1_S1_Ev13rocblas_fill_17rocblas_diagonal_iiT2_lPT3_llS7_llPT4_lli, .Lfunc_end105-_ZL23rocblas_trmm_rTx_kernelILi16ELb0E19rocblas_complex_numIfES1_KS1_S1_Ev13rocblas_fill_17rocblas_diagonal_iiT2_lPT3_llS7_llPT4_lli
                                        ; -- End function
	.set _ZL23rocblas_trmm_rTx_kernelILi16ELb0E19rocblas_complex_numIfES1_KS1_S1_Ev13rocblas_fill_17rocblas_diagonal_iiT2_lPT3_llS7_llPT4_lli.num_vgpr, 62
	.set _ZL23rocblas_trmm_rTx_kernelILi16ELb0E19rocblas_complex_numIfES1_KS1_S1_Ev13rocblas_fill_17rocblas_diagonal_iiT2_lPT3_llS7_llPT4_lli.num_agpr, 0
	.set _ZL23rocblas_trmm_rTx_kernelILi16ELb0E19rocblas_complex_numIfES1_KS1_S1_Ev13rocblas_fill_17rocblas_diagonal_iiT2_lPT3_llS7_llPT4_lli.numbered_sgpr, 30
	.set _ZL23rocblas_trmm_rTx_kernelILi16ELb0E19rocblas_complex_numIfES1_KS1_S1_Ev13rocblas_fill_17rocblas_diagonal_iiT2_lPT3_llS7_llPT4_lli.num_named_barrier, 0
	.set _ZL23rocblas_trmm_rTx_kernelILi16ELb0E19rocblas_complex_numIfES1_KS1_S1_Ev13rocblas_fill_17rocblas_diagonal_iiT2_lPT3_llS7_llPT4_lli.private_seg_size, 0
	.set _ZL23rocblas_trmm_rTx_kernelILi16ELb0E19rocblas_complex_numIfES1_KS1_S1_Ev13rocblas_fill_17rocblas_diagonal_iiT2_lPT3_llS7_llPT4_lli.uses_vcc, 1
	.set _ZL23rocblas_trmm_rTx_kernelILi16ELb0E19rocblas_complex_numIfES1_KS1_S1_Ev13rocblas_fill_17rocblas_diagonal_iiT2_lPT3_llS7_llPT4_lli.uses_flat_scratch, 0
	.set _ZL23rocblas_trmm_rTx_kernelILi16ELb0E19rocblas_complex_numIfES1_KS1_S1_Ev13rocblas_fill_17rocblas_diagonal_iiT2_lPT3_llS7_llPT4_lli.has_dyn_sized_stack, 0
	.set _ZL23rocblas_trmm_rTx_kernelILi16ELb0E19rocblas_complex_numIfES1_KS1_S1_Ev13rocblas_fill_17rocblas_diagonal_iiT2_lPT3_llS7_llPT4_lli.has_recursion, 0
	.set _ZL23rocblas_trmm_rTx_kernelILi16ELb0E19rocblas_complex_numIfES1_KS1_S1_Ev13rocblas_fill_17rocblas_diagonal_iiT2_lPT3_llS7_llPT4_lli.has_indirect_call, 0
	.section	.AMDGPU.csdata,"",@progbits
; Kernel info:
; codeLenInByte = 1304
; TotalNumSgprs: 32
; NumVgprs: 62
; ScratchSize: 0
; MemoryBound: 0
; FloatMode: 240
; IeeeMode: 1
; LDSByteSize: 4096 bytes/workgroup (compile time only)
; SGPRBlocks: 0
; VGPRBlocks: 7
; NumSGPRsForWavesPerEU: 32
; NumVGPRsForWavesPerEU: 62
; Occupancy: 16
; WaveLimiterHint : 0
; COMPUTE_PGM_RSRC2:SCRATCH_EN: 0
; COMPUTE_PGM_RSRC2:USER_SGPR: 6
; COMPUTE_PGM_RSRC2:TRAP_HANDLER: 0
; COMPUTE_PGM_RSRC2:TGID_X_EN: 1
; COMPUTE_PGM_RSRC2:TGID_Y_EN: 0
; COMPUTE_PGM_RSRC2:TGID_Z_EN: 1
; COMPUTE_PGM_RSRC2:TIDIG_COMP_CNT: 1
	.section	.text._ZL23rocblas_trmm_rTx_kernelILi16ELb1E19rocblas_complex_numIfEPKS1_S2_S1_Ev13rocblas_fill_17rocblas_diagonal_iiT2_lPT3_llS8_llPT4_lli,"axG",@progbits,_ZL23rocblas_trmm_rTx_kernelILi16ELb1E19rocblas_complex_numIfEPKS1_S2_S1_Ev13rocblas_fill_17rocblas_diagonal_iiT2_lPT3_llS8_llPT4_lli,comdat
	.globl	_ZL23rocblas_trmm_rTx_kernelILi16ELb1E19rocblas_complex_numIfEPKS1_S2_S1_Ev13rocblas_fill_17rocblas_diagonal_iiT2_lPT3_llS8_llPT4_lli ; -- Begin function _ZL23rocblas_trmm_rTx_kernelILi16ELb1E19rocblas_complex_numIfEPKS1_S2_S1_Ev13rocblas_fill_17rocblas_diagonal_iiT2_lPT3_llS8_llPT4_lli
	.p2align	8
	.type	_ZL23rocblas_trmm_rTx_kernelILi16ELb1E19rocblas_complex_numIfEPKS1_S2_S1_Ev13rocblas_fill_17rocblas_diagonal_iiT2_lPT3_llS8_llPT4_lli,@function
_ZL23rocblas_trmm_rTx_kernelILi16ELb1E19rocblas_complex_numIfEPKS1_S2_S1_Ev13rocblas_fill_17rocblas_diagonal_iiT2_lPT3_llS8_llPT4_lli: ; @_ZL23rocblas_trmm_rTx_kernelILi16ELb1E19rocblas_complex_numIfEPKS1_S2_S1_Ev13rocblas_fill_17rocblas_diagonal_iiT2_lPT3_llS8_llPT4_lli
; %bb.0:
	s_load_dwordx16 s[8:23], s[4:5], 0x10
	s_waitcnt lgkmcnt(0)
	s_mul_i32 s1, s11, s7
	s_mul_hi_u32 s2, s10, s7
	s_mul_i32 s0, s10, s7
	s_add_i32 s1, s2, s1
	s_mov_b32 s2, 0
	s_lshl_b64 s[0:1], s[0:1], 3
	s_add_u32 s0, s8, s0
	s_addc_u32 s1, s9, s1
	s_load_dwordx2 s[24:25], s[0:1], 0x0
	s_waitcnt lgkmcnt(0)
	v_cmp_neq_f32_e64 s0, s24, 0
	v_cmp_neq_f32_e64 s1, s25, 0
	s_or_b32 s0, s0, s1
	s_andn2_b32 vcc_lo, exec_lo, s0
	s_cbranch_vccnz .LBB106_15
; %bb.1:
	s_load_dwordx4 s[8:11], s[4:5], 0x0
	v_lshlrev_b32_e32 v2, 4, v1
	s_mov_b32 s3, s2
	v_mov_b32_e32 v5, s3
	v_mov_b32_e32 v4, s2
	v_add_lshl_u32 v3, v2, v0, 3
	v_lshlrev_b32_e32 v2, 3, v0
	ds_write2st64_b64 v3, v[4:5], v[4:5] offset1:4
	s_waitcnt lgkmcnt(0)
	v_cmp_gt_i32_e32 vcc_lo, s11, v1
	v_cmp_gt_i32_e64 s0, s11, v0
	s_and_b32 s0, vcc_lo, s0
	s_and_saveexec_b32 s1, s0
	s_cbranch_execz .LBB106_3
; %bb.2:
	v_mad_u64_u32 v[4:5], null, s14, v1, 0
	s_mul_i32 s0, s17, s7
	s_mul_hi_u32 s3, s16, s7
	s_mul_i32 s2, s16, s7
	s_add_i32 s3, s3, s0
	s_lshl_b64 s[2:3], s[2:3], 3
	v_mad_u64_u32 v[5:6], null, s15, v1, v[5:6]
	s_add_u32 s0, s12, s2
	s_addc_u32 s2, s13, s3
	v_lshlrev_b64 v[4:5], 3, v[4:5]
	v_add_co_u32 v4, s0, s0, v4
	v_add_co_ci_u32_e64 v5, null, s2, v5, s0
	v_add_co_u32 v4, s0, v4, v2
	v_add_co_ci_u32_e64 v5, null, 0, v5, s0
	global_load_dwordx2 v[4:5], v[4:5], off
	s_waitcnt vmcnt(0)
	v_xor_b32_e32 v5, 0x80000000, v5
	ds_write_b64 v3, v[4:5]
.LBB106_3:
	s_or_b32 exec_lo, exec_lo, s1
	s_add_i32 s0, s10, -1
	s_ashr_i32 s1, s0, 31
	s_lshr_b32 s1, s1, 28
	s_add_i32 s0, s0, s1
	s_and_b32 s1, s0, -16
	s_ashr_i32 s0, s0, 4
	s_sub_i32 s1, s10, s1
	s_cmp_ge_i32 s6, s0
	s_cselect_b32 s0, s1, 16
	s_lshl_b32 s10, s6, 4
	v_cmp_gt_i32_e64 s0, s0, v0
	s_ashr_i32 s11, s10, 31
	s_and_b32 s0, vcc_lo, s0
	s_and_saveexec_b32 s1, s0
	s_cbranch_execz .LBB106_5
; %bb.4:
	v_mad_u64_u32 v[4:5], null, s20, v1, 0
	s_mul_i32 s3, s23, s7
	s_mul_hi_u32 s6, s22, s7
	s_mul_i32 s2, s22, s7
	s_add_i32 s3, s6, s3
	s_lshl_b64 s[2:3], s[2:3], 3
	v_mad_u64_u32 v[5:6], null, s21, v1, v[5:6]
	s_add_u32 s6, s18, s2
	s_addc_u32 s12, s19, s3
	s_lshl_b64 s[2:3], s[10:11], 3
	v_add_nc_u32_e32 v6, 0x800, v3
	s_add_u32 s2, s6, s2
	s_addc_u32 s3, s12, s3
	v_lshlrev_b64 v[4:5], 3, v[4:5]
	v_add_co_u32 v4, vcc_lo, s2, v4
	v_add_co_ci_u32_e64 v5, null, s3, v5, vcc_lo
	v_add_co_u32 v4, vcc_lo, v4, v2
	v_add_co_ci_u32_e64 v5, null, 0, v5, vcc_lo
	global_load_dwordx2 v[4:5], v[4:5], off
	s_waitcnt vmcnt(0)
	ds_write_b64 v6, v[4:5]
.LBB106_5:
	s_or_b32 exec_lo, exec_lo, s1
	v_cmp_eq_u32_e32 vcc_lo, v1, v0
	s_cmpk_eq_i32 s9, 0x84
	s_cselect_b32 s1, -1, 0
	s_and_b32 s2, vcc_lo, s1
	s_and_saveexec_b32 s1, s2
; %bb.6:
	v_mov_b32_e32 v4, 1.0
	v_mov_b32_e32 v5, 0
	ds_write_b64 v3, v[4:5]
; %bb.7:
	s_or_b32 exec_lo, exec_lo, s1
	s_cmpk_lg_i32 s8, 0x79
	s_cbranch_scc0 .LBB106_9
; %bb.8:
	v_cmp_lt_u32_e32 vcc_lo, v0, v1
	s_and_b32 s1, vcc_lo, exec_lo
	s_cbranch_execz .LBB106_10
	s_branch .LBB106_11
.LBB106_9:
	s_mov_b32 s1, 0
.LBB106_10:
	v_cmp_gt_u32_e32 vcc_lo, v0, v1
	s_andn2_b32 s1, s1, exec_lo
	s_and_b32 s2, vcc_lo, exec_lo
	s_or_b32 s1, s1, s2
.LBB106_11:
	s_and_saveexec_b32 s2, s1
; %bb.12:
	v_mov_b32_e32 v4, 0
	v_mov_b32_e32 v5, v4
	ds_write_b64 v3, v[4:5]
; %bb.13:
	s_or_b32 exec_lo, exec_lo, s2
	s_waitcnt lgkmcnt(0)
	s_barrier
	buffer_gl0_inv
	s_and_saveexec_b32 s1, s0
	s_cbranch_execz .LBB106_15
; %bb.14:
	v_lshlrev_b32_e32 v0, 3, v1
	v_add_nc_u32_e32 v55, 0x800, v2
	ds_read2_b64 v[3:6], v0 offset1:16
	ds_read2_b64 v[7:10], v55 offset1:16
	ds_read2_b64 v[11:14], v0 offset0:32 offset1:48
	ds_read2_b64 v[15:18], v55 offset0:32 offset1:48
	s_clause 0x1
	s_load_dwordx4 s[0:3], s[4:5], 0x50
	s_load_dwordx2 s[4:5], s[4:5], 0x60
	ds_read2_b64 v[19:22], v0 offset0:64 offset1:80
	ds_read2_b64 v[23:26], v55 offset0:64 offset1:80
	;; [unrolled: 1-line block ×9, first 2 shown]
	s_waitcnt lgkmcnt(0)
	v_mul_f32_e32 v56, v3, v8
	v_mul_f32_e32 v57, v5, v10
	v_mul_f32_e32 v8, v4, v8
	v_mul_f32_e32 v10, v6, v10
	v_mul_f32_e32 v60, v11, v16
	v_fmac_f32_e32 v56, v4, v7
	v_fmac_f32_e32 v57, v6, v9
	v_fma_f32 v58, v3, v7, -v8
	v_mul_f32_e32 v61, v13, v18
	v_mul_f32_e32 v7, v12, v16
	;; [unrolled: 1-line block ×3, first 2 shown]
	v_add_f32_e32 v16, 0, v56
	v_fma_f32 v59, v5, v9, -v10
	ds_read2_b64 v[3:6], v55 offset0:192 offset1:208
	v_fmac_f32_e32 v60, v12, v15
	v_fmac_f32_e32 v61, v14, v17
	v_fma_f32 v15, v11, v15, -v7
	v_fma_f32 v17, v13, v17, -v8
	ds_read2_b64 v[7:10], v0 offset0:224 offset1:240
	ds_read2_b64 v[11:14], v55 offset0:224 offset1:240
	v_add_f32_e32 v0, v16, v57
	v_mul_f32_e32 v16, v19, v24
	v_mul_f32_e32 v24, v20, v24
	;; [unrolled: 1-line block ×4, first 2 shown]
	v_add_f32_e32 v0, v0, v60
	v_fmac_f32_e32 v16, v20, v23
	v_add_f32_e32 v20, 0, v58
	v_fmac_f32_e32 v18, v22, v25
	v_mul_f32_e32 v22, v27, v32
	v_add_f32_e32 v0, v0, v61
	v_fma_f32 v19, v19, v23, -v24
	v_add_f32_e32 v20, v20, v59
	v_mul_f32_e32 v23, v29, v34
	v_fmac_f32_e32 v22, v28, v31
	v_add_f32_e32 v0, v0, v16
	v_mul_f32_e32 v24, v35, v40
	v_add_f32_e32 v15, v20, v15
	v_fmac_f32_e32 v23, v30, v33
	v_fma_f32 v21, v21, v25, -v26
	v_add_f32_e32 v0, v0, v18
	v_mul_f32_e32 v25, v37, v42
	v_add_f32_e32 v15, v15, v17
	v_fmac_f32_e32 v24, v36, v39
	v_mul_f32_e32 v16, v43, v48
	v_add_f32_e32 v0, v0, v22
	v_mul_f32_e32 v22, v28, v32
	v_add_f32_e32 v15, v15, v19
	v_mul_f32_e32 v19, v30, v34
	v_fmac_f32_e32 v25, v38, v41
	v_add_f32_e32 v0, v0, v23
	v_fma_f32 v22, v27, v31, -v22
	v_add_f32_e32 v15, v15, v21
	v_mul_f32_e32 v21, v36, v40
	v_fma_f32 v19, v29, v33, -v19
	v_add_f32_e32 v0, v0, v24
	v_mul_f32_e32 v20, v45, v50
	v_add_f32_e32 v15, v15, v22
	v_fmac_f32_e32 v16, v44, v47
	v_mul_f32_e32 v22, v38, v42
	v_add_f32_e32 v0, v0, v25
	v_fma_f32 v21, v35, v39, -v21
	v_add_f32_e32 v15, v15, v19
	s_waitcnt lgkmcnt(2)
	v_mul_f32_e32 v18, v51, v4
	v_fmac_f32_e32 v20, v46, v49
	v_add_f32_e32 v0, v0, v16
	v_mul_f32_e32 v19, v44, v48
	v_fma_f32 v16, v37, v41, -v22
	v_add_f32_e32 v15, v15, v21
	v_mul_f32_e32 v17, v53, v6
	v_fmac_f32_e32 v18, v52, v3
	v_add_f32_e32 v0, v0, v20
	v_mul_f32_e32 v21, v46, v50
	v_fma_f32 v19, v43, v47, -v19
	v_add_f32_e32 v15, v15, v16
	v_fmac_f32_e32 v17, v54, v5
	v_add_f32_e32 v0, v0, v18
	v_fma_f32 v16, v45, v49, -v21
	v_mul_f32_e32 v4, v52, v4
	v_add_f32_e32 v15, v15, v19
	v_mul_f32_e32 v6, v54, v6
	v_add_f32_e32 v0, v0, v17
	s_waitcnt lgkmcnt(0)
	v_mul_f32_e32 v17, v7, v12
	s_mul_i32 s5, s5, s7
	v_add_f32_e32 v15, v15, v16
	v_fma_f32 v16, v51, v3, -v4
	v_mad_u64_u32 v[3:4], null, s2, v1, 0
	v_fmac_f32_e32 v17, v8, v11
	v_fma_f32 v5, v53, v5, -v6
	v_mul_f32_e32 v6, v8, v12
	v_add_f32_e32 v15, v15, v16
	v_mul_f32_e32 v12, v9, v14
	v_add_f32_e32 v8, v0, v17
	v_mov_b32_e32 v0, v4
	s_mul_hi_u32 s6, s4, s7
	v_add_f32_e32 v4, v15, v5
	v_fma_f32 v5, v7, v11, -v6
	s_add_i32 s5, s6, s5
	v_mad_u64_u32 v[0:1], null, s3, v1, v[0:1]
	s_mul_i32 s4, s4, s7
	v_add_f32_e32 v1, v4, v5
	v_mul_f32_e32 v6, v10, v14
	v_fmac_f32_e32 v12, v10, v13
	s_lshl_b64 s[2:3], s[4:5], 3
	v_mov_b32_e32 v4, v0
	s_add_u32 s2, s0, s2
	s_addc_u32 s3, s1, s3
	s_lshl_b64 s[0:1], s[10:11], 3
	v_fma_f32 v5, v9, v13, -v6
	v_lshlrev_b64 v[3:4], 3, v[3:4]
	v_add_f32_e32 v6, v8, v12
	s_add_u32 s0, s2, s0
	s_addc_u32 s1, s3, s1
	v_add_f32_e32 v0, v1, v5
	v_add_co_u32 v3, vcc_lo, s0, v3
	v_mul_f32_e32 v1, s24, v6
	v_mul_f32_e32 v5, s25, v6
	v_add_co_ci_u32_e64 v4, null, s1, v4, vcc_lo
	v_add_co_u32 v2, vcc_lo, v3, v2
	v_fmac_f32_e32 v1, s25, v0
	v_fma_f32 v0, s24, v0, -v5
	v_add_co_ci_u32_e64 v3, null, 0, v4, vcc_lo
	global_store_dwordx2 v[2:3], v[0:1], off
.LBB106_15:
	s_endpgm
	.section	.rodata,"a",@progbits
	.p2align	6, 0x0
	.amdhsa_kernel _ZL23rocblas_trmm_rTx_kernelILi16ELb1E19rocblas_complex_numIfEPKS1_S2_S1_Ev13rocblas_fill_17rocblas_diagonal_iiT2_lPT3_llS8_llPT4_lli
		.amdhsa_group_segment_fixed_size 4096
		.amdhsa_private_segment_fixed_size 0
		.amdhsa_kernarg_size 108
		.amdhsa_user_sgpr_count 6
		.amdhsa_user_sgpr_private_segment_buffer 1
		.amdhsa_user_sgpr_dispatch_ptr 0
		.amdhsa_user_sgpr_queue_ptr 0
		.amdhsa_user_sgpr_kernarg_segment_ptr 1
		.amdhsa_user_sgpr_dispatch_id 0
		.amdhsa_user_sgpr_flat_scratch_init 0
		.amdhsa_user_sgpr_private_segment_size 0
		.amdhsa_wavefront_size32 1
		.amdhsa_uses_dynamic_stack 0
		.amdhsa_system_sgpr_private_segment_wavefront_offset 0
		.amdhsa_system_sgpr_workgroup_id_x 1
		.amdhsa_system_sgpr_workgroup_id_y 0
		.amdhsa_system_sgpr_workgroup_id_z 1
		.amdhsa_system_sgpr_workgroup_info 0
		.amdhsa_system_vgpr_workitem_id 1
		.amdhsa_next_free_vgpr 62
		.amdhsa_next_free_sgpr 26
		.amdhsa_reserve_vcc 1
		.amdhsa_reserve_flat_scratch 0
		.amdhsa_float_round_mode_32 0
		.amdhsa_float_round_mode_16_64 0
		.amdhsa_float_denorm_mode_32 3
		.amdhsa_float_denorm_mode_16_64 3
		.amdhsa_dx10_clamp 1
		.amdhsa_ieee_mode 1
		.amdhsa_fp16_overflow 0
		.amdhsa_workgroup_processor_mode 1
		.amdhsa_memory_ordered 1
		.amdhsa_forward_progress 1
		.amdhsa_shared_vgpr_count 0
		.amdhsa_exception_fp_ieee_invalid_op 0
		.amdhsa_exception_fp_denorm_src 0
		.amdhsa_exception_fp_ieee_div_zero 0
		.amdhsa_exception_fp_ieee_overflow 0
		.amdhsa_exception_fp_ieee_underflow 0
		.amdhsa_exception_fp_ieee_inexact 0
		.amdhsa_exception_int_div_zero 0
	.end_amdhsa_kernel
	.section	.text._ZL23rocblas_trmm_rTx_kernelILi16ELb1E19rocblas_complex_numIfEPKS1_S2_S1_Ev13rocblas_fill_17rocblas_diagonal_iiT2_lPT3_llS8_llPT4_lli,"axG",@progbits,_ZL23rocblas_trmm_rTx_kernelILi16ELb1E19rocblas_complex_numIfEPKS1_S2_S1_Ev13rocblas_fill_17rocblas_diagonal_iiT2_lPT3_llS8_llPT4_lli,comdat
.Lfunc_end106:
	.size	_ZL23rocblas_trmm_rTx_kernelILi16ELb1E19rocblas_complex_numIfEPKS1_S2_S1_Ev13rocblas_fill_17rocblas_diagonal_iiT2_lPT3_llS8_llPT4_lli, .Lfunc_end106-_ZL23rocblas_trmm_rTx_kernelILi16ELb1E19rocblas_complex_numIfEPKS1_S2_S1_Ev13rocblas_fill_17rocblas_diagonal_iiT2_lPT3_llS8_llPT4_lli
                                        ; -- End function
	.set _ZL23rocblas_trmm_rTx_kernelILi16ELb1E19rocblas_complex_numIfEPKS1_S2_S1_Ev13rocblas_fill_17rocblas_diagonal_iiT2_lPT3_llS8_llPT4_lli.num_vgpr, 62
	.set _ZL23rocblas_trmm_rTx_kernelILi16ELb1E19rocblas_complex_numIfEPKS1_S2_S1_Ev13rocblas_fill_17rocblas_diagonal_iiT2_lPT3_llS8_llPT4_lli.num_agpr, 0
	.set _ZL23rocblas_trmm_rTx_kernelILi16ELb1E19rocblas_complex_numIfEPKS1_S2_S1_Ev13rocblas_fill_17rocblas_diagonal_iiT2_lPT3_llS8_llPT4_lli.numbered_sgpr, 26
	.set _ZL23rocblas_trmm_rTx_kernelILi16ELb1E19rocblas_complex_numIfEPKS1_S2_S1_Ev13rocblas_fill_17rocblas_diagonal_iiT2_lPT3_llS8_llPT4_lli.num_named_barrier, 0
	.set _ZL23rocblas_trmm_rTx_kernelILi16ELb1E19rocblas_complex_numIfEPKS1_S2_S1_Ev13rocblas_fill_17rocblas_diagonal_iiT2_lPT3_llS8_llPT4_lli.private_seg_size, 0
	.set _ZL23rocblas_trmm_rTx_kernelILi16ELb1E19rocblas_complex_numIfEPKS1_S2_S1_Ev13rocblas_fill_17rocblas_diagonal_iiT2_lPT3_llS8_llPT4_lli.uses_vcc, 1
	.set _ZL23rocblas_trmm_rTx_kernelILi16ELb1E19rocblas_complex_numIfEPKS1_S2_S1_Ev13rocblas_fill_17rocblas_diagonal_iiT2_lPT3_llS8_llPT4_lli.uses_flat_scratch, 0
	.set _ZL23rocblas_trmm_rTx_kernelILi16ELb1E19rocblas_complex_numIfEPKS1_S2_S1_Ev13rocblas_fill_17rocblas_diagonal_iiT2_lPT3_llS8_llPT4_lli.has_dyn_sized_stack, 0
	.set _ZL23rocblas_trmm_rTx_kernelILi16ELb1E19rocblas_complex_numIfEPKS1_S2_S1_Ev13rocblas_fill_17rocblas_diagonal_iiT2_lPT3_llS8_llPT4_lli.has_recursion, 0
	.set _ZL23rocblas_trmm_rTx_kernelILi16ELb1E19rocblas_complex_numIfEPKS1_S2_S1_Ev13rocblas_fill_17rocblas_diagonal_iiT2_lPT3_llS8_llPT4_lli.has_indirect_call, 0
	.section	.AMDGPU.csdata,"",@progbits
; Kernel info:
; codeLenInByte = 1352
; TotalNumSgprs: 28
; NumVgprs: 62
; ScratchSize: 0
; MemoryBound: 0
; FloatMode: 240
; IeeeMode: 1
; LDSByteSize: 4096 bytes/workgroup (compile time only)
; SGPRBlocks: 0
; VGPRBlocks: 7
; NumSGPRsForWavesPerEU: 28
; NumVGPRsForWavesPerEU: 62
; Occupancy: 16
; WaveLimiterHint : 0
; COMPUTE_PGM_RSRC2:SCRATCH_EN: 0
; COMPUTE_PGM_RSRC2:USER_SGPR: 6
; COMPUTE_PGM_RSRC2:TRAP_HANDLER: 0
; COMPUTE_PGM_RSRC2:TGID_X_EN: 1
; COMPUTE_PGM_RSRC2:TGID_Y_EN: 0
; COMPUTE_PGM_RSRC2:TGID_Z_EN: 1
; COMPUTE_PGM_RSRC2:TIDIG_COMP_CNT: 1
	.section	.text._ZL23rocblas_trmm_rTx_kernelILi16ELb1E19rocblas_complex_numIfES1_KS1_S1_Ev13rocblas_fill_17rocblas_diagonal_iiT2_lPT3_llS7_llPT4_lli,"axG",@progbits,_ZL23rocblas_trmm_rTx_kernelILi16ELb1E19rocblas_complex_numIfES1_KS1_S1_Ev13rocblas_fill_17rocblas_diagonal_iiT2_lPT3_llS7_llPT4_lli,comdat
	.globl	_ZL23rocblas_trmm_rTx_kernelILi16ELb1E19rocblas_complex_numIfES1_KS1_S1_Ev13rocblas_fill_17rocblas_diagonal_iiT2_lPT3_llS7_llPT4_lli ; -- Begin function _ZL23rocblas_trmm_rTx_kernelILi16ELb1E19rocblas_complex_numIfES1_KS1_S1_Ev13rocblas_fill_17rocblas_diagonal_iiT2_lPT3_llS7_llPT4_lli
	.p2align	8
	.type	_ZL23rocblas_trmm_rTx_kernelILi16ELb1E19rocblas_complex_numIfES1_KS1_S1_Ev13rocblas_fill_17rocblas_diagonal_iiT2_lPT3_llS7_llPT4_lli,@function
_ZL23rocblas_trmm_rTx_kernelILi16ELb1E19rocblas_complex_numIfES1_KS1_S1_Ev13rocblas_fill_17rocblas_diagonal_iiT2_lPT3_llS7_llPT4_lli: ; @_ZL23rocblas_trmm_rTx_kernelILi16ELb1E19rocblas_complex_numIfES1_KS1_S1_Ev13rocblas_fill_17rocblas_diagonal_iiT2_lPT3_llS7_llPT4_lli
; %bb.0:
	s_load_dwordx2 s[2:3], s[4:5], 0x10
	s_mov_b32 s28, 0
	s_waitcnt lgkmcnt(0)
	v_cmp_neq_f32_e64 s0, s2, 0
	v_cmp_neq_f32_e64 s1, s3, 0
	s_or_b32 s0, s0, s1
	s_andn2_b32 vcc_lo, exec_lo, s0
	s_cbranch_vccnz .LBB107_15
; %bb.1:
	s_clause 0x1
	s_load_dwordx4 s[24:27], s[4:5], 0x0
	s_load_dwordx16 s[8:23], s[4:5], 0x20
	v_lshlrev_b32_e32 v2, 4, v1
	s_mov_b32 s29, s28
	v_mov_b32_e32 v4, s28
	v_mov_b32_e32 v5, s29
	v_add_lshl_u32 v3, v2, v0, 3
	v_lshlrev_b32_e32 v2, 3, v0
	ds_write2st64_b64 v3, v[4:5], v[4:5] offset1:4
	s_waitcnt lgkmcnt(0)
	v_cmp_gt_i32_e32 vcc_lo, s27, v1
	v_cmp_gt_i32_e64 s0, s27, v0
	s_and_b32 s0, vcc_lo, s0
	s_and_saveexec_b32 s1, s0
	s_cbranch_execz .LBB107_3
; %bb.2:
	v_mad_u64_u32 v[4:5], null, s10, v1, 0
	s_mul_i32 s0, s13, s7
	s_mul_i32 s10, s12, s7
	v_mad_u64_u32 v[5:6], null, s11, v1, v[5:6]
	s_mul_hi_u32 s11, s12, s7
	s_add_i32 s11, s11, s0
	s_lshl_b64 s[10:11], s[10:11], 3
	s_add_u32 s0, s8, s10
	v_lshlrev_b64 v[4:5], 3, v[4:5]
	s_addc_u32 s8, s9, s11
	v_add_co_u32 v4, s0, s0, v4
	v_add_co_ci_u32_e64 v5, null, s8, v5, s0
	v_add_co_u32 v4, s0, v4, v2
	v_add_co_ci_u32_e64 v5, null, 0, v5, s0
	global_load_dwordx2 v[4:5], v[4:5], off
	s_waitcnt vmcnt(0)
	v_xor_b32_e32 v5, 0x80000000, v5
	ds_write_b64 v3, v[4:5]
.LBB107_3:
	s_or_b32 exec_lo, exec_lo, s1
	s_add_i32 s0, s26, -1
	s_ashr_i32 s1, s0, 31
	s_lshr_b32 s1, s1, 28
	s_add_i32 s0, s0, s1
	s_and_b32 s1, s0, -16
	s_ashr_i32 s0, s0, 4
	s_sub_i32 s1, s26, s1
	s_cmp_ge_i32 s6, s0
	s_cselect_b32 s0, s1, 16
	s_lshl_b32 s8, s6, 4
	v_cmp_gt_i32_e64 s0, s0, v0
	s_ashr_i32 s9, s8, 31
	s_and_b32 s0, vcc_lo, s0
	s_and_saveexec_b32 s1, s0
	s_cbranch_execz .LBB107_5
; %bb.4:
	v_mad_u64_u32 v[4:5], null, s16, v1, 0
	s_mul_i32 s6, s19, s7
	s_mul_hi_u32 s11, s18, s7
	s_mul_i32 s10, s18, s7
	s_add_i32 s11, s11, s6
	s_lshl_b64 s[10:11], s[10:11], 3
	v_mad_u64_u32 v[5:6], null, s17, v1, v[5:6]
	s_add_u32 s6, s14, s10
	s_addc_u32 s12, s15, s11
	s_lshl_b64 s[10:11], s[8:9], 3
	v_add_nc_u32_e32 v6, 0x800, v3
	s_add_u32 s6, s6, s10
	s_addc_u32 s10, s12, s11
	v_lshlrev_b64 v[4:5], 3, v[4:5]
	v_add_co_u32 v4, vcc_lo, s6, v4
	v_add_co_ci_u32_e64 v5, null, s10, v5, vcc_lo
	v_add_co_u32 v4, vcc_lo, v4, v2
	v_add_co_ci_u32_e64 v5, null, 0, v5, vcc_lo
	global_load_dwordx2 v[4:5], v[4:5], off
	s_waitcnt vmcnt(0)
	ds_write_b64 v6, v[4:5]
.LBB107_5:
	s_or_b32 exec_lo, exec_lo, s1
	v_cmp_eq_u32_e32 vcc_lo, v1, v0
	s_cmpk_eq_i32 s25, 0x84
	s_cselect_b32 s1, -1, 0
	s_and_b32 s6, vcc_lo, s1
	s_and_saveexec_b32 s1, s6
; %bb.6:
	v_mov_b32_e32 v4, 1.0
	v_mov_b32_e32 v5, 0
	ds_write_b64 v3, v[4:5]
; %bb.7:
	s_or_b32 exec_lo, exec_lo, s1
	s_cmpk_lg_i32 s24, 0x79
	s_cbranch_scc0 .LBB107_9
; %bb.8:
	v_cmp_lt_u32_e32 vcc_lo, v0, v1
	s_and_b32 s1, vcc_lo, exec_lo
	s_cbranch_execz .LBB107_10
	s_branch .LBB107_11
.LBB107_9:
	s_mov_b32 s1, 0
.LBB107_10:
	v_cmp_gt_u32_e32 vcc_lo, v0, v1
	s_andn2_b32 s1, s1, exec_lo
	s_and_b32 s6, vcc_lo, exec_lo
	s_or_b32 s1, s1, s6
.LBB107_11:
	s_and_saveexec_b32 s6, s1
; %bb.12:
	v_mov_b32_e32 v4, 0
	v_mov_b32_e32 v5, v4
	ds_write_b64 v3, v[4:5]
; %bb.13:
	s_or_b32 exec_lo, exec_lo, s6
	s_waitcnt lgkmcnt(0)
	s_barrier
	buffer_gl0_inv
	s_and_saveexec_b32 s1, s0
	s_cbranch_execz .LBB107_15
; %bb.14:
	v_lshlrev_b32_e32 v0, 3, v1
	v_add_nc_u32_e32 v55, 0x800, v2
	s_load_dwordx2 s[0:1], s[4:5], 0x60
	ds_read2_b64 v[3:6], v0 offset1:16
	ds_read2_b64 v[7:10], v55 offset1:16
	ds_read2_b64 v[11:14], v0 offset0:32 offset1:48
	ds_read2_b64 v[15:18], v55 offset0:32 offset1:48
	;; [unrolled: 1-line block ×11, first 2 shown]
	s_waitcnt lgkmcnt(0)
	s_mul_i32 s1, s1, s7
	v_mul_f32_e32 v56, v3, v8
	v_mul_f32_e32 v57, v5, v10
	v_mul_f32_e32 v8, v4, v8
	v_mul_f32_e32 v10, v6, v10
	v_mul_f32_e32 v60, v11, v16
	v_fmac_f32_e32 v56, v4, v7
	v_fmac_f32_e32 v57, v6, v9
	v_fma_f32 v58, v3, v7, -v8
	v_mul_f32_e32 v61, v13, v18
	v_mul_f32_e32 v7, v12, v16
	;; [unrolled: 1-line block ×3, first 2 shown]
	v_add_f32_e32 v16, 0, v56
	v_fma_f32 v59, v5, v9, -v10
	ds_read2_b64 v[3:6], v55 offset0:192 offset1:208
	v_fmac_f32_e32 v60, v12, v15
	v_fmac_f32_e32 v61, v14, v17
	v_fma_f32 v15, v11, v15, -v7
	v_fma_f32 v17, v13, v17, -v8
	ds_read2_b64 v[7:10], v0 offset0:224 offset1:240
	ds_read2_b64 v[11:14], v55 offset0:224 offset1:240
	v_add_f32_e32 v0, v16, v57
	v_mul_f32_e32 v16, v19, v24
	v_mul_f32_e32 v24, v20, v24
	;; [unrolled: 1-line block ×4, first 2 shown]
	v_add_f32_e32 v0, v0, v60
	v_fmac_f32_e32 v16, v20, v23
	v_add_f32_e32 v20, 0, v58
	v_fmac_f32_e32 v18, v22, v25
	v_mul_f32_e32 v22, v27, v32
	v_add_f32_e32 v0, v0, v61
	v_fma_f32 v19, v19, v23, -v24
	v_add_f32_e32 v20, v20, v59
	v_mul_f32_e32 v23, v29, v34
	v_fmac_f32_e32 v22, v28, v31
	v_add_f32_e32 v0, v0, v16
	v_fma_f32 v21, v21, v25, -v26
	v_add_f32_e32 v15, v20, v15
	v_mul_f32_e32 v24, v35, v40
	v_fmac_f32_e32 v23, v30, v33
	v_add_f32_e32 v0, v0, v18
	v_mul_f32_e32 v18, v28, v32
	v_add_f32_e32 v15, v15, v17
	v_mul_f32_e32 v25, v37, v42
	v_fmac_f32_e32 v24, v36, v39
	v_add_f32_e32 v0, v0, v22
	v_fma_f32 v18, v27, v31, -v18
	v_add_f32_e32 v15, v15, v19
	v_mul_f32_e32 v19, v30, v34
	v_mul_f32_e32 v26, v43, v48
	v_add_f32_e32 v0, v0, v23
	v_fmac_f32_e32 v25, v38, v41
	v_add_f32_e32 v15, v15, v21
	v_mul_f32_e32 v21, v36, v40
	v_fma_f32 v19, v29, v33, -v19
	v_add_f32_e32 v0, v0, v24
	v_mul_f32_e32 v16, v45, v50
	v_add_f32_e32 v15, v15, v18
	v_mul_f32_e32 v18, v38, v42
	v_fma_f32 v21, v35, v39, -v21
	v_fmac_f32_e32 v26, v44, v47
	v_add_f32_e32 v0, v0, v25
	v_add_f32_e32 v15, v15, v19
	v_mul_f32_e32 v19, v44, v48
	v_fma_f32 v18, v37, v41, -v18
	s_waitcnt lgkmcnt(2)
	v_mul_f32_e32 v20, v51, v4
	v_fmac_f32_e32 v16, v46, v49
	v_add_f32_e32 v15, v15, v21
	v_add_f32_e32 v0, v0, v26
	v_mul_f32_e32 v21, v46, v50
	v_fma_f32 v19, v43, v47, -v19
	v_mul_f32_e32 v17, v53, v6
	v_add_f32_e32 v15, v15, v18
	v_fmac_f32_e32 v20, v52, v3
	v_add_f32_e32 v0, v0, v16
	v_fma_f32 v16, v45, v49, -v21
	v_mul_f32_e32 v4, v52, v4
	v_add_f32_e32 v15, v15, v19
	v_fmac_f32_e32 v17, v54, v5
	v_add_f32_e32 v0, v0, v20
	s_waitcnt lgkmcnt(0)
	v_mul_f32_e32 v18, v7, v12
	v_mul_f32_e32 v6, v54, v6
	v_add_f32_e32 v15, v15, v16
	v_fma_f32 v16, v51, v3, -v4
	v_mad_u64_u32 v[3:4], null, s22, v1, 0
	v_add_f32_e32 v0, v0, v17
	v_fmac_f32_e32 v18, v8, v11
	v_fma_f32 v5, v53, v5, -v6
	v_mul_f32_e32 v6, v8, v12
	v_add_f32_e32 v15, v15, v16
	v_mul_f32_e32 v12, v9, v14
	v_add_f32_e32 v8, v0, v18
	v_mov_b32_e32 v0, v4
	s_mul_hi_u32 s4, s0, s7
	v_add_f32_e32 v4, v15, v5
	v_fma_f32 v5, v7, v11, -v6
	s_add_i32 s1, s4, s1
	v_mad_u64_u32 v[0:1], null, s23, v1, v[0:1]
	s_mul_i32 s0, s0, s7
	v_add_f32_e32 v1, v4, v5
	v_mul_f32_e32 v6, v10, v14
	v_fmac_f32_e32 v12, v10, v13
	s_lshl_b64 s[0:1], s[0:1], 3
	v_mov_b32_e32 v4, v0
	s_add_u32 s4, s20, s0
	s_addc_u32 s5, s21, s1
	s_lshl_b64 s[0:1], s[8:9], 3
	v_fma_f32 v5, v9, v13, -v6
	v_lshlrev_b64 v[3:4], 3, v[3:4]
	v_add_f32_e32 v6, v8, v12
	s_add_u32 s0, s4, s0
	s_addc_u32 s1, s5, s1
	v_add_f32_e32 v0, v1, v5
	v_add_co_u32 v3, vcc_lo, s0, v3
	v_mul_f32_e32 v1, s2, v6
	v_mul_f32_e32 v5, s3, v6
	v_add_co_ci_u32_e64 v4, null, s1, v4, vcc_lo
	v_add_co_u32 v2, vcc_lo, v3, v2
	v_fmac_f32_e32 v1, s3, v0
	v_fma_f32 v0, s2, v0, -v5
	v_add_co_ci_u32_e64 v3, null, 0, v4, vcc_lo
	global_store_dwordx2 v[2:3], v[0:1], off
.LBB107_15:
	s_endpgm
	.section	.rodata,"a",@progbits
	.p2align	6, 0x0
	.amdhsa_kernel _ZL23rocblas_trmm_rTx_kernelILi16ELb1E19rocblas_complex_numIfES1_KS1_S1_Ev13rocblas_fill_17rocblas_diagonal_iiT2_lPT3_llS7_llPT4_lli
		.amdhsa_group_segment_fixed_size 4096
		.amdhsa_private_segment_fixed_size 0
		.amdhsa_kernarg_size 108
		.amdhsa_user_sgpr_count 6
		.amdhsa_user_sgpr_private_segment_buffer 1
		.amdhsa_user_sgpr_dispatch_ptr 0
		.amdhsa_user_sgpr_queue_ptr 0
		.amdhsa_user_sgpr_kernarg_segment_ptr 1
		.amdhsa_user_sgpr_dispatch_id 0
		.amdhsa_user_sgpr_flat_scratch_init 0
		.amdhsa_user_sgpr_private_segment_size 0
		.amdhsa_wavefront_size32 1
		.amdhsa_uses_dynamic_stack 0
		.amdhsa_system_sgpr_private_segment_wavefront_offset 0
		.amdhsa_system_sgpr_workgroup_id_x 1
		.amdhsa_system_sgpr_workgroup_id_y 0
		.amdhsa_system_sgpr_workgroup_id_z 1
		.amdhsa_system_sgpr_workgroup_info 0
		.amdhsa_system_vgpr_workitem_id 1
		.amdhsa_next_free_vgpr 62
		.amdhsa_next_free_sgpr 30
		.amdhsa_reserve_vcc 1
		.amdhsa_reserve_flat_scratch 0
		.amdhsa_float_round_mode_32 0
		.amdhsa_float_round_mode_16_64 0
		.amdhsa_float_denorm_mode_32 3
		.amdhsa_float_denorm_mode_16_64 3
		.amdhsa_dx10_clamp 1
		.amdhsa_ieee_mode 1
		.amdhsa_fp16_overflow 0
		.amdhsa_workgroup_processor_mode 1
		.amdhsa_memory_ordered 1
		.amdhsa_forward_progress 1
		.amdhsa_shared_vgpr_count 0
		.amdhsa_exception_fp_ieee_invalid_op 0
		.amdhsa_exception_fp_denorm_src 0
		.amdhsa_exception_fp_ieee_div_zero 0
		.amdhsa_exception_fp_ieee_overflow 0
		.amdhsa_exception_fp_ieee_underflow 0
		.amdhsa_exception_fp_ieee_inexact 0
		.amdhsa_exception_int_div_zero 0
	.end_amdhsa_kernel
	.section	.text._ZL23rocblas_trmm_rTx_kernelILi16ELb1E19rocblas_complex_numIfES1_KS1_S1_Ev13rocblas_fill_17rocblas_diagonal_iiT2_lPT3_llS7_llPT4_lli,"axG",@progbits,_ZL23rocblas_trmm_rTx_kernelILi16ELb1E19rocblas_complex_numIfES1_KS1_S1_Ev13rocblas_fill_17rocblas_diagonal_iiT2_lPT3_llS7_llPT4_lli,comdat
.Lfunc_end107:
	.size	_ZL23rocblas_trmm_rTx_kernelILi16ELb1E19rocblas_complex_numIfES1_KS1_S1_Ev13rocblas_fill_17rocblas_diagonal_iiT2_lPT3_llS7_llPT4_lli, .Lfunc_end107-_ZL23rocblas_trmm_rTx_kernelILi16ELb1E19rocblas_complex_numIfES1_KS1_S1_Ev13rocblas_fill_17rocblas_diagonal_iiT2_lPT3_llS7_llPT4_lli
                                        ; -- End function
	.set _ZL23rocblas_trmm_rTx_kernelILi16ELb1E19rocblas_complex_numIfES1_KS1_S1_Ev13rocblas_fill_17rocblas_diagonal_iiT2_lPT3_llS7_llPT4_lli.num_vgpr, 62
	.set _ZL23rocblas_trmm_rTx_kernelILi16ELb1E19rocblas_complex_numIfES1_KS1_S1_Ev13rocblas_fill_17rocblas_diagonal_iiT2_lPT3_llS7_llPT4_lli.num_agpr, 0
	.set _ZL23rocblas_trmm_rTx_kernelILi16ELb1E19rocblas_complex_numIfES1_KS1_S1_Ev13rocblas_fill_17rocblas_diagonal_iiT2_lPT3_llS7_llPT4_lli.numbered_sgpr, 30
	.set _ZL23rocblas_trmm_rTx_kernelILi16ELb1E19rocblas_complex_numIfES1_KS1_S1_Ev13rocblas_fill_17rocblas_diagonal_iiT2_lPT3_llS7_llPT4_lli.num_named_barrier, 0
	.set _ZL23rocblas_trmm_rTx_kernelILi16ELb1E19rocblas_complex_numIfES1_KS1_S1_Ev13rocblas_fill_17rocblas_diagonal_iiT2_lPT3_llS7_llPT4_lli.private_seg_size, 0
	.set _ZL23rocblas_trmm_rTx_kernelILi16ELb1E19rocblas_complex_numIfES1_KS1_S1_Ev13rocblas_fill_17rocblas_diagonal_iiT2_lPT3_llS7_llPT4_lli.uses_vcc, 1
	.set _ZL23rocblas_trmm_rTx_kernelILi16ELb1E19rocblas_complex_numIfES1_KS1_S1_Ev13rocblas_fill_17rocblas_diagonal_iiT2_lPT3_llS7_llPT4_lli.uses_flat_scratch, 0
	.set _ZL23rocblas_trmm_rTx_kernelILi16ELb1E19rocblas_complex_numIfES1_KS1_S1_Ev13rocblas_fill_17rocblas_diagonal_iiT2_lPT3_llS7_llPT4_lli.has_dyn_sized_stack, 0
	.set _ZL23rocblas_trmm_rTx_kernelILi16ELb1E19rocblas_complex_numIfES1_KS1_S1_Ev13rocblas_fill_17rocblas_diagonal_iiT2_lPT3_llS7_llPT4_lli.has_recursion, 0
	.set _ZL23rocblas_trmm_rTx_kernelILi16ELb1E19rocblas_complex_numIfES1_KS1_S1_Ev13rocblas_fill_17rocblas_diagonal_iiT2_lPT3_llS7_llPT4_lli.has_indirect_call, 0
	.section	.AMDGPU.csdata,"",@progbits
; Kernel info:
; codeLenInByte = 1312
; TotalNumSgprs: 32
; NumVgprs: 62
; ScratchSize: 0
; MemoryBound: 0
; FloatMode: 240
; IeeeMode: 1
; LDSByteSize: 4096 bytes/workgroup (compile time only)
; SGPRBlocks: 0
; VGPRBlocks: 7
; NumSGPRsForWavesPerEU: 32
; NumVGPRsForWavesPerEU: 62
; Occupancy: 16
; WaveLimiterHint : 0
; COMPUTE_PGM_RSRC2:SCRATCH_EN: 0
; COMPUTE_PGM_RSRC2:USER_SGPR: 6
; COMPUTE_PGM_RSRC2:TRAP_HANDLER: 0
; COMPUTE_PGM_RSRC2:TGID_X_EN: 1
; COMPUTE_PGM_RSRC2:TGID_Y_EN: 0
; COMPUTE_PGM_RSRC2:TGID_Z_EN: 1
; COMPUTE_PGM_RSRC2:TIDIG_COMP_CNT: 1
	.section	.text._ZL30rocblas_trmm_outofplace_kernelI19rocblas_complex_numIdELi32ELi2ELb1ELb0ELb0ELb0EPKS1_S2_S1_Ev17rocblas_diagonal_iiT6_lPT7_lllS7_lllPT8_llli,"axG",@progbits,_ZL30rocblas_trmm_outofplace_kernelI19rocblas_complex_numIdELi32ELi2ELb1ELb0ELb0ELb0EPKS1_S2_S1_Ev17rocblas_diagonal_iiT6_lPT7_lllS7_lllPT8_llli,comdat
	.globl	_ZL30rocblas_trmm_outofplace_kernelI19rocblas_complex_numIdELi32ELi2ELb1ELb0ELb0ELb0EPKS1_S2_S1_Ev17rocblas_diagonal_iiT6_lPT7_lllS7_lllPT8_llli ; -- Begin function _ZL30rocblas_trmm_outofplace_kernelI19rocblas_complex_numIdELi32ELi2ELb1ELb0ELb0ELb0EPKS1_S2_S1_Ev17rocblas_diagonal_iiT6_lPT7_lllS7_lllPT8_llli
	.p2align	8
	.type	_ZL30rocblas_trmm_outofplace_kernelI19rocblas_complex_numIdELi32ELi2ELb1ELb0ELb0ELb0EPKS1_S2_S1_Ev17rocblas_diagonal_iiT6_lPT7_lllS7_lllPT8_llli,@function
_ZL30rocblas_trmm_outofplace_kernelI19rocblas_complex_numIdELi32ELi2ELb1ELb0ELb0ELb0EPKS1_S2_S1_Ev17rocblas_diagonal_iiT6_lPT7_lllS7_lllPT8_llli: ; @_ZL30rocblas_trmm_outofplace_kernelI19rocblas_complex_numIdELi32ELi2ELb1ELb0ELb0ELb0EPKS1_S2_S1_Ev17rocblas_diagonal_iiT6_lPT7_lllS7_lllPT8_llli
; %bb.0:
	s_load_dwordx16 s[12:27], s[4:5], 0x10
	s_waitcnt lgkmcnt(0)
	s_mul_i32 s1, s15, s8
	s_mul_hi_u32 s2, s14, s8
	s_mul_i32 s0, s14, s8
	s_add_i32 s1, s2, s1
	s_lshl_b64 s[0:1], s[0:1], 4
	s_add_u32 s0, s12, s0
	s_addc_u32 s1, s13, s1
	s_load_dwordx4 s[12:15], s[0:1], 0x0
	s_waitcnt lgkmcnt(0)
	v_cmp_eq_f64_e64 s0, s[12:13], 0
	v_cmp_eq_f64_e64 s1, s[14:15], 0
	s_and_b32 s0, s0, s1
	s_and_b32 vcc_lo, exec_lo, s0
	s_cbranch_vccnz .LBB108_63
; %bb.1:
	s_load_dwordx4 s[28:31], s[4:5], 0x0
	s_waitcnt lgkmcnt(0)
	s_add_i32 s0, s30, -1
	s_ashr_i32 s1, s0, 31
	s_lshr_b32 s1, s1, 27
	s_add_i32 s0, s0, s1
	s_ashr_i32 s31, s0, 5
	s_cmp_gt_i32 s7, s31
	s_cbranch_scc1 .LBB108_63
; %bb.2:
	s_clause 0x2
	s_load_dwordx4 s[44:47], s[4:5], 0x70
	s_load_dwordx8 s[36:43], s[4:5], 0x50
	s_load_dword s33, s[4:5], 0x8c
	v_mad_u64_u32 v[5:6], null, s20, v1, 0
	v_lshl_add_u32 v9, v1, 4, 0x100
	v_lshlrev_b32_e32 v58, 4, v0
	v_lshlrev_b32_e32 v2, 9, v1
	s_mov_b32 s10, s29
	v_lshl_add_u32 v24, s7, 5, v1
	v_mad_u64_u32 v[6:7], null, s21, v1, v[6:7]
	v_add_nc_u32_e32 v59, 0x4000, v2
	v_add_nc_u32_e32 v60, v58, v2
	v_mov_b32_e32 v2, 0
	v_add_nc_u32_e32 v61, v59, v58
	v_lshlrev_b64 v[5:6], 4, v[5:6]
	s_waitcnt lgkmcnt(0)
	s_mul_i32 s1, s47, s8
	s_mul_hi_u32 s2, s46, s8
	s_mul_i32 s0, s46, s8
	s_add_i32 s1, s2, s1
	s_mul_i32 s4, s39, s8
	s_lshl_b64 s[0:1], s[0:1], 4
	s_mul_hi_u32 s5, s38, s8
	s_add_u32 s2, s40, s0
	s_addc_u32 s3, s41, s1
	s_lshl_b64 s[0:1], s[42:43], 4
	v_add_nc_u32_e32 v62, 0x100, v60
	s_add_u32 s42, s2, s0
	s_addc_u32 s43, s3, s1
	s_lshl_b32 s46, s6, 5
	s_cmp_gt_i32 s6, -1
	v_add_nc_u32_e32 v12, s46, v0
	s_cselect_b32 s47, -1, 0
	s_cmpk_eq_i32 s28, 0x84
	v_add_nc_u32_e32 v63, 0x2000, v60
	s_cselect_b32 s28, -1, 0
	s_ashr_i32 s11, s29, 31
	s_ashr_i32 s48, s30, 31
	s_lshl_b64 s[34:35], s[20:21], 9
	s_add_u32 s40, s29, -16
	s_addc_u32 s41, s11, -1
	s_add_i32 s5, s5, s4
	s_mul_i32 s4, s38, s8
	s_lshl_b64 s[26:27], s[26:27], 4
	s_lshl_b64 s[4:5], s[4:5], 4
	v_ashrrev_i32_e32 v13, 31, v12
	s_add_u32 s4, s4, s26
	s_addc_u32 s5, s5, s27
	s_add_u32 s6, s24, s4
	s_addc_u32 s26, s25, s5
	s_mul_i32 s4, s23, s8
	s_mul_hi_u32 s5, s22, s8
	s_lshl_b64 s[24:25], s[36:37], 4
	s_add_i32 s5, s5, s4
	s_mul_i32 s4, s22, s8
	s_lshl_b64 s[8:9], s[18:19], 4
	s_lshl_b32 s22, s33, 5
	s_lshl_b64 s[4:5], s[4:5], 4
	s_add_u32 s8, s16, s8
	s_addc_u32 s9, s17, s9
	s_add_u32 s4, s8, s4
	v_add_co_u32 v14, vcc_lo, v12, 16
	s_addc_u32 s5, s9, s5
	v_add_co_ci_u32_e64 v15, null, 0, v13, vcc_lo
	v_sub_co_u32 v16, vcc_lo, v12, v1
	v_mad_u64_u32 v[7:8], null, s20, v9, s[4:5]
	v_subrev_co_ci_u32_e64 v17, null, 0, v13, vcc_lo
	v_add_co_u32 v10, s6, s6, v58
	v_add_co_u32 v18, vcc_lo, v16, 16
	v_add_co_ci_u32_e64 v11, null, s26, 0, s6
	v_add_nc_u32_e32 v3, 16, v12
	v_add_co_ci_u32_e64 v19, null, 0, v17, vcc_lo
	v_add_co_u32 v20, vcc_lo, v16, -16
	v_mad_u64_u32 v[8:9], null, s21, v9, v[8:9]
	v_add_co_ci_u32_e64 v21, null, -1, v17, vcc_lo
	v_add_co_u32 v22, vcc_lo, 0x100, v10
	v_add_co_ci_u32_e64 v23, null, 0, v11, vcc_lo
	v_add_co_u32 v5, vcc_lo, s4, v5
	v_ashrrev_i32_e32 v4, 31, v3
	v_add_co_ci_u32_e64 v6, null, s5, v6, vcc_lo
	v_add_co_u32 v28, vcc_lo, 0x100, v7
	v_add_co_ci_u32_e64 v29, null, 0, v8, vcc_lo
	v_add_co_u32 v30, vcc_lo, 0x100, v5
	v_cmp_le_i64_e64 s3, s[10:11], v[14:15]
	v_lshlrev_b64 v[26:27], 4, v[12:13]
	v_lshlrev_b64 v[32:33], 4, v[3:4]
	v_add_nc_u32_e32 v64, 0x2100, v60
	v_add_nc_u32_e32 v65, 0x100, v61
	;; [unrolled: 1-line block ×4, first 2 shown]
	v_cmp_le_i32_e64 s0, s29, v12
	v_cmp_gt_i32_e64 s1, s29, v12
	v_cmp_gt_i32_e64 s2, s29, v3
	v_add_co_ci_u32_e64 v31, null, 0, v6, vcc_lo
	v_mov_b32_e32 v3, 0x3ff00000
	s_branch .LBB108_4
.LBB108_3:                              ;   in Loop: Header=BB108_4 Depth=1
	s_or_b32 exec_lo, exec_lo, s4
	v_add_nc_u32_e32 v24, s22, v24
	s_add_i32 s7, s33, s7
	s_cmp_le_i32 s7, s31
	s_cbranch_scc0 .LBB108_63
.LBB108_4:                              ; =>This Loop Header: Depth=1
                                        ;     Child Loop BB108_7 Depth 2
	v_lshl_add_u32 v68, s7, 5, v1
	v_mov_b32_e32 v50, 0
	v_mov_b32_e32 v52, 0
	;; [unrolled: 1-line block ×16, first 2 shown]
	v_ashrrev_i32_e32 v69, 31, v68
	s_andn2_b32 vcc_lo, exec_lo, s47
	s_cbranch_vccnz .LBB108_55
; %bb.5:                                ;   in Loop: Header=BB108_4 Depth=1
	v_ashrrev_i32_e32 v25, 31, v24
	v_mad_u64_u32 v[34:35], null, s24, v24, v[22:23]
	v_mul_lo_u32 v6, s25, v24
	v_mov_b32_e32 v54, 0
	v_lshlrev_b64 v[4:5], 4, v[24:25]
	v_mul_lo_u32 v9, s24, v25
	v_mov_b32_e32 v39, v31
	v_mov_b32_e32 v56, 0
	;; [unrolled: 1-line block ×4, first 2 shown]
	v_add_co_u32 v7, vcc_lo, 0x100, v4
	v_add_co_ci_u32_e64 v8, null, 0, v5, vcc_lo
	v_sub_co_u32 v4, vcc_lo, s30, v68
	v_mul_lo_u32 v10, s37, v7
	v_mul_lo_u32 v8, s36, v8
	v_mad_u64_u32 v[36:37], null, s36, v7, v[22:23]
	v_sub_co_ci_u32_e64 v5, null, s48, v69, vcc_lo
	v_mov_b32_e32 v44, 0
	v_mov_b32_e32 v42, 0
	;; [unrolled: 1-line block ×3, first 2 shown]
	v_cmp_lt_i64_e64 s4, 16, v[4:5]
	v_mov_b32_e32 v50, 0
	v_mov_b32_e32 v41, v29
	v_mov_b32_e32 v55, 0
	v_mov_b32_e32 v38, v30
	v_mov_b32_e32 v57, 0
	v_add3_u32 v35, v6, v35, v9
	v_add3_u32 v37, v10, v37, v8
	v_mov_b32_e32 v49, 0
	v_mov_b32_e32 v47, 0
	;; [unrolled: 1-line block ×7, first 2 shown]
	s_mov_b64 s[16:17], 0
	v_cmp_lt_i64_e32 vcc_lo, 0, v[4:5]
	s_branch .LBB108_7
.LBB108_6:                              ;   in Loop: Header=BB108_7 Depth=2
	s_or_b32 exec_lo, exec_lo, s5
	s_waitcnt lgkmcnt(0)
	s_barrier
	buffer_gl0_inv
	ds_read_b128 v[70:73], v59
	ds_read_b128 v[74:77], v59 offset:16
	ds_read_b128 v[8:11], v59 offset:32
	;; [unrolled: 1-line block ×3, first 2 shown]
	ds_read_b128 v[78:81], v58
	v_add_co_u32 v34, s5, 0x200, v34
	v_add_co_ci_u32_e64 v35, null, 0, v35, s5
	v_add_co_u32 v40, s5, v40, s34
	v_add_co_ci_u32_e64 v41, null, s35, v41, s5
	;; [unrolled: 2-line block ×3, first 2 shown]
	v_add_co_u32 v36, s5, 0x200, v36
	s_add_u32 s16, s16, 32
	v_add_co_ci_u32_e64 v37, null, 0, v37, s5
	s_addc_u32 s17, s17, 0
	s_sub_i32 s6, s16, 32
	s_waitcnt lgkmcnt(0)
	v_mul_f64 v[82:83], v[72:73], v[80:81]
	v_mul_f64 v[84:85], v[70:71], v[80:81]
	s_cmp_ge_i32 s6, s46
	v_fma_f64 v[82:83], v[70:71], v[78:79], -v[82:83]
	v_fma_f64 v[84:85], v[72:73], v[78:79], v[84:85]
	v_add_f64 v[82:83], v[50:51], v[82:83]
	v_add_f64 v[84:85], v[84:85], v[52:53]
	ds_read_b128 v[50:53], v58 offset:256
	s_waitcnt lgkmcnt(0)
	v_mul_f64 v[86:87], v[72:73], v[52:53]
	v_fma_f64 v[86:87], v[70:71], v[50:51], -v[86:87]
	v_mul_f64 v[70:71], v[70:71], v[52:53]
	v_fma_f64 v[70:71], v[72:73], v[50:51], v[70:71]
	v_add_f64 v[72:73], v[42:43], v[86:87]
	v_add_f64 v[70:71], v[70:71], v[44:45]
	ds_read_b128 v[42:45], v59 offset:8192
	s_waitcnt lgkmcnt(0)
	v_mul_f64 v[86:87], v[44:45], v[80:81]
	v_mul_f64 v[80:81], v[42:43], v[80:81]
	v_fma_f64 v[86:87], v[42:43], v[78:79], -v[86:87]
	v_fma_f64 v[78:79], v[44:45], v[78:79], v[80:81]
	v_add_f64 v[80:81], v[46:47], v[86:87]
	v_mul_f64 v[46:47], v[44:45], v[52:53]
	v_add_f64 v[78:79], v[78:79], v[48:49]
	v_fma_f64 v[46:47], v[42:43], v[50:51], -v[46:47]
	v_mul_f64 v[42:43], v[42:43], v[52:53]
	v_add_f64 v[56:57], v[56:57], v[46:47]
	v_fma_f64 v[42:43], v[44:45], v[50:51], v[42:43]
	v_add_f64 v[54:55], v[42:43], v[54:55]
	ds_read_b128 v[42:45], v58 offset:512
	s_waitcnt lgkmcnt(0)
	v_mul_f64 v[46:47], v[76:77], v[44:45]
	v_mul_f64 v[48:49], v[74:75], v[44:45]
	v_fma_f64 v[46:47], v[74:75], v[42:43], -v[46:47]
	v_fma_f64 v[48:49], v[76:77], v[42:43], v[48:49]
	v_add_f64 v[82:83], v[82:83], v[46:47]
	v_add_f64 v[84:85], v[48:49], v[84:85]
	ds_read_b128 v[46:49], v58 offset:768
	s_waitcnt lgkmcnt(0)
	v_mul_f64 v[50:51], v[76:77], v[48:49]
	v_mul_f64 v[52:53], v[74:75], v[48:49]
	v_fma_f64 v[50:51], v[74:75], v[46:47], -v[50:51]
	v_fma_f64 v[52:53], v[76:77], v[46:47], v[52:53]
	v_add_f64 v[72:73], v[72:73], v[50:51]
	v_add_f64 v[70:71], v[52:53], v[70:71]
	ds_read_b128 v[50:53], v59 offset:8208
	s_waitcnt lgkmcnt(0)
	v_mul_f64 v[74:75], v[52:53], v[44:45]
	v_mul_f64 v[44:45], v[50:51], v[44:45]
	v_fma_f64 v[74:75], v[50:51], v[42:43], -v[74:75]
	v_fma_f64 v[42:43], v[52:53], v[42:43], v[44:45]
	v_mul_f64 v[44:45], v[50:51], v[48:49]
	v_add_f64 v[74:75], v[80:81], v[74:75]
	v_add_f64 v[76:77], v[42:43], v[78:79]
	v_mul_f64 v[42:43], v[52:53], v[48:49]
	v_fma_f64 v[44:45], v[52:53], v[46:47], v[44:45]
	v_fma_f64 v[42:43], v[50:51], v[46:47], -v[42:43]
	v_add_f64 v[52:53], v[44:45], v[54:55]
	v_add_f64 v[50:51], v[56:57], v[42:43]
	ds_read_b128 v[42:45], v58 offset:1024
	s_waitcnt lgkmcnt(0)
	v_mul_f64 v[46:47], v[10:11], v[44:45]
	v_mul_f64 v[48:49], v[8:9], v[44:45]
	v_fma_f64 v[46:47], v[8:9], v[42:43], -v[46:47]
	v_fma_f64 v[48:49], v[10:11], v[42:43], v[48:49]
	v_add_f64 v[54:55], v[82:83], v[46:47]
	v_add_f64 v[56:57], v[48:49], v[84:85]
	ds_read_b128 v[46:49], v58 offset:1280
	s_waitcnt lgkmcnt(0)
	v_mul_f64 v[78:79], v[10:11], v[48:49]
	v_fma_f64 v[78:79], v[8:9], v[46:47], -v[78:79]
	v_mul_f64 v[8:9], v[8:9], v[48:49]
	v_add_f64 v[72:73], v[72:73], v[78:79]
	v_fma_f64 v[8:9], v[10:11], v[46:47], v[8:9]
	v_add_f64 v[70:71], v[8:9], v[70:71]
	ds_read_b128 v[8:11], v59 offset:8224
	s_waitcnt lgkmcnt(0)
	v_mul_f64 v[78:79], v[10:11], v[44:45]
	v_mul_f64 v[44:45], v[8:9], v[44:45]
	v_fma_f64 v[78:79], v[8:9], v[42:43], -v[78:79]
	v_fma_f64 v[42:43], v[10:11], v[42:43], v[44:45]
	v_add_f64 v[74:75], v[74:75], v[78:79]
	v_add_f64 v[76:77], v[42:43], v[76:77]
	v_mul_f64 v[42:43], v[10:11], v[48:49]
	v_fma_f64 v[42:43], v[8:9], v[46:47], -v[42:43]
	v_mul_f64 v[8:9], v[8:9], v[48:49]
	v_fma_f64 v[8:9], v[10:11], v[46:47], v[8:9]
	v_add_f64 v[46:47], v[50:51], v[42:43]
	v_add_f64 v[48:49], v[8:9], v[52:53]
	ds_read_b128 v[8:11], v58 offset:1536
	s_waitcnt lgkmcnt(0)
	v_mul_f64 v[42:43], v[6:7], v[10:11]
	v_mul_f64 v[44:45], v[4:5], v[10:11]
	v_fma_f64 v[42:43], v[4:5], v[8:9], -v[42:43]
	v_fma_f64 v[44:45], v[6:7], v[8:9], v[44:45]
	v_add_f64 v[50:51], v[54:55], v[42:43]
	v_add_f64 v[52:53], v[44:45], v[56:57]
	ds_read_b128 v[42:45], v58 offset:1792
	s_waitcnt lgkmcnt(0)
	v_mul_f64 v[54:55], v[6:7], v[44:45]
	v_fma_f64 v[54:55], v[4:5], v[42:43], -v[54:55]
	v_mul_f64 v[4:5], v[4:5], v[44:45]
	v_add_f64 v[54:55], v[72:73], v[54:55]
	v_fma_f64 v[4:5], v[6:7], v[42:43], v[4:5]
	v_add_f64 v[56:57], v[4:5], v[70:71]
	ds_read_b128 v[4:7], v59 offset:8240
	s_waitcnt lgkmcnt(0)
	v_mul_f64 v[70:71], v[6:7], v[10:11]
	v_mul_f64 v[10:11], v[4:5], v[10:11]
	v_fma_f64 v[70:71], v[4:5], v[8:9], -v[70:71]
	v_fma_f64 v[8:9], v[6:7], v[8:9], v[10:11]
	v_add_f64 v[70:71], v[74:75], v[70:71]
	v_add_f64 v[72:73], v[8:9], v[76:77]
	v_mul_f64 v[8:9], v[6:7], v[44:45]
	v_fma_f64 v[8:9], v[4:5], v[42:43], -v[8:9]
	v_mul_f64 v[4:5], v[4:5], v[44:45]
	v_add_f64 v[46:47], v[46:47], v[8:9]
	v_fma_f64 v[4:5], v[6:7], v[42:43], v[4:5]
	v_add_f64 v[48:49], v[4:5], v[48:49]
	ds_read_b128 v[4:7], v59 offset:64
	ds_read_b128 v[8:11], v58 offset:2048
	s_waitcnt lgkmcnt(0)
	v_mul_f64 v[42:43], v[6:7], v[10:11]
	v_mul_f64 v[44:45], v[4:5], v[10:11]
	v_fma_f64 v[42:43], v[4:5], v[8:9], -v[42:43]
	v_fma_f64 v[44:45], v[6:7], v[8:9], v[44:45]
	v_add_f64 v[50:51], v[50:51], v[42:43]
	v_add_f64 v[52:53], v[44:45], v[52:53]
	ds_read_b128 v[42:45], v58 offset:2304
	s_waitcnt lgkmcnt(0)
	v_mul_f64 v[74:75], v[6:7], v[44:45]
	v_fma_f64 v[74:75], v[4:5], v[42:43], -v[74:75]
	v_mul_f64 v[4:5], v[4:5], v[44:45]
	v_add_f64 v[54:55], v[54:55], v[74:75]
	v_fma_f64 v[4:5], v[6:7], v[42:43], v[4:5]
	v_add_f64 v[56:57], v[4:5], v[56:57]
	ds_read_b128 v[4:7], v59 offset:8256
	s_waitcnt lgkmcnt(0)
	v_mul_f64 v[74:75], v[6:7], v[10:11]
	v_mul_f64 v[10:11], v[4:5], v[10:11]
	v_fma_f64 v[74:75], v[4:5], v[8:9], -v[74:75]
	v_fma_f64 v[8:9], v[6:7], v[8:9], v[10:11]
	v_add_f64 v[70:71], v[70:71], v[74:75]
	v_add_f64 v[72:73], v[8:9], v[72:73]
	v_mul_f64 v[8:9], v[6:7], v[44:45]
	v_fma_f64 v[8:9], v[4:5], v[42:43], -v[8:9]
	v_mul_f64 v[4:5], v[4:5], v[44:45]
	v_add_f64 v[46:47], v[46:47], v[8:9]
	v_fma_f64 v[4:5], v[6:7], v[42:43], v[4:5]
	v_add_f64 v[48:49], v[4:5], v[48:49]
	ds_read_b128 v[4:7], v59 offset:80
	;; [unrolled: 31-line block ×27, first 2 shown]
	ds_read_b128 v[8:11], v58 offset:15360
	s_waitcnt lgkmcnt(0)
	v_mul_f64 v[42:43], v[6:7], v[10:11]
	v_mul_f64 v[44:45], v[4:5], v[10:11]
	v_fma_f64 v[42:43], v[4:5], v[8:9], -v[42:43]
	v_fma_f64 v[44:45], v[6:7], v[8:9], v[44:45]
	v_add_f64 v[50:51], v[50:51], v[42:43]
	v_add_f64 v[52:53], v[44:45], v[52:53]
	ds_read_b128 v[42:45], v58 offset:15616
	s_waitcnt lgkmcnt(0)
	v_mul_f64 v[74:75], v[6:7], v[44:45]
	v_fma_f64 v[74:75], v[4:5], v[42:43], -v[74:75]
	v_mul_f64 v[4:5], v[4:5], v[44:45]
	v_add_f64 v[74:75], v[54:55], v[74:75]
	v_fma_f64 v[4:5], v[6:7], v[42:43], v[4:5]
	v_add_f64 v[76:77], v[4:5], v[56:57]
	ds_read_b128 v[4:7], v59 offset:8672
	s_waitcnt lgkmcnt(0)
	v_mul_f64 v[54:55], v[6:7], v[10:11]
	v_mul_f64 v[10:11], v[4:5], v[10:11]
	v_fma_f64 v[54:55], v[4:5], v[8:9], -v[54:55]
	v_fma_f64 v[8:9], v[6:7], v[8:9], v[10:11]
	v_add_f64 v[78:79], v[70:71], v[54:55]
	v_add_f64 v[80:81], v[8:9], v[72:73]
	v_mul_f64 v[8:9], v[6:7], v[44:45]
	v_fma_f64 v[8:9], v[4:5], v[42:43], -v[8:9]
	v_mul_f64 v[4:5], v[4:5], v[44:45]
	v_fma_f64 v[6:7], v[6:7], v[42:43], v[4:5]
	v_add_f64 v[4:5], v[46:47], v[8:9]
	v_add_f64 v[6:7], v[6:7], v[48:49]
	ds_read_b128 v[8:11], v59 offset:496
	ds_read_b128 v[46:49], v58 offset:15872
	;; [unrolled: 1-line block ×4, first 2 shown]
	s_waitcnt lgkmcnt(0)
	s_barrier
	buffer_gl0_inv
	v_mul_f64 v[42:43], v[10:11], v[48:49]
	v_mul_f64 v[44:45], v[8:9], v[48:49]
	v_fma_f64 v[42:43], v[8:9], v[46:47], -v[42:43]
	v_fma_f64 v[44:45], v[10:11], v[46:47], v[44:45]
	v_add_f64 v[50:51], v[50:51], v[42:43]
	v_mul_f64 v[42:43], v[10:11], v[56:57]
	v_add_f64 v[52:53], v[44:45], v[52:53]
	v_fma_f64 v[42:43], v[8:9], v[54:55], -v[42:43]
	v_mul_f64 v[8:9], v[8:9], v[56:57]
	v_add_f64 v[42:43], v[74:75], v[42:43]
	v_fma_f64 v[8:9], v[10:11], v[54:55], v[8:9]
	v_mul_f64 v[10:11], v[70:71], v[48:49]
	v_add_f64 v[44:45], v[8:9], v[76:77]
	v_mul_f64 v[8:9], v[72:73], v[48:49]
	v_fma_f64 v[10:11], v[72:73], v[46:47], v[10:11]
	v_fma_f64 v[8:9], v[70:71], v[46:47], -v[8:9]
	v_add_f64 v[48:49], v[10:11], v[80:81]
	v_mul_f64 v[10:11], v[70:71], v[56:57]
	v_add_f64 v[46:47], v[78:79], v[8:9]
	v_mul_f64 v[8:9], v[72:73], v[56:57]
	v_fma_f64 v[10:11], v[72:73], v[54:55], v[10:11]
	v_fma_f64 v[8:9], v[70:71], v[54:55], -v[8:9]
	v_add_f64 v[54:55], v[10:11], v[6:7]
	v_add_f64 v[56:57], v[4:5], v[8:9]
	s_cbranch_scc1 .LBB108_55
.LBB108_7:                              ;   Parent Loop BB108_4 Depth=1
                                        ; =>  This Inner Loop Header: Depth=2
	v_add_co_u32 v6, s5, v1, s16
	v_add_co_ci_u32_e64 v7, null, 0, s17, s5
	v_cmp_eq_u64_e64 s8, s[16:17], v[16:17]
	v_cmp_le_i64_e64 s6, s[10:11], v[6:7]
	v_cmp_gt_i64_e64 s5, v[6:7], v[12:13]
	s_and_b32 s19, s28, s8
	v_add_co_u32 v8, s8, v38, v26
	v_add_co_ci_u32_e64 v9, null, v39, v27, s8
	s_or_b32 s9, s6, s5
	s_or_b32 s8, s9, s19
	s_nor_b32 s8, s0, s8
	s_and_saveexec_b32 s9, s8
	s_xor_b32 s8, exec_lo, s9
	s_cbranch_execz .LBB108_9
; %bb.8:                                ;   in Loop: Header=BB108_7 Depth=2
	global_load_dwordx4 v[70:73], v[8:9], off offset:-256
	s_waitcnt vmcnt(0)
	ds_write2_b64 v60, v[70:71], v[72:73] offset1:1
.LBB108_9:                              ;   in Loop: Header=BB108_7 Depth=2
	s_or_saveexec_b32 s8, s8
	s_xor_b32 s18, s19, -1
	s_xor_b32 exec_lo, exec_lo, s8
	s_cbranch_execz .LBB108_15
; %bb.10:                               ;   in Loop: Header=BB108_7 Depth=2
	s_and_saveexec_b32 s9, s18
	s_xor_b32 s9, exec_lo, s9
	s_cbranch_execz .LBB108_12
; %bb.11:                               ;   in Loop: Header=BB108_7 Depth=2
	v_mov_b32_e32 v70, v2
	v_mov_b32_e32 v71, v2
	;; [unrolled: 1-line block ×4, first 2 shown]
	ds_write_b128 v60, v[70:73]
.LBB108_12:                             ;   in Loop: Header=BB108_7 Depth=2
	s_andn2_saveexec_b32 s9, s9
; %bb.13:                               ;   in Loop: Header=BB108_7 Depth=2
	v_mov_b32_e32 v4, v2
	v_mov_b32_e32 v5, v2
	ds_write_b128 v60, v[2:5]
; %bb.14:                               ;   in Loop: Header=BB108_7 Depth=2
	s_or_b32 exec_lo, exec_lo, s9
.LBB108_15:                             ;   in Loop: Header=BB108_7 Depth=2
	s_or_b32 exec_lo, exec_lo, s8
	v_cmp_eq_u64_e64 s8, s[16:17], v[18:19]
	v_cmp_lt_i64_e64 s9, v[14:15], v[6:7]
	s_and_b32 s8, s28, s8
	s_or_b32 s6, s6, s9
	s_or_b32 s6, s6, s8
	s_nor_b32 s6, s3, s6
	s_and_saveexec_b32 s9, s6
	s_xor_b32 s6, exec_lo, s9
	s_cbranch_execz .LBB108_17
; %bb.16:                               ;   in Loop: Header=BB108_7 Depth=2
	global_load_dwordx4 v[8:11], v[8:9], off
	s_waitcnt vmcnt(0)
	ds_write2_b64 v62, v[8:9], v[10:11] offset1:1
.LBB108_17:                             ;   in Loop: Header=BB108_7 Depth=2
	s_andn2_saveexec_b32 s6, s6
	s_cbranch_execz .LBB108_23
; %bb.18:                               ;   in Loop: Header=BB108_7 Depth=2
	s_xor_b32 s8, s8, -1
	s_and_saveexec_b32 s9, s8
	s_xor_b32 s8, exec_lo, s9
	s_cbranch_execz .LBB108_20
; %bb.19:                               ;   in Loop: Header=BB108_7 Depth=2
	v_mov_b32_e32 v8, v2
	v_mov_b32_e32 v9, v2
	;; [unrolled: 1-line block ×4, first 2 shown]
	ds_write_b128 v60, v[8:11] offset:256
.LBB108_20:                             ;   in Loop: Header=BB108_7 Depth=2
	s_andn2_saveexec_b32 s8, s8
; %bb.21:                               ;   in Loop: Header=BB108_7 Depth=2
	v_mov_b32_e32 v4, v2
	v_mov_b32_e32 v5, v2
	ds_write_b128 v60, v[2:5] offset:256
; %bb.22:                               ;   in Loop: Header=BB108_7 Depth=2
	s_or_b32 exec_lo, exec_lo, s8
.LBB108_23:                             ;   in Loop: Header=BB108_7 Depth=2
	s_or_b32 exec_lo, exec_lo, s6
	v_add_co_u32 v4, s6, v6, 16
	v_add_co_ci_u32_e64 v5, null, 0, v7, s6
	v_cmp_eq_u64_e64 s8, s[16:17], v[20:21]
	v_cmp_le_i64_e64 s6, s[10:11], v[4:5]
	v_cmp_gt_i64_e64 s9, v[4:5], v[12:13]
	s_and_b32 s20, s28, s8
	v_add_co_u32 v6, s8, v40, v26
	v_add_co_ci_u32_e64 v7, null, v41, v27, s8
	s_or_b32 s9, s6, s9
	s_or_b32 s8, s9, s20
	s_nor_b32 s8, s0, s8
	s_and_saveexec_b32 s9, s8
	s_xor_b32 s8, exec_lo, s9
	s_cbranch_execz .LBB108_25
; %bb.24:                               ;   in Loop: Header=BB108_7 Depth=2
	global_load_dwordx4 v[8:11], v[6:7], off offset:-256
	s_waitcnt vmcnt(0)
	ds_write2_b64 v63, v[8:9], v[10:11] offset1:1
.LBB108_25:                             ;   in Loop: Header=BB108_7 Depth=2
	s_andn2_saveexec_b32 s8, s8
	s_cbranch_execz .LBB108_31
; %bb.26:                               ;   in Loop: Header=BB108_7 Depth=2
	s_xor_b32 s9, s20, -1
	s_and_saveexec_b32 s20, s9
	s_xor_b32 s9, exec_lo, s20
	s_cbranch_execz .LBB108_28
; %bb.27:                               ;   in Loop: Header=BB108_7 Depth=2
	v_mov_b32_e32 v8, v2
	v_mov_b32_e32 v9, v2
	;; [unrolled: 1-line block ×4, first 2 shown]
	ds_write_b128 v60, v[8:11] offset:8192
.LBB108_28:                             ;   in Loop: Header=BB108_7 Depth=2
	s_andn2_saveexec_b32 s9, s9
; %bb.29:                               ;   in Loop: Header=BB108_7 Depth=2
	v_mov_b32_e32 v4, v2
	v_mov_b32_e32 v5, v2
	ds_write_b128 v60, v[2:5] offset:8192
; %bb.30:                               ;   in Loop: Header=BB108_7 Depth=2
	s_or_b32 exec_lo, exec_lo, s9
.LBB108_31:                             ;   in Loop: Header=BB108_7 Depth=2
	s_or_b32 exec_lo, exec_lo, s8
	s_or_b32 s5, s6, s5
	s_or_b32 s5, s5, s19
	s_nor_b32 s5, s3, s5
	s_and_saveexec_b32 s6, s5
	s_xor_b32 s5, exec_lo, s6
	s_cbranch_execz .LBB108_33
; %bb.32:                               ;   in Loop: Header=BB108_7 Depth=2
	global_load_dwordx4 v[4:7], v[6:7], off
	s_waitcnt vmcnt(0)
	ds_write2_b64 v64, v[4:5], v[6:7] offset1:1
.LBB108_33:                             ;   in Loop: Header=BB108_7 Depth=2
	s_andn2_saveexec_b32 s5, s5
	s_cbranch_execz .LBB108_39
; %bb.34:                               ;   in Loop: Header=BB108_7 Depth=2
	s_and_saveexec_b32 s6, s18
	s_xor_b32 s6, exec_lo, s6
	s_cbranch_execz .LBB108_36
; %bb.35:                               ;   in Loop: Header=BB108_7 Depth=2
	v_mov_b32_e32 v4, v2
	v_mov_b32_e32 v5, v2
	;; [unrolled: 1-line block ×4, first 2 shown]
	ds_write_b128 v60, v[4:7] offset:8448
.LBB108_36:                             ;   in Loop: Header=BB108_7 Depth=2
	s_andn2_saveexec_b32 s6, s6
; %bb.37:                               ;   in Loop: Header=BB108_7 Depth=2
	v_mov_b32_e32 v4, v2
	v_mov_b32_e32 v5, v2
	ds_write_b128 v60, v[2:5] offset:8448
; %bb.38:                               ;   in Loop: Header=BB108_7 Depth=2
	s_or_b32 exec_lo, exec_lo, s6
.LBB108_39:                             ;   in Loop: Header=BB108_7 Depth=2
	s_or_b32 exec_lo, exec_lo, s5
	v_add_co_u32 v4, s5, v0, s16
	v_add_co_ci_u32_e64 v5, null, 0, s17, s5
	v_cmp_gt_i64_e64 s5, s[10:11], v[4:5]
	s_and_b32 s6, vcc_lo, s5
	s_xor_b32 s6, s6, -1
	s_and_saveexec_b32 s8, s6
	s_xor_b32 s6, exec_lo, s8
	s_cbranch_execz .LBB108_41
; %bb.40:                               ;   in Loop: Header=BB108_7 Depth=2
	v_mov_b32_e32 v6, v2
	v_mov_b32_e32 v7, v2
	;; [unrolled: 1-line block ×4, first 2 shown]
	ds_write_b128 v61, v[6:9]
.LBB108_41:                             ;   in Loop: Header=BB108_7 Depth=2
	s_andn2_saveexec_b32 s6, s6
	s_cbranch_execz .LBB108_43
; %bb.42:                               ;   in Loop: Header=BB108_7 Depth=2
	global_load_dwordx4 v[6:9], v[34:35], off offset:-256
	s_waitcnt vmcnt(0)
	ds_write2_b64 v61, v[6:7], v[8:9] offset1:1
.LBB108_43:                             ;   in Loop: Header=BB108_7 Depth=2
	s_or_b32 exec_lo, exec_lo, s6
	v_cmp_gt_i64_e64 s6, s[40:41], v[4:5]
	s_and_b32 s8, vcc_lo, s6
	s_xor_b32 s8, s8, -1
	s_and_saveexec_b32 s9, s8
	s_xor_b32 s8, exec_lo, s9
	s_cbranch_execz .LBB108_45
; %bb.44:                               ;   in Loop: Header=BB108_7 Depth=2
	v_mov_b32_e32 v4, v2
	v_mov_b32_e32 v5, v2
	;; [unrolled: 1-line block ×4, first 2 shown]
	ds_write_b128 v61, v[4:7] offset:256
.LBB108_45:                             ;   in Loop: Header=BB108_7 Depth=2
	s_andn2_saveexec_b32 s8, s8
	s_cbranch_execz .LBB108_47
; %bb.46:                               ;   in Loop: Header=BB108_7 Depth=2
	global_load_dwordx4 v[4:7], v[34:35], off
	s_waitcnt vmcnt(0)
	ds_write2_b64 v65, v[4:5], v[6:7] offset1:1
.LBB108_47:                             ;   in Loop: Header=BB108_7 Depth=2
	s_or_b32 exec_lo, exec_lo, s8
	s_and_b32 s5, s4, s5
	s_xor_b32 s5, s5, -1
	s_and_saveexec_b32 s8, s5
	s_xor_b32 s5, exec_lo, s8
	s_cbranch_execz .LBB108_49
; %bb.48:                               ;   in Loop: Header=BB108_7 Depth=2
	v_mov_b32_e32 v4, v2
	v_mov_b32_e32 v5, v2
	;; [unrolled: 1-line block ×4, first 2 shown]
	ds_write_b128 v61, v[4:7] offset:8192
.LBB108_49:                             ;   in Loop: Header=BB108_7 Depth=2
	s_andn2_saveexec_b32 s5, s5
	s_cbranch_execz .LBB108_51
; %bb.50:                               ;   in Loop: Header=BB108_7 Depth=2
	global_load_dwordx4 v[4:7], v[36:37], off offset:-256
	s_waitcnt vmcnt(0)
	ds_write2_b64 v66, v[4:5], v[6:7] offset1:1
.LBB108_51:                             ;   in Loop: Header=BB108_7 Depth=2
	s_or_b32 exec_lo, exec_lo, s5
	s_and_b32 s5, s4, s6
	s_xor_b32 s5, s5, -1
	s_and_saveexec_b32 s6, s5
	s_xor_b32 s5, exec_lo, s6
	s_cbranch_execz .LBB108_53
; %bb.52:                               ;   in Loop: Header=BB108_7 Depth=2
	v_mov_b32_e32 v4, v2
	v_mov_b32_e32 v5, v2
	;; [unrolled: 1-line block ×4, first 2 shown]
	ds_write_b128 v61, v[4:7] offset:8448
.LBB108_53:                             ;   in Loop: Header=BB108_7 Depth=2
	s_andn2_saveexec_b32 s5, s5
	s_cbranch_execz .LBB108_6
; %bb.54:                               ;   in Loop: Header=BB108_7 Depth=2
	global_load_dwordx4 v[4:7], v[36:37], off
	s_waitcnt vmcnt(0)
	ds_write2_b64 v67, v[4:5], v[6:7] offset1:1
	s_branch .LBB108_6
.LBB108_55:                             ;   in Loop: Header=BB108_4 Depth=1
	v_mul_lo_u32 v6, s45, v68
	v_mul_lo_u32 v7, s44, v69
	v_mad_u64_u32 v[4:5], null, s44, v68, 0
	v_cmp_gt_i32_e32 vcc_lo, s30, v68
	v_add3_u32 v5, v5, v7, v6
	v_lshlrev_b64 v[4:5], 4, v[4:5]
	v_add_co_u32 v4, s4, s42, v4
	v_add_co_ci_u32_e64 v5, null, s43, v5, s4
	s_and_b32 s4, s1, vcc_lo
	s_and_saveexec_b32 s5, s4
	s_cbranch_execz .LBB108_57
; %bb.56:                               ;   in Loop: Header=BB108_4 Depth=1
	v_add_co_u32 v10, s4, v4, v26
	v_add_co_ci_u32_e64 v11, null, v5, v27, s4
	v_mul_f64 v[34:35], s[14:15], v[52:53]
	v_mul_f64 v[36:37], s[12:13], v[52:53]
	global_load_dwordx4 v[6:9], v[10:11], off
	v_fma_f64 v[34:35], s[12:13], v[50:51], -v[34:35]
	v_fma_f64 v[36:37], s[14:15], v[50:51], v[36:37]
	s_waitcnt vmcnt(0)
	v_add_f64 v[6:7], v[6:7], v[34:35]
	v_add_f64 v[8:9], v[36:37], v[8:9]
	global_store_dwordx4 v[10:11], v[6:9], off
.LBB108_57:                             ;   in Loop: Header=BB108_4 Depth=1
	s_or_b32 exec_lo, exec_lo, s5
	s_and_b32 s5, s2, vcc_lo
	s_and_saveexec_b32 s4, s5
	s_cbranch_execz .LBB108_59
; %bb.58:                               ;   in Loop: Header=BB108_4 Depth=1
	v_add_co_u32 v8, vcc_lo, v4, v32
	v_add_co_ci_u32_e64 v9, null, v5, v33, vcc_lo
	v_mul_f64 v[10:11], s[14:15], v[44:45]
	v_mul_f64 v[34:35], s[12:13], v[44:45]
	global_load_dwordx4 v[4:7], v[8:9], off
	v_fma_f64 v[10:11], s[12:13], v[42:43], -v[10:11]
	v_fma_f64 v[34:35], s[14:15], v[42:43], v[34:35]
	s_waitcnt vmcnt(0)
	v_add_f64 v[4:5], v[4:5], v[10:11]
	v_add_f64 v[6:7], v[34:35], v[6:7]
	global_store_dwordx4 v[8:9], v[4:7], off
.LBB108_59:                             ;   in Loop: Header=BB108_4 Depth=1
	s_or_b32 exec_lo, exec_lo, s4
	v_add_nc_u32_e32 v6, 16, v68
	v_ashrrev_i32_e32 v7, 31, v6
	v_mul_lo_u32 v8, s45, v6
	v_mad_u64_u32 v[4:5], null, s44, v6, 0
	v_cmp_gt_i32_e32 vcc_lo, s30, v6
	v_mul_lo_u32 v7, s44, v7
	v_add3_u32 v5, v5, v7, v8
	v_lshlrev_b64 v[4:5], 4, v[4:5]
	v_add_co_u32 v4, s4, s42, v4
	v_add_co_ci_u32_e64 v5, null, s43, v5, s4
	s_and_b32 s4, s1, vcc_lo
	s_and_saveexec_b32 s5, s4
	s_cbranch_execz .LBB108_61
; %bb.60:                               ;   in Loop: Header=BB108_4 Depth=1
	v_add_co_u32 v10, s4, v4, v26
	v_add_co_ci_u32_e64 v11, null, v5, v27, s4
	v_mul_f64 v[34:35], s[14:15], v[48:49]
	v_mul_f64 v[36:37], s[12:13], v[48:49]
	global_load_dwordx4 v[6:9], v[10:11], off
	v_fma_f64 v[34:35], s[12:13], v[46:47], -v[34:35]
	v_fma_f64 v[36:37], s[14:15], v[46:47], v[36:37]
	s_waitcnt vmcnt(0)
	v_add_f64 v[6:7], v[6:7], v[34:35]
	v_add_f64 v[8:9], v[36:37], v[8:9]
	global_store_dwordx4 v[10:11], v[6:9], off
.LBB108_61:                             ;   in Loop: Header=BB108_4 Depth=1
	s_or_b32 exec_lo, exec_lo, s5
	s_and_b32 s5, s2, vcc_lo
	s_and_saveexec_b32 s4, s5
	s_cbranch_execz .LBB108_3
; %bb.62:                               ;   in Loop: Header=BB108_4 Depth=1
	v_add_co_u32 v8, vcc_lo, v4, v32
	v_add_co_ci_u32_e64 v9, null, v5, v33, vcc_lo
	v_mul_f64 v[10:11], s[14:15], v[54:55]
	v_mul_f64 v[34:35], s[12:13], v[54:55]
	global_load_dwordx4 v[4:7], v[8:9], off
	v_fma_f64 v[10:11], s[12:13], v[56:57], -v[10:11]
	v_fma_f64 v[34:35], s[14:15], v[56:57], v[34:35]
	s_waitcnt vmcnt(0)
	v_add_f64 v[4:5], v[4:5], v[10:11]
	v_add_f64 v[6:7], v[34:35], v[6:7]
	global_store_dwordx4 v[8:9], v[4:7], off
	s_branch .LBB108_3
.LBB108_63:
	s_endpgm
	.section	.rodata,"a",@progbits
	.p2align	6, 0x0
	.amdhsa_kernel _ZL30rocblas_trmm_outofplace_kernelI19rocblas_complex_numIdELi32ELi2ELb1ELb0ELb0ELb0EPKS1_S2_S1_Ev17rocblas_diagonal_iiT6_lPT7_lllS7_lllPT8_llli
		.amdhsa_group_segment_fixed_size 32768
		.amdhsa_private_segment_fixed_size 0
		.amdhsa_kernarg_size 392
		.amdhsa_user_sgpr_count 6
		.amdhsa_user_sgpr_private_segment_buffer 1
		.amdhsa_user_sgpr_dispatch_ptr 0
		.amdhsa_user_sgpr_queue_ptr 0
		.amdhsa_user_sgpr_kernarg_segment_ptr 1
		.amdhsa_user_sgpr_dispatch_id 0
		.amdhsa_user_sgpr_flat_scratch_init 0
		.amdhsa_user_sgpr_private_segment_size 0
		.amdhsa_wavefront_size32 1
		.amdhsa_uses_dynamic_stack 0
		.amdhsa_system_sgpr_private_segment_wavefront_offset 0
		.amdhsa_system_sgpr_workgroup_id_x 1
		.amdhsa_system_sgpr_workgroup_id_y 1
		.amdhsa_system_sgpr_workgroup_id_z 1
		.amdhsa_system_sgpr_workgroup_info 0
		.amdhsa_system_vgpr_workitem_id 1
		.amdhsa_next_free_vgpr 88
		.amdhsa_next_free_sgpr 49
		.amdhsa_reserve_vcc 1
		.amdhsa_reserve_flat_scratch 0
		.amdhsa_float_round_mode_32 0
		.amdhsa_float_round_mode_16_64 0
		.amdhsa_float_denorm_mode_32 3
		.amdhsa_float_denorm_mode_16_64 3
		.amdhsa_dx10_clamp 1
		.amdhsa_ieee_mode 1
		.amdhsa_fp16_overflow 0
		.amdhsa_workgroup_processor_mode 1
		.amdhsa_memory_ordered 1
		.amdhsa_forward_progress 1
		.amdhsa_shared_vgpr_count 0
		.amdhsa_exception_fp_ieee_invalid_op 0
		.amdhsa_exception_fp_denorm_src 0
		.amdhsa_exception_fp_ieee_div_zero 0
		.amdhsa_exception_fp_ieee_overflow 0
		.amdhsa_exception_fp_ieee_underflow 0
		.amdhsa_exception_fp_ieee_inexact 0
		.amdhsa_exception_int_div_zero 0
	.end_amdhsa_kernel
	.section	.text._ZL30rocblas_trmm_outofplace_kernelI19rocblas_complex_numIdELi32ELi2ELb1ELb0ELb0ELb0EPKS1_S2_S1_Ev17rocblas_diagonal_iiT6_lPT7_lllS7_lllPT8_llli,"axG",@progbits,_ZL30rocblas_trmm_outofplace_kernelI19rocblas_complex_numIdELi32ELi2ELb1ELb0ELb0ELb0EPKS1_S2_S1_Ev17rocblas_diagonal_iiT6_lPT7_lllS7_lllPT8_llli,comdat
.Lfunc_end108:
	.size	_ZL30rocblas_trmm_outofplace_kernelI19rocblas_complex_numIdELi32ELi2ELb1ELb0ELb0ELb0EPKS1_S2_S1_Ev17rocblas_diagonal_iiT6_lPT7_lllS7_lllPT8_llli, .Lfunc_end108-_ZL30rocblas_trmm_outofplace_kernelI19rocblas_complex_numIdELi32ELi2ELb1ELb0ELb0ELb0EPKS1_S2_S1_Ev17rocblas_diagonal_iiT6_lPT7_lllS7_lllPT8_llli
                                        ; -- End function
	.set _ZL30rocblas_trmm_outofplace_kernelI19rocblas_complex_numIdELi32ELi2ELb1ELb0ELb0ELb0EPKS1_S2_S1_Ev17rocblas_diagonal_iiT6_lPT7_lllS7_lllPT8_llli.num_vgpr, 88
	.set _ZL30rocblas_trmm_outofplace_kernelI19rocblas_complex_numIdELi32ELi2ELb1ELb0ELb0ELb0EPKS1_S2_S1_Ev17rocblas_diagonal_iiT6_lPT7_lllS7_lllPT8_llli.num_agpr, 0
	.set _ZL30rocblas_trmm_outofplace_kernelI19rocblas_complex_numIdELi32ELi2ELb1ELb0ELb0ELb0EPKS1_S2_S1_Ev17rocblas_diagonal_iiT6_lPT7_lllS7_lllPT8_llli.numbered_sgpr, 49
	.set _ZL30rocblas_trmm_outofplace_kernelI19rocblas_complex_numIdELi32ELi2ELb1ELb0ELb0ELb0EPKS1_S2_S1_Ev17rocblas_diagonal_iiT6_lPT7_lllS7_lllPT8_llli.num_named_barrier, 0
	.set _ZL30rocblas_trmm_outofplace_kernelI19rocblas_complex_numIdELi32ELi2ELb1ELb0ELb0ELb0EPKS1_S2_S1_Ev17rocblas_diagonal_iiT6_lPT7_lllS7_lllPT8_llli.private_seg_size, 0
	.set _ZL30rocblas_trmm_outofplace_kernelI19rocblas_complex_numIdELi32ELi2ELb1ELb0ELb0ELb0EPKS1_S2_S1_Ev17rocblas_diagonal_iiT6_lPT7_lllS7_lllPT8_llli.uses_vcc, 1
	.set _ZL30rocblas_trmm_outofplace_kernelI19rocblas_complex_numIdELi32ELi2ELb1ELb0ELb0ELb0EPKS1_S2_S1_Ev17rocblas_diagonal_iiT6_lPT7_lllS7_lllPT8_llli.uses_flat_scratch, 0
	.set _ZL30rocblas_trmm_outofplace_kernelI19rocblas_complex_numIdELi32ELi2ELb1ELb0ELb0ELb0EPKS1_S2_S1_Ev17rocblas_diagonal_iiT6_lPT7_lllS7_lllPT8_llli.has_dyn_sized_stack, 0
	.set _ZL30rocblas_trmm_outofplace_kernelI19rocblas_complex_numIdELi32ELi2ELb1ELb0ELb0ELb0EPKS1_S2_S1_Ev17rocblas_diagonal_iiT6_lPT7_lllS7_lllPT8_llli.has_recursion, 0
	.set _ZL30rocblas_trmm_outofplace_kernelI19rocblas_complex_numIdELi32ELi2ELb1ELb0ELb0ELb0EPKS1_S2_S1_Ev17rocblas_diagonal_iiT6_lPT7_lllS7_lllPT8_llli.has_indirect_call, 0
	.section	.AMDGPU.csdata,"",@progbits
; Kernel info:
; codeLenInByte = 10164
; TotalNumSgprs: 51
; NumVgprs: 88
; ScratchSize: 0
; MemoryBound: 0
; FloatMode: 240
; IeeeMode: 1
; LDSByteSize: 32768 bytes/workgroup (compile time only)
; SGPRBlocks: 0
; VGPRBlocks: 10
; NumSGPRsForWavesPerEU: 51
; NumVGPRsForWavesPerEU: 88
; Occupancy: 10
; WaveLimiterHint : 0
; COMPUTE_PGM_RSRC2:SCRATCH_EN: 0
; COMPUTE_PGM_RSRC2:USER_SGPR: 6
; COMPUTE_PGM_RSRC2:TRAP_HANDLER: 0
; COMPUTE_PGM_RSRC2:TGID_X_EN: 1
; COMPUTE_PGM_RSRC2:TGID_Y_EN: 1
; COMPUTE_PGM_RSRC2:TGID_Z_EN: 1
; COMPUTE_PGM_RSRC2:TIDIG_COMP_CNT: 1
	.section	.text._ZL30rocblas_trmm_outofplace_kernelI19rocblas_complex_numIdELi32ELi2ELb1ELb0ELb0ELb0ES1_KS1_S1_Ev17rocblas_diagonal_iiT6_lPT7_lllS6_lllPT8_llli,"axG",@progbits,_ZL30rocblas_trmm_outofplace_kernelI19rocblas_complex_numIdELi32ELi2ELb1ELb0ELb0ELb0ES1_KS1_S1_Ev17rocblas_diagonal_iiT6_lPT7_lllS6_lllPT8_llli,comdat
	.globl	_ZL30rocblas_trmm_outofplace_kernelI19rocblas_complex_numIdELi32ELi2ELb1ELb0ELb0ELb0ES1_KS1_S1_Ev17rocblas_diagonal_iiT6_lPT7_lllS6_lllPT8_llli ; -- Begin function _ZL30rocblas_trmm_outofplace_kernelI19rocblas_complex_numIdELi32ELi2ELb1ELb0ELb0ELb0ES1_KS1_S1_Ev17rocblas_diagonal_iiT6_lPT7_lllS6_lllPT8_llli
	.p2align	8
	.type	_ZL30rocblas_trmm_outofplace_kernelI19rocblas_complex_numIdELi32ELi2ELb1ELb0ELb0ELb0ES1_KS1_S1_Ev17rocblas_diagonal_iiT6_lPT7_lllS6_lllPT8_llli,@function
_ZL30rocblas_trmm_outofplace_kernelI19rocblas_complex_numIdELi32ELi2ELb1ELb0ELb0ELb0ES1_KS1_S1_Ev17rocblas_diagonal_iiT6_lPT7_lllS6_lllPT8_llli: ; @_ZL30rocblas_trmm_outofplace_kernelI19rocblas_complex_numIdELi32ELi2ELb1ELb0ELb0ELb0ES1_KS1_S1_Ev17rocblas_diagonal_iiT6_lPT7_lllS6_lllPT8_llli
; %bb.0:
	s_load_dwordx4 s[28:31], s[4:5], 0x10
	s_waitcnt lgkmcnt(0)
	v_cmp_eq_f64_e64 s0, s[28:29], 0
	v_cmp_eq_f64_e64 s1, s[30:31], 0
	s_and_b32 s0, s0, s1
	s_and_b32 vcc_lo, exec_lo, s0
	s_cbranch_vccnz .LBB109_63
; %bb.1:
	s_load_dwordx4 s[44:47], s[4:5], 0x0
	s_waitcnt lgkmcnt(0)
	s_add_i32 s0, s46, -1
	s_ashr_i32 s1, s0, 31
	s_lshr_b32 s1, s1, 27
	s_add_i32 s0, s0, s1
	s_ashr_i32 s33, s0, 5
	s_cmp_gt_i32 s7, s33
	s_cbranch_scc1 .LBB109_63
; %bb.2:
	s_clause 0x2
	s_load_dwordx8 s[36:43], s[4:5], 0x68
	s_load_dwordx16 s[12:27], s[4:5], 0x28
	s_load_dword s47, s[4:5], 0x94
	v_lshl_add_u32 v9, v1, 4, 0x100
	v_lshlrev_b32_e32 v58, 4, v0
	v_lshlrev_b32_e32 v2, 9, v1
	s_mov_b32 s10, s45
	v_lshl_add_u32 v24, s7, 5, v1
	v_add_nc_u32_e32 v59, 0x4000, v2
	v_add_nc_u32_e32 v60, v58, v2
	v_mov_b32_e32 v2, 0
	v_add_nc_u32_e32 v61, v59, v58
	v_add_nc_u32_e32 v62, 0x100, v60
	;; [unrolled: 1-line block ×5, first 2 shown]
	s_waitcnt lgkmcnt(0)
	s_mul_i32 s1, s43, s8
	s_mul_hi_u32 s2, s42, s8
	s_mul_i32 s0, s42, s8
	s_add_i32 s1, s2, s1
	s_mul_i32 s4, s27, s8
	s_lshl_b64 s[0:1], s[0:1], 4
	s_mul_hi_u32 s5, s26, s8
	s_add_u32 s2, s36, s0
	s_addc_u32 s3, s37, s1
	s_lshl_b64 s[0:1], s[38:39], 4
	v_mad_u64_u32 v[5:6], null, s16, v1, 0
	s_add_u32 s38, s2, s0
	s_addc_u32 s39, s3, s1
	s_lshl_b32 s42, s6, 5
	s_cmp_gt_i32 s6, -1
	v_add_nc_u32_e32 v12, s42, v0
	s_cselect_b32 s43, -1, 0
	s_cmpk_eq_i32 s44, 0x84
	v_mad_u64_u32 v[6:7], null, s17, v1, v[6:7]
	s_cselect_b32 s44, -1, 0
	s_ashr_i32 s11, s45, 31
	s_ashr_i32 s48, s46, 31
	s_lshl_b64 s[34:35], s[16:17], 9
	s_add_u32 s36, s45, -16
	s_addc_u32 s37, s11, -1
	s_add_i32 s5, s5, s4
	s_mul_i32 s4, s26, s8
	s_lshl_b64 s[22:23], s[22:23], 4
	s_lshl_b64 s[4:5], s[4:5], 4
	v_ashrrev_i32_e32 v13, 31, v12
	s_add_u32 s4, s4, s22
	s_addc_u32 s5, s5, s23
	s_add_u32 s6, s20, s4
	s_addc_u32 s22, s21, s5
	s_mul_i32 s4, s19, s8
	s_mul_hi_u32 s5, s18, s8
	s_lshl_b64 s[20:21], s[24:25], 4
	s_add_i32 s5, s5, s4
	s_mul_i32 s4, s18, s8
	s_lshl_b64 s[8:9], s[14:15], 4
	s_lshl_b32 s18, s47, 5
	s_lshl_b64 s[4:5], s[4:5], 4
	s_add_u32 s8, s12, s8
	s_addc_u32 s9, s13, s9
	s_add_u32 s4, s8, s4
	v_add_co_u32 v14, vcc_lo, v12, 16
	s_addc_u32 s5, s9, s5
	v_add_co_ci_u32_e64 v15, null, 0, v13, vcc_lo
	v_sub_co_u32 v16, vcc_lo, v12, v1
	v_mad_u64_u32 v[7:8], null, s16, v9, s[4:5]
	v_subrev_co_ci_u32_e64 v17, null, 0, v13, vcc_lo
	v_add_co_u32 v10, s6, s6, v58
	v_add_co_u32 v18, vcc_lo, v16, 16
	v_lshlrev_b64 v[5:6], 4, v[5:6]
	v_add_co_ci_u32_e64 v11, null, s22, 0, s6
	v_add_nc_u32_e32 v3, 16, v12
	v_add_co_ci_u32_e64 v19, null, 0, v17, vcc_lo
	v_add_co_u32 v20, vcc_lo, v16, -16
	v_mad_u64_u32 v[8:9], null, s17, v9, v[8:9]
	v_add_co_ci_u32_e64 v21, null, -1, v17, vcc_lo
	v_add_co_u32 v22, vcc_lo, 0x100, v10
	v_add_co_ci_u32_e64 v23, null, 0, v11, vcc_lo
	v_add_co_u32 v5, vcc_lo, s4, v5
	v_ashrrev_i32_e32 v4, 31, v3
	v_add_co_ci_u32_e64 v6, null, s5, v6, vcc_lo
	v_add_co_u32 v28, vcc_lo, 0x100, v7
	v_add_co_ci_u32_e64 v29, null, 0, v8, vcc_lo
	v_add_co_u32 v30, vcc_lo, 0x100, v5
	v_cmp_le_i64_e64 s3, s[10:11], v[14:15]
	v_lshlrev_b64 v[26:27], 4, v[12:13]
	v_lshlrev_b64 v[32:33], 4, v[3:4]
	v_add_nc_u32_e32 v66, 0x2000, v61
	v_add_nc_u32_e32 v67, 0x2100, v61
	v_cmp_le_i32_e64 s0, s45, v12
	v_cmp_gt_i32_e64 s1, s45, v12
	v_cmp_gt_i32_e64 s2, s45, v3
	v_add_co_ci_u32_e64 v31, null, 0, v6, vcc_lo
	v_mov_b32_e32 v3, 0x3ff00000
	s_branch .LBB109_4
.LBB109_3:                              ;   in Loop: Header=BB109_4 Depth=1
	s_or_b32 exec_lo, exec_lo, s4
	v_add_nc_u32_e32 v24, s18, v24
	s_add_i32 s7, s47, s7
	s_cmp_le_i32 s7, s33
	s_cbranch_scc0 .LBB109_63
.LBB109_4:                              ; =>This Loop Header: Depth=1
                                        ;     Child Loop BB109_7 Depth 2
	v_lshl_add_u32 v68, s7, 5, v1
	v_mov_b32_e32 v50, 0
	v_mov_b32_e32 v52, 0
	;; [unrolled: 1-line block ×16, first 2 shown]
	v_ashrrev_i32_e32 v69, 31, v68
	s_andn2_b32 vcc_lo, exec_lo, s43
	s_cbranch_vccnz .LBB109_55
; %bb.5:                                ;   in Loop: Header=BB109_4 Depth=1
	v_ashrrev_i32_e32 v25, 31, v24
	v_mad_u64_u32 v[34:35], null, s20, v24, v[22:23]
	v_mul_lo_u32 v6, s21, v24
	v_mov_b32_e32 v54, 0
	v_lshlrev_b64 v[4:5], 4, v[24:25]
	v_mul_lo_u32 v9, s20, v25
	v_mov_b32_e32 v39, v31
	v_mov_b32_e32 v56, 0
	;; [unrolled: 1-line block ×4, first 2 shown]
	v_add_co_u32 v7, vcc_lo, 0x100, v4
	v_add_co_ci_u32_e64 v8, null, 0, v5, vcc_lo
	v_sub_co_u32 v4, vcc_lo, s46, v68
	v_mul_lo_u32 v10, s25, v7
	v_mul_lo_u32 v8, s24, v8
	v_mad_u64_u32 v[36:37], null, s24, v7, v[22:23]
	v_sub_co_ci_u32_e64 v5, null, s48, v69, vcc_lo
	v_mov_b32_e32 v44, 0
	v_mov_b32_e32 v42, 0
	;; [unrolled: 1-line block ×3, first 2 shown]
	v_cmp_lt_i64_e64 s4, 16, v[4:5]
	v_mov_b32_e32 v50, 0
	v_mov_b32_e32 v41, v29
	;; [unrolled: 1-line block ×5, first 2 shown]
	v_add3_u32 v35, v6, v35, v9
	v_add3_u32 v37, v10, v37, v8
	v_mov_b32_e32 v49, 0
	v_mov_b32_e32 v47, 0
	;; [unrolled: 1-line block ×7, first 2 shown]
	s_mov_b64 s[12:13], 0
	v_cmp_lt_i64_e32 vcc_lo, 0, v[4:5]
	s_branch .LBB109_7
.LBB109_6:                              ;   in Loop: Header=BB109_7 Depth=2
	s_or_b32 exec_lo, exec_lo, s5
	s_waitcnt lgkmcnt(0)
	s_barrier
	buffer_gl0_inv
	ds_read_b128 v[70:73], v59
	ds_read_b128 v[74:77], v59 offset:16
	ds_read_b128 v[8:11], v59 offset:32
	;; [unrolled: 1-line block ×3, first 2 shown]
	ds_read_b128 v[78:81], v58
	v_add_co_u32 v34, s5, 0x200, v34
	v_add_co_ci_u32_e64 v35, null, 0, v35, s5
	v_add_co_u32 v40, s5, v40, s34
	v_add_co_ci_u32_e64 v41, null, s35, v41, s5
	;; [unrolled: 2-line block ×3, first 2 shown]
	v_add_co_u32 v36, s5, 0x200, v36
	s_add_u32 s12, s12, 32
	v_add_co_ci_u32_e64 v37, null, 0, v37, s5
	s_addc_u32 s13, s13, 0
	s_sub_i32 s6, s12, 32
	s_waitcnt lgkmcnt(0)
	v_mul_f64 v[82:83], v[72:73], v[80:81]
	v_mul_f64 v[84:85], v[70:71], v[80:81]
	s_cmp_ge_i32 s6, s42
	v_fma_f64 v[82:83], v[70:71], v[78:79], -v[82:83]
	v_fma_f64 v[84:85], v[72:73], v[78:79], v[84:85]
	v_add_f64 v[82:83], v[50:51], v[82:83]
	v_add_f64 v[84:85], v[84:85], v[52:53]
	ds_read_b128 v[50:53], v58 offset:256
	s_waitcnt lgkmcnt(0)
	v_mul_f64 v[86:87], v[72:73], v[52:53]
	v_fma_f64 v[86:87], v[70:71], v[50:51], -v[86:87]
	v_mul_f64 v[70:71], v[70:71], v[52:53]
	v_fma_f64 v[70:71], v[72:73], v[50:51], v[70:71]
	v_add_f64 v[72:73], v[42:43], v[86:87]
	v_add_f64 v[70:71], v[70:71], v[44:45]
	ds_read_b128 v[42:45], v59 offset:8192
	s_waitcnt lgkmcnt(0)
	v_mul_f64 v[86:87], v[44:45], v[80:81]
	v_mul_f64 v[80:81], v[42:43], v[80:81]
	v_fma_f64 v[86:87], v[42:43], v[78:79], -v[86:87]
	v_fma_f64 v[78:79], v[44:45], v[78:79], v[80:81]
	v_add_f64 v[80:81], v[46:47], v[86:87]
	v_mul_f64 v[46:47], v[44:45], v[52:53]
	v_add_f64 v[78:79], v[78:79], v[48:49]
	v_fma_f64 v[46:47], v[42:43], v[50:51], -v[46:47]
	v_mul_f64 v[42:43], v[42:43], v[52:53]
	v_add_f64 v[56:57], v[56:57], v[46:47]
	v_fma_f64 v[42:43], v[44:45], v[50:51], v[42:43]
	v_add_f64 v[54:55], v[42:43], v[54:55]
	ds_read_b128 v[42:45], v58 offset:512
	s_waitcnt lgkmcnt(0)
	v_mul_f64 v[46:47], v[76:77], v[44:45]
	v_mul_f64 v[48:49], v[74:75], v[44:45]
	v_fma_f64 v[46:47], v[74:75], v[42:43], -v[46:47]
	v_fma_f64 v[48:49], v[76:77], v[42:43], v[48:49]
	v_add_f64 v[82:83], v[82:83], v[46:47]
	v_add_f64 v[84:85], v[48:49], v[84:85]
	ds_read_b128 v[46:49], v58 offset:768
	s_waitcnt lgkmcnt(0)
	v_mul_f64 v[50:51], v[76:77], v[48:49]
	v_mul_f64 v[52:53], v[74:75], v[48:49]
	v_fma_f64 v[50:51], v[74:75], v[46:47], -v[50:51]
	v_fma_f64 v[52:53], v[76:77], v[46:47], v[52:53]
	v_add_f64 v[72:73], v[72:73], v[50:51]
	v_add_f64 v[70:71], v[52:53], v[70:71]
	ds_read_b128 v[50:53], v59 offset:8208
	s_waitcnt lgkmcnt(0)
	v_mul_f64 v[74:75], v[52:53], v[44:45]
	v_mul_f64 v[44:45], v[50:51], v[44:45]
	v_fma_f64 v[74:75], v[50:51], v[42:43], -v[74:75]
	v_fma_f64 v[42:43], v[52:53], v[42:43], v[44:45]
	v_mul_f64 v[44:45], v[50:51], v[48:49]
	v_add_f64 v[74:75], v[80:81], v[74:75]
	v_add_f64 v[76:77], v[42:43], v[78:79]
	v_mul_f64 v[42:43], v[52:53], v[48:49]
	v_fma_f64 v[44:45], v[52:53], v[46:47], v[44:45]
	v_fma_f64 v[42:43], v[50:51], v[46:47], -v[42:43]
	v_add_f64 v[52:53], v[44:45], v[54:55]
	v_add_f64 v[50:51], v[56:57], v[42:43]
	ds_read_b128 v[42:45], v58 offset:1024
	s_waitcnt lgkmcnt(0)
	v_mul_f64 v[46:47], v[10:11], v[44:45]
	v_mul_f64 v[48:49], v[8:9], v[44:45]
	v_fma_f64 v[46:47], v[8:9], v[42:43], -v[46:47]
	v_fma_f64 v[48:49], v[10:11], v[42:43], v[48:49]
	v_add_f64 v[54:55], v[82:83], v[46:47]
	v_add_f64 v[56:57], v[48:49], v[84:85]
	ds_read_b128 v[46:49], v58 offset:1280
	s_waitcnt lgkmcnt(0)
	v_mul_f64 v[78:79], v[10:11], v[48:49]
	v_fma_f64 v[78:79], v[8:9], v[46:47], -v[78:79]
	v_mul_f64 v[8:9], v[8:9], v[48:49]
	v_add_f64 v[72:73], v[72:73], v[78:79]
	v_fma_f64 v[8:9], v[10:11], v[46:47], v[8:9]
	v_add_f64 v[70:71], v[8:9], v[70:71]
	ds_read_b128 v[8:11], v59 offset:8224
	s_waitcnt lgkmcnt(0)
	v_mul_f64 v[78:79], v[10:11], v[44:45]
	v_mul_f64 v[44:45], v[8:9], v[44:45]
	v_fma_f64 v[78:79], v[8:9], v[42:43], -v[78:79]
	v_fma_f64 v[42:43], v[10:11], v[42:43], v[44:45]
	v_add_f64 v[74:75], v[74:75], v[78:79]
	v_add_f64 v[76:77], v[42:43], v[76:77]
	v_mul_f64 v[42:43], v[10:11], v[48:49]
	v_fma_f64 v[42:43], v[8:9], v[46:47], -v[42:43]
	v_mul_f64 v[8:9], v[8:9], v[48:49]
	v_fma_f64 v[8:9], v[10:11], v[46:47], v[8:9]
	v_add_f64 v[46:47], v[50:51], v[42:43]
	v_add_f64 v[48:49], v[8:9], v[52:53]
	ds_read_b128 v[8:11], v58 offset:1536
	s_waitcnt lgkmcnt(0)
	v_mul_f64 v[42:43], v[6:7], v[10:11]
	v_mul_f64 v[44:45], v[4:5], v[10:11]
	v_fma_f64 v[42:43], v[4:5], v[8:9], -v[42:43]
	v_fma_f64 v[44:45], v[6:7], v[8:9], v[44:45]
	v_add_f64 v[50:51], v[54:55], v[42:43]
	v_add_f64 v[52:53], v[44:45], v[56:57]
	ds_read_b128 v[42:45], v58 offset:1792
	s_waitcnt lgkmcnt(0)
	v_mul_f64 v[54:55], v[6:7], v[44:45]
	v_fma_f64 v[54:55], v[4:5], v[42:43], -v[54:55]
	v_mul_f64 v[4:5], v[4:5], v[44:45]
	v_add_f64 v[54:55], v[72:73], v[54:55]
	v_fma_f64 v[4:5], v[6:7], v[42:43], v[4:5]
	v_add_f64 v[56:57], v[4:5], v[70:71]
	ds_read_b128 v[4:7], v59 offset:8240
	s_waitcnt lgkmcnt(0)
	v_mul_f64 v[70:71], v[6:7], v[10:11]
	v_mul_f64 v[10:11], v[4:5], v[10:11]
	v_fma_f64 v[70:71], v[4:5], v[8:9], -v[70:71]
	v_fma_f64 v[8:9], v[6:7], v[8:9], v[10:11]
	v_add_f64 v[70:71], v[74:75], v[70:71]
	v_add_f64 v[72:73], v[8:9], v[76:77]
	v_mul_f64 v[8:9], v[6:7], v[44:45]
	v_fma_f64 v[8:9], v[4:5], v[42:43], -v[8:9]
	v_mul_f64 v[4:5], v[4:5], v[44:45]
	v_add_f64 v[46:47], v[46:47], v[8:9]
	v_fma_f64 v[4:5], v[6:7], v[42:43], v[4:5]
	v_add_f64 v[48:49], v[4:5], v[48:49]
	ds_read_b128 v[4:7], v59 offset:64
	ds_read_b128 v[8:11], v58 offset:2048
	s_waitcnt lgkmcnt(0)
	v_mul_f64 v[42:43], v[6:7], v[10:11]
	v_mul_f64 v[44:45], v[4:5], v[10:11]
	v_fma_f64 v[42:43], v[4:5], v[8:9], -v[42:43]
	v_fma_f64 v[44:45], v[6:7], v[8:9], v[44:45]
	v_add_f64 v[50:51], v[50:51], v[42:43]
	v_add_f64 v[52:53], v[44:45], v[52:53]
	ds_read_b128 v[42:45], v58 offset:2304
	s_waitcnt lgkmcnt(0)
	v_mul_f64 v[74:75], v[6:7], v[44:45]
	v_fma_f64 v[74:75], v[4:5], v[42:43], -v[74:75]
	v_mul_f64 v[4:5], v[4:5], v[44:45]
	v_add_f64 v[54:55], v[54:55], v[74:75]
	v_fma_f64 v[4:5], v[6:7], v[42:43], v[4:5]
	v_add_f64 v[56:57], v[4:5], v[56:57]
	ds_read_b128 v[4:7], v59 offset:8256
	s_waitcnt lgkmcnt(0)
	v_mul_f64 v[74:75], v[6:7], v[10:11]
	v_mul_f64 v[10:11], v[4:5], v[10:11]
	v_fma_f64 v[74:75], v[4:5], v[8:9], -v[74:75]
	v_fma_f64 v[8:9], v[6:7], v[8:9], v[10:11]
	v_add_f64 v[70:71], v[70:71], v[74:75]
	v_add_f64 v[72:73], v[8:9], v[72:73]
	v_mul_f64 v[8:9], v[6:7], v[44:45]
	v_fma_f64 v[8:9], v[4:5], v[42:43], -v[8:9]
	v_mul_f64 v[4:5], v[4:5], v[44:45]
	v_add_f64 v[46:47], v[46:47], v[8:9]
	v_fma_f64 v[4:5], v[6:7], v[42:43], v[4:5]
	v_add_f64 v[48:49], v[4:5], v[48:49]
	ds_read_b128 v[4:7], v59 offset:80
	;; [unrolled: 31-line block ×27, first 2 shown]
	ds_read_b128 v[8:11], v58 offset:15360
	s_waitcnt lgkmcnt(0)
	v_mul_f64 v[42:43], v[6:7], v[10:11]
	v_mul_f64 v[44:45], v[4:5], v[10:11]
	v_fma_f64 v[42:43], v[4:5], v[8:9], -v[42:43]
	v_fma_f64 v[44:45], v[6:7], v[8:9], v[44:45]
	v_add_f64 v[50:51], v[50:51], v[42:43]
	v_add_f64 v[52:53], v[44:45], v[52:53]
	ds_read_b128 v[42:45], v58 offset:15616
	s_waitcnt lgkmcnt(0)
	v_mul_f64 v[74:75], v[6:7], v[44:45]
	v_fma_f64 v[74:75], v[4:5], v[42:43], -v[74:75]
	v_mul_f64 v[4:5], v[4:5], v[44:45]
	v_add_f64 v[74:75], v[54:55], v[74:75]
	v_fma_f64 v[4:5], v[6:7], v[42:43], v[4:5]
	v_add_f64 v[76:77], v[4:5], v[56:57]
	ds_read_b128 v[4:7], v59 offset:8672
	s_waitcnt lgkmcnt(0)
	v_mul_f64 v[54:55], v[6:7], v[10:11]
	v_mul_f64 v[10:11], v[4:5], v[10:11]
	v_fma_f64 v[54:55], v[4:5], v[8:9], -v[54:55]
	v_fma_f64 v[8:9], v[6:7], v[8:9], v[10:11]
	v_add_f64 v[78:79], v[70:71], v[54:55]
	v_add_f64 v[80:81], v[8:9], v[72:73]
	v_mul_f64 v[8:9], v[6:7], v[44:45]
	v_fma_f64 v[8:9], v[4:5], v[42:43], -v[8:9]
	v_mul_f64 v[4:5], v[4:5], v[44:45]
	v_fma_f64 v[6:7], v[6:7], v[42:43], v[4:5]
	v_add_f64 v[4:5], v[46:47], v[8:9]
	v_add_f64 v[6:7], v[6:7], v[48:49]
	ds_read_b128 v[8:11], v59 offset:496
	ds_read_b128 v[46:49], v58 offset:15872
	;; [unrolled: 1-line block ×4, first 2 shown]
	s_waitcnt lgkmcnt(0)
	s_barrier
	buffer_gl0_inv
	v_mul_f64 v[42:43], v[10:11], v[48:49]
	v_mul_f64 v[44:45], v[8:9], v[48:49]
	v_fma_f64 v[42:43], v[8:9], v[46:47], -v[42:43]
	v_fma_f64 v[44:45], v[10:11], v[46:47], v[44:45]
	v_add_f64 v[50:51], v[50:51], v[42:43]
	v_mul_f64 v[42:43], v[10:11], v[56:57]
	v_add_f64 v[52:53], v[44:45], v[52:53]
	v_fma_f64 v[42:43], v[8:9], v[54:55], -v[42:43]
	v_mul_f64 v[8:9], v[8:9], v[56:57]
	v_add_f64 v[42:43], v[74:75], v[42:43]
	v_fma_f64 v[8:9], v[10:11], v[54:55], v[8:9]
	v_mul_f64 v[10:11], v[70:71], v[48:49]
	v_add_f64 v[44:45], v[8:9], v[76:77]
	v_mul_f64 v[8:9], v[72:73], v[48:49]
	v_fma_f64 v[10:11], v[72:73], v[46:47], v[10:11]
	v_fma_f64 v[8:9], v[70:71], v[46:47], -v[8:9]
	v_add_f64 v[48:49], v[10:11], v[80:81]
	v_mul_f64 v[10:11], v[70:71], v[56:57]
	v_add_f64 v[46:47], v[78:79], v[8:9]
	v_mul_f64 v[8:9], v[72:73], v[56:57]
	v_fma_f64 v[10:11], v[72:73], v[54:55], v[10:11]
	v_fma_f64 v[8:9], v[70:71], v[54:55], -v[8:9]
	v_add_f64 v[54:55], v[10:11], v[6:7]
	v_add_f64 v[56:57], v[4:5], v[8:9]
	s_cbranch_scc1 .LBB109_55
.LBB109_7:                              ;   Parent Loop BB109_4 Depth=1
                                        ; =>  This Inner Loop Header: Depth=2
	v_add_co_u32 v6, s5, v1, s12
	v_add_co_ci_u32_e64 v7, null, 0, s13, s5
	v_cmp_eq_u64_e64 s8, s[12:13], v[16:17]
	v_cmp_le_i64_e64 s6, s[10:11], v[6:7]
	v_cmp_gt_i64_e64 s5, v[6:7], v[12:13]
	s_and_b32 s15, s44, s8
	v_add_co_u32 v8, s8, v38, v26
	v_add_co_ci_u32_e64 v9, null, v39, v27, s8
	s_or_b32 s9, s6, s5
	s_or_b32 s8, s9, s15
	s_nor_b32 s8, s0, s8
	s_and_saveexec_b32 s9, s8
	s_xor_b32 s8, exec_lo, s9
	s_cbranch_execz .LBB109_9
; %bb.8:                                ;   in Loop: Header=BB109_7 Depth=2
	global_load_dwordx4 v[70:73], v[8:9], off offset:-256
	s_waitcnt vmcnt(0)
	ds_write2_b64 v60, v[70:71], v[72:73] offset1:1
.LBB109_9:                              ;   in Loop: Header=BB109_7 Depth=2
	s_or_saveexec_b32 s8, s8
	s_xor_b32 s14, s15, -1
	s_xor_b32 exec_lo, exec_lo, s8
	s_cbranch_execz .LBB109_15
; %bb.10:                               ;   in Loop: Header=BB109_7 Depth=2
	s_and_saveexec_b32 s9, s14
	s_xor_b32 s9, exec_lo, s9
	s_cbranch_execz .LBB109_12
; %bb.11:                               ;   in Loop: Header=BB109_7 Depth=2
	v_mov_b32_e32 v70, v2
	v_mov_b32_e32 v71, v2
	;; [unrolled: 1-line block ×4, first 2 shown]
	ds_write_b128 v60, v[70:73]
.LBB109_12:                             ;   in Loop: Header=BB109_7 Depth=2
	s_andn2_saveexec_b32 s9, s9
; %bb.13:                               ;   in Loop: Header=BB109_7 Depth=2
	v_mov_b32_e32 v4, v2
	v_mov_b32_e32 v5, v2
	ds_write_b128 v60, v[2:5]
; %bb.14:                               ;   in Loop: Header=BB109_7 Depth=2
	s_or_b32 exec_lo, exec_lo, s9
.LBB109_15:                             ;   in Loop: Header=BB109_7 Depth=2
	s_or_b32 exec_lo, exec_lo, s8
	v_cmp_eq_u64_e64 s8, s[12:13], v[18:19]
	v_cmp_lt_i64_e64 s9, v[14:15], v[6:7]
	s_and_b32 s8, s44, s8
	s_or_b32 s6, s6, s9
	s_or_b32 s6, s6, s8
	s_nor_b32 s6, s3, s6
	s_and_saveexec_b32 s9, s6
	s_xor_b32 s6, exec_lo, s9
	s_cbranch_execz .LBB109_17
; %bb.16:                               ;   in Loop: Header=BB109_7 Depth=2
	global_load_dwordx4 v[8:11], v[8:9], off
	s_waitcnt vmcnt(0)
	ds_write2_b64 v62, v[8:9], v[10:11] offset1:1
.LBB109_17:                             ;   in Loop: Header=BB109_7 Depth=2
	s_andn2_saveexec_b32 s6, s6
	s_cbranch_execz .LBB109_23
; %bb.18:                               ;   in Loop: Header=BB109_7 Depth=2
	s_xor_b32 s8, s8, -1
	s_and_saveexec_b32 s9, s8
	s_xor_b32 s8, exec_lo, s9
	s_cbranch_execz .LBB109_20
; %bb.19:                               ;   in Loop: Header=BB109_7 Depth=2
	v_mov_b32_e32 v8, v2
	v_mov_b32_e32 v9, v2
	;; [unrolled: 1-line block ×4, first 2 shown]
	ds_write_b128 v60, v[8:11] offset:256
.LBB109_20:                             ;   in Loop: Header=BB109_7 Depth=2
	s_andn2_saveexec_b32 s8, s8
; %bb.21:                               ;   in Loop: Header=BB109_7 Depth=2
	v_mov_b32_e32 v4, v2
	v_mov_b32_e32 v5, v2
	ds_write_b128 v60, v[2:5] offset:256
; %bb.22:                               ;   in Loop: Header=BB109_7 Depth=2
	s_or_b32 exec_lo, exec_lo, s8
.LBB109_23:                             ;   in Loop: Header=BB109_7 Depth=2
	s_or_b32 exec_lo, exec_lo, s6
	v_add_co_u32 v4, s6, v6, 16
	v_add_co_ci_u32_e64 v5, null, 0, v7, s6
	v_cmp_eq_u64_e64 s8, s[12:13], v[20:21]
	v_cmp_le_i64_e64 s6, s[10:11], v[4:5]
	v_cmp_gt_i64_e64 s9, v[4:5], v[12:13]
	s_and_b32 s16, s44, s8
	v_add_co_u32 v6, s8, v40, v26
	v_add_co_ci_u32_e64 v7, null, v41, v27, s8
	s_or_b32 s9, s6, s9
	s_or_b32 s8, s9, s16
	s_nor_b32 s8, s0, s8
	s_and_saveexec_b32 s9, s8
	s_xor_b32 s8, exec_lo, s9
	s_cbranch_execz .LBB109_25
; %bb.24:                               ;   in Loop: Header=BB109_7 Depth=2
	global_load_dwordx4 v[8:11], v[6:7], off offset:-256
	s_waitcnt vmcnt(0)
	ds_write2_b64 v63, v[8:9], v[10:11] offset1:1
.LBB109_25:                             ;   in Loop: Header=BB109_7 Depth=2
	s_andn2_saveexec_b32 s8, s8
	s_cbranch_execz .LBB109_31
; %bb.26:                               ;   in Loop: Header=BB109_7 Depth=2
	s_xor_b32 s9, s16, -1
	s_and_saveexec_b32 s16, s9
	s_xor_b32 s9, exec_lo, s16
	s_cbranch_execz .LBB109_28
; %bb.27:                               ;   in Loop: Header=BB109_7 Depth=2
	v_mov_b32_e32 v8, v2
	v_mov_b32_e32 v9, v2
	;; [unrolled: 1-line block ×4, first 2 shown]
	ds_write_b128 v60, v[8:11] offset:8192
.LBB109_28:                             ;   in Loop: Header=BB109_7 Depth=2
	s_andn2_saveexec_b32 s9, s9
; %bb.29:                               ;   in Loop: Header=BB109_7 Depth=2
	v_mov_b32_e32 v4, v2
	v_mov_b32_e32 v5, v2
	ds_write_b128 v60, v[2:5] offset:8192
; %bb.30:                               ;   in Loop: Header=BB109_7 Depth=2
	s_or_b32 exec_lo, exec_lo, s9
.LBB109_31:                             ;   in Loop: Header=BB109_7 Depth=2
	s_or_b32 exec_lo, exec_lo, s8
	s_or_b32 s5, s6, s5
	s_or_b32 s5, s5, s15
	s_nor_b32 s5, s3, s5
	s_and_saveexec_b32 s6, s5
	s_xor_b32 s5, exec_lo, s6
	s_cbranch_execz .LBB109_33
; %bb.32:                               ;   in Loop: Header=BB109_7 Depth=2
	global_load_dwordx4 v[4:7], v[6:7], off
	s_waitcnt vmcnt(0)
	ds_write2_b64 v64, v[4:5], v[6:7] offset1:1
.LBB109_33:                             ;   in Loop: Header=BB109_7 Depth=2
	s_andn2_saveexec_b32 s5, s5
	s_cbranch_execz .LBB109_39
; %bb.34:                               ;   in Loop: Header=BB109_7 Depth=2
	s_and_saveexec_b32 s6, s14
	s_xor_b32 s6, exec_lo, s6
	s_cbranch_execz .LBB109_36
; %bb.35:                               ;   in Loop: Header=BB109_7 Depth=2
	v_mov_b32_e32 v4, v2
	v_mov_b32_e32 v5, v2
	;; [unrolled: 1-line block ×4, first 2 shown]
	ds_write_b128 v60, v[4:7] offset:8448
.LBB109_36:                             ;   in Loop: Header=BB109_7 Depth=2
	s_andn2_saveexec_b32 s6, s6
; %bb.37:                               ;   in Loop: Header=BB109_7 Depth=2
	v_mov_b32_e32 v4, v2
	v_mov_b32_e32 v5, v2
	ds_write_b128 v60, v[2:5] offset:8448
; %bb.38:                               ;   in Loop: Header=BB109_7 Depth=2
	s_or_b32 exec_lo, exec_lo, s6
.LBB109_39:                             ;   in Loop: Header=BB109_7 Depth=2
	s_or_b32 exec_lo, exec_lo, s5
	v_add_co_u32 v4, s5, v0, s12
	v_add_co_ci_u32_e64 v5, null, 0, s13, s5
	v_cmp_gt_i64_e64 s5, s[10:11], v[4:5]
	s_and_b32 s6, vcc_lo, s5
	s_xor_b32 s6, s6, -1
	s_and_saveexec_b32 s8, s6
	s_xor_b32 s6, exec_lo, s8
	s_cbranch_execz .LBB109_41
; %bb.40:                               ;   in Loop: Header=BB109_7 Depth=2
	v_mov_b32_e32 v6, v2
	v_mov_b32_e32 v7, v2
	;; [unrolled: 1-line block ×4, first 2 shown]
	ds_write_b128 v61, v[6:9]
.LBB109_41:                             ;   in Loop: Header=BB109_7 Depth=2
	s_andn2_saveexec_b32 s6, s6
	s_cbranch_execz .LBB109_43
; %bb.42:                               ;   in Loop: Header=BB109_7 Depth=2
	global_load_dwordx4 v[6:9], v[34:35], off offset:-256
	s_waitcnt vmcnt(0)
	ds_write2_b64 v61, v[6:7], v[8:9] offset1:1
.LBB109_43:                             ;   in Loop: Header=BB109_7 Depth=2
	s_or_b32 exec_lo, exec_lo, s6
	v_cmp_gt_i64_e64 s6, s[36:37], v[4:5]
	s_and_b32 s8, vcc_lo, s6
	s_xor_b32 s8, s8, -1
	s_and_saveexec_b32 s9, s8
	s_xor_b32 s8, exec_lo, s9
	s_cbranch_execz .LBB109_45
; %bb.44:                               ;   in Loop: Header=BB109_7 Depth=2
	v_mov_b32_e32 v4, v2
	v_mov_b32_e32 v5, v2
	v_mov_b32_e32 v6, v2
	v_mov_b32_e32 v7, v2
	ds_write_b128 v61, v[4:7] offset:256
.LBB109_45:                             ;   in Loop: Header=BB109_7 Depth=2
	s_andn2_saveexec_b32 s8, s8
	s_cbranch_execz .LBB109_47
; %bb.46:                               ;   in Loop: Header=BB109_7 Depth=2
	global_load_dwordx4 v[4:7], v[34:35], off
	s_waitcnt vmcnt(0)
	ds_write2_b64 v65, v[4:5], v[6:7] offset1:1
.LBB109_47:                             ;   in Loop: Header=BB109_7 Depth=2
	s_or_b32 exec_lo, exec_lo, s8
	s_and_b32 s5, s4, s5
	s_xor_b32 s5, s5, -1
	s_and_saveexec_b32 s8, s5
	s_xor_b32 s5, exec_lo, s8
	s_cbranch_execz .LBB109_49
; %bb.48:                               ;   in Loop: Header=BB109_7 Depth=2
	v_mov_b32_e32 v4, v2
	v_mov_b32_e32 v5, v2
	;; [unrolled: 1-line block ×4, first 2 shown]
	ds_write_b128 v61, v[4:7] offset:8192
.LBB109_49:                             ;   in Loop: Header=BB109_7 Depth=2
	s_andn2_saveexec_b32 s5, s5
	s_cbranch_execz .LBB109_51
; %bb.50:                               ;   in Loop: Header=BB109_7 Depth=2
	global_load_dwordx4 v[4:7], v[36:37], off offset:-256
	s_waitcnt vmcnt(0)
	ds_write2_b64 v66, v[4:5], v[6:7] offset1:1
.LBB109_51:                             ;   in Loop: Header=BB109_7 Depth=2
	s_or_b32 exec_lo, exec_lo, s5
	s_and_b32 s5, s4, s6
	s_xor_b32 s5, s5, -1
	s_and_saveexec_b32 s6, s5
	s_xor_b32 s5, exec_lo, s6
	s_cbranch_execz .LBB109_53
; %bb.52:                               ;   in Loop: Header=BB109_7 Depth=2
	v_mov_b32_e32 v4, v2
	v_mov_b32_e32 v5, v2
	;; [unrolled: 1-line block ×4, first 2 shown]
	ds_write_b128 v61, v[4:7] offset:8448
.LBB109_53:                             ;   in Loop: Header=BB109_7 Depth=2
	s_andn2_saveexec_b32 s5, s5
	s_cbranch_execz .LBB109_6
; %bb.54:                               ;   in Loop: Header=BB109_7 Depth=2
	global_load_dwordx4 v[4:7], v[36:37], off
	s_waitcnt vmcnt(0)
	ds_write2_b64 v67, v[4:5], v[6:7] offset1:1
	s_branch .LBB109_6
.LBB109_55:                             ;   in Loop: Header=BB109_4 Depth=1
	v_mul_lo_u32 v6, s41, v68
	v_mul_lo_u32 v7, s40, v69
	v_mad_u64_u32 v[4:5], null, s40, v68, 0
	v_cmp_gt_i32_e32 vcc_lo, s46, v68
	v_add3_u32 v5, v5, v7, v6
	v_lshlrev_b64 v[4:5], 4, v[4:5]
	v_add_co_u32 v4, s4, s38, v4
	v_add_co_ci_u32_e64 v5, null, s39, v5, s4
	s_and_b32 s4, s1, vcc_lo
	s_and_saveexec_b32 s5, s4
	s_cbranch_execz .LBB109_57
; %bb.56:                               ;   in Loop: Header=BB109_4 Depth=1
	v_add_co_u32 v10, s4, v4, v26
	v_add_co_ci_u32_e64 v11, null, v5, v27, s4
	v_mul_f64 v[34:35], s[30:31], v[52:53]
	v_mul_f64 v[36:37], s[28:29], v[52:53]
	global_load_dwordx4 v[6:9], v[10:11], off
	v_fma_f64 v[34:35], s[28:29], v[50:51], -v[34:35]
	v_fma_f64 v[36:37], s[30:31], v[50:51], v[36:37]
	s_waitcnt vmcnt(0)
	v_add_f64 v[6:7], v[6:7], v[34:35]
	v_add_f64 v[8:9], v[36:37], v[8:9]
	global_store_dwordx4 v[10:11], v[6:9], off
.LBB109_57:                             ;   in Loop: Header=BB109_4 Depth=1
	s_or_b32 exec_lo, exec_lo, s5
	s_and_b32 s5, s2, vcc_lo
	s_and_saveexec_b32 s4, s5
	s_cbranch_execz .LBB109_59
; %bb.58:                               ;   in Loop: Header=BB109_4 Depth=1
	v_add_co_u32 v8, vcc_lo, v4, v32
	v_add_co_ci_u32_e64 v9, null, v5, v33, vcc_lo
	v_mul_f64 v[10:11], s[30:31], v[44:45]
	v_mul_f64 v[34:35], s[28:29], v[44:45]
	global_load_dwordx4 v[4:7], v[8:9], off
	v_fma_f64 v[10:11], s[28:29], v[42:43], -v[10:11]
	v_fma_f64 v[34:35], s[30:31], v[42:43], v[34:35]
	s_waitcnt vmcnt(0)
	v_add_f64 v[4:5], v[4:5], v[10:11]
	v_add_f64 v[6:7], v[34:35], v[6:7]
	global_store_dwordx4 v[8:9], v[4:7], off
.LBB109_59:                             ;   in Loop: Header=BB109_4 Depth=1
	s_or_b32 exec_lo, exec_lo, s4
	v_add_nc_u32_e32 v6, 16, v68
	v_ashrrev_i32_e32 v7, 31, v6
	v_mul_lo_u32 v8, s41, v6
	v_mad_u64_u32 v[4:5], null, s40, v6, 0
	v_cmp_gt_i32_e32 vcc_lo, s46, v6
	v_mul_lo_u32 v7, s40, v7
	v_add3_u32 v5, v5, v7, v8
	v_lshlrev_b64 v[4:5], 4, v[4:5]
	v_add_co_u32 v4, s4, s38, v4
	v_add_co_ci_u32_e64 v5, null, s39, v5, s4
	s_and_b32 s4, s1, vcc_lo
	s_and_saveexec_b32 s5, s4
	s_cbranch_execz .LBB109_61
; %bb.60:                               ;   in Loop: Header=BB109_4 Depth=1
	v_add_co_u32 v10, s4, v4, v26
	v_add_co_ci_u32_e64 v11, null, v5, v27, s4
	v_mul_f64 v[34:35], s[30:31], v[48:49]
	v_mul_f64 v[36:37], s[28:29], v[48:49]
	global_load_dwordx4 v[6:9], v[10:11], off
	v_fma_f64 v[34:35], s[28:29], v[46:47], -v[34:35]
	v_fma_f64 v[36:37], s[30:31], v[46:47], v[36:37]
	s_waitcnt vmcnt(0)
	v_add_f64 v[6:7], v[6:7], v[34:35]
	v_add_f64 v[8:9], v[36:37], v[8:9]
	global_store_dwordx4 v[10:11], v[6:9], off
.LBB109_61:                             ;   in Loop: Header=BB109_4 Depth=1
	s_or_b32 exec_lo, exec_lo, s5
	s_and_b32 s5, s2, vcc_lo
	s_and_saveexec_b32 s4, s5
	s_cbranch_execz .LBB109_3
; %bb.62:                               ;   in Loop: Header=BB109_4 Depth=1
	v_add_co_u32 v8, vcc_lo, v4, v32
	v_add_co_ci_u32_e64 v9, null, v5, v33, vcc_lo
	v_mul_f64 v[10:11], s[30:31], v[54:55]
	v_mul_f64 v[34:35], s[28:29], v[54:55]
	global_load_dwordx4 v[4:7], v[8:9], off
	v_fma_f64 v[10:11], s[28:29], v[56:57], -v[10:11]
	v_fma_f64 v[34:35], s[30:31], v[56:57], v[34:35]
	s_waitcnt vmcnt(0)
	v_add_f64 v[4:5], v[4:5], v[10:11]
	v_add_f64 v[6:7], v[34:35], v[6:7]
	global_store_dwordx4 v[8:9], v[4:7], off
	s_branch .LBB109_3
.LBB109_63:
	s_endpgm
	.section	.rodata,"a",@progbits
	.p2align	6, 0x0
	.amdhsa_kernel _ZL30rocblas_trmm_outofplace_kernelI19rocblas_complex_numIdELi32ELi2ELb1ELb0ELb0ELb0ES1_KS1_S1_Ev17rocblas_diagonal_iiT6_lPT7_lllS6_lllPT8_llli
		.amdhsa_group_segment_fixed_size 32768
		.amdhsa_private_segment_fixed_size 0
		.amdhsa_kernarg_size 400
		.amdhsa_user_sgpr_count 6
		.amdhsa_user_sgpr_private_segment_buffer 1
		.amdhsa_user_sgpr_dispatch_ptr 0
		.amdhsa_user_sgpr_queue_ptr 0
		.amdhsa_user_sgpr_kernarg_segment_ptr 1
		.amdhsa_user_sgpr_dispatch_id 0
		.amdhsa_user_sgpr_flat_scratch_init 0
		.amdhsa_user_sgpr_private_segment_size 0
		.amdhsa_wavefront_size32 1
		.amdhsa_uses_dynamic_stack 0
		.amdhsa_system_sgpr_private_segment_wavefront_offset 0
		.amdhsa_system_sgpr_workgroup_id_x 1
		.amdhsa_system_sgpr_workgroup_id_y 1
		.amdhsa_system_sgpr_workgroup_id_z 1
		.amdhsa_system_sgpr_workgroup_info 0
		.amdhsa_system_vgpr_workitem_id 1
		.amdhsa_next_free_vgpr 88
		.amdhsa_next_free_sgpr 49
		.amdhsa_reserve_vcc 1
		.amdhsa_reserve_flat_scratch 0
		.amdhsa_float_round_mode_32 0
		.amdhsa_float_round_mode_16_64 0
		.amdhsa_float_denorm_mode_32 3
		.amdhsa_float_denorm_mode_16_64 3
		.amdhsa_dx10_clamp 1
		.amdhsa_ieee_mode 1
		.amdhsa_fp16_overflow 0
		.amdhsa_workgroup_processor_mode 1
		.amdhsa_memory_ordered 1
		.amdhsa_forward_progress 1
		.amdhsa_shared_vgpr_count 0
		.amdhsa_exception_fp_ieee_invalid_op 0
		.amdhsa_exception_fp_denorm_src 0
		.amdhsa_exception_fp_ieee_div_zero 0
		.amdhsa_exception_fp_ieee_overflow 0
		.amdhsa_exception_fp_ieee_underflow 0
		.amdhsa_exception_fp_ieee_inexact 0
		.amdhsa_exception_int_div_zero 0
	.end_amdhsa_kernel
	.section	.text._ZL30rocblas_trmm_outofplace_kernelI19rocblas_complex_numIdELi32ELi2ELb1ELb0ELb0ELb0ES1_KS1_S1_Ev17rocblas_diagonal_iiT6_lPT7_lllS6_lllPT8_llli,"axG",@progbits,_ZL30rocblas_trmm_outofplace_kernelI19rocblas_complex_numIdELi32ELi2ELb1ELb0ELb0ELb0ES1_KS1_S1_Ev17rocblas_diagonal_iiT6_lPT7_lllS6_lllPT8_llli,comdat
.Lfunc_end109:
	.size	_ZL30rocblas_trmm_outofplace_kernelI19rocblas_complex_numIdELi32ELi2ELb1ELb0ELb0ELb0ES1_KS1_S1_Ev17rocblas_diagonal_iiT6_lPT7_lllS6_lllPT8_llli, .Lfunc_end109-_ZL30rocblas_trmm_outofplace_kernelI19rocblas_complex_numIdELi32ELi2ELb1ELb0ELb0ELb0ES1_KS1_S1_Ev17rocblas_diagonal_iiT6_lPT7_lllS6_lllPT8_llli
                                        ; -- End function
	.set _ZL30rocblas_trmm_outofplace_kernelI19rocblas_complex_numIdELi32ELi2ELb1ELb0ELb0ELb0ES1_KS1_S1_Ev17rocblas_diagonal_iiT6_lPT7_lllS6_lllPT8_llli.num_vgpr, 88
	.set _ZL30rocblas_trmm_outofplace_kernelI19rocblas_complex_numIdELi32ELi2ELb1ELb0ELb0ELb0ES1_KS1_S1_Ev17rocblas_diagonal_iiT6_lPT7_lllS6_lllPT8_llli.num_agpr, 0
	.set _ZL30rocblas_trmm_outofplace_kernelI19rocblas_complex_numIdELi32ELi2ELb1ELb0ELb0ELb0ES1_KS1_S1_Ev17rocblas_diagonal_iiT6_lPT7_lllS6_lllPT8_llli.numbered_sgpr, 49
	.set _ZL30rocblas_trmm_outofplace_kernelI19rocblas_complex_numIdELi32ELi2ELb1ELb0ELb0ELb0ES1_KS1_S1_Ev17rocblas_diagonal_iiT6_lPT7_lllS6_lllPT8_llli.num_named_barrier, 0
	.set _ZL30rocblas_trmm_outofplace_kernelI19rocblas_complex_numIdELi32ELi2ELb1ELb0ELb0ELb0ES1_KS1_S1_Ev17rocblas_diagonal_iiT6_lPT7_lllS6_lllPT8_llli.private_seg_size, 0
	.set _ZL30rocblas_trmm_outofplace_kernelI19rocblas_complex_numIdELi32ELi2ELb1ELb0ELb0ELb0ES1_KS1_S1_Ev17rocblas_diagonal_iiT6_lPT7_lllS6_lllPT8_llli.uses_vcc, 1
	.set _ZL30rocblas_trmm_outofplace_kernelI19rocblas_complex_numIdELi32ELi2ELb1ELb0ELb0ELb0ES1_KS1_S1_Ev17rocblas_diagonal_iiT6_lPT7_lllS6_lllPT8_llli.uses_flat_scratch, 0
	.set _ZL30rocblas_trmm_outofplace_kernelI19rocblas_complex_numIdELi32ELi2ELb1ELb0ELb0ELb0ES1_KS1_S1_Ev17rocblas_diagonal_iiT6_lPT7_lllS6_lllPT8_llli.has_dyn_sized_stack, 0
	.set _ZL30rocblas_trmm_outofplace_kernelI19rocblas_complex_numIdELi32ELi2ELb1ELb0ELb0ELb0ES1_KS1_S1_Ev17rocblas_diagonal_iiT6_lPT7_lllS6_lllPT8_llli.has_recursion, 0
	.set _ZL30rocblas_trmm_outofplace_kernelI19rocblas_complex_numIdELi32ELi2ELb1ELb0ELb0ELb0ES1_KS1_S1_Ev17rocblas_diagonal_iiT6_lPT7_lllS6_lllPT8_llli.has_indirect_call, 0
	.section	.AMDGPU.csdata,"",@progbits
; Kernel info:
; codeLenInByte = 10124
; TotalNumSgprs: 51
; NumVgprs: 88
; ScratchSize: 0
; MemoryBound: 0
; FloatMode: 240
; IeeeMode: 1
; LDSByteSize: 32768 bytes/workgroup (compile time only)
; SGPRBlocks: 0
; VGPRBlocks: 10
; NumSGPRsForWavesPerEU: 51
; NumVGPRsForWavesPerEU: 88
; Occupancy: 10
; WaveLimiterHint : 0
; COMPUTE_PGM_RSRC2:SCRATCH_EN: 0
; COMPUTE_PGM_RSRC2:USER_SGPR: 6
; COMPUTE_PGM_RSRC2:TRAP_HANDLER: 0
; COMPUTE_PGM_RSRC2:TGID_X_EN: 1
; COMPUTE_PGM_RSRC2:TGID_Y_EN: 1
; COMPUTE_PGM_RSRC2:TGID_Z_EN: 1
; COMPUTE_PGM_RSRC2:TIDIG_COMP_CNT: 1
	.section	.text._ZL30rocblas_trmm_outofplace_kernelI19rocblas_complex_numIdELi32ELi2ELb1ELb1ELb0ELb0EPKS1_S2_S1_Ev17rocblas_diagonal_iiT6_lPT7_lllS7_lllPT8_llli,"axG",@progbits,_ZL30rocblas_trmm_outofplace_kernelI19rocblas_complex_numIdELi32ELi2ELb1ELb1ELb0ELb0EPKS1_S2_S1_Ev17rocblas_diagonal_iiT6_lPT7_lllS7_lllPT8_llli,comdat
	.globl	_ZL30rocblas_trmm_outofplace_kernelI19rocblas_complex_numIdELi32ELi2ELb1ELb1ELb0ELb0EPKS1_S2_S1_Ev17rocblas_diagonal_iiT6_lPT7_lllS7_lllPT8_llli ; -- Begin function _ZL30rocblas_trmm_outofplace_kernelI19rocblas_complex_numIdELi32ELi2ELb1ELb1ELb0ELb0EPKS1_S2_S1_Ev17rocblas_diagonal_iiT6_lPT7_lllS7_lllPT8_llli
	.p2align	8
	.type	_ZL30rocblas_trmm_outofplace_kernelI19rocblas_complex_numIdELi32ELi2ELb1ELb1ELb0ELb0EPKS1_S2_S1_Ev17rocblas_diagonal_iiT6_lPT7_lllS7_lllPT8_llli,@function
_ZL30rocblas_trmm_outofplace_kernelI19rocblas_complex_numIdELi32ELi2ELb1ELb1ELb0ELb0EPKS1_S2_S1_Ev17rocblas_diagonal_iiT6_lPT7_lllS7_lllPT8_llli: ; @_ZL30rocblas_trmm_outofplace_kernelI19rocblas_complex_numIdELi32ELi2ELb1ELb1ELb0ELb0EPKS1_S2_S1_Ev17rocblas_diagonal_iiT6_lPT7_lllS7_lllPT8_llli
; %bb.0:
	s_load_dwordx16 s[12:27], s[4:5], 0x10
	s_waitcnt lgkmcnt(0)
	s_mul_i32 s1, s15, s8
	s_mul_hi_u32 s2, s14, s8
	s_mul_i32 s0, s14, s8
	s_add_i32 s1, s2, s1
	s_lshl_b64 s[0:1], s[0:1], 4
	s_add_u32 s0, s12, s0
	s_addc_u32 s1, s13, s1
	s_load_dwordx4 s[12:15], s[0:1], 0x0
	s_waitcnt lgkmcnt(0)
	v_cmp_eq_f64_e64 s0, s[12:13], 0
	v_cmp_eq_f64_e64 s1, s[14:15], 0
	s_and_b32 s0, s0, s1
	s_and_b32 vcc_lo, exec_lo, s0
	s_cbranch_vccnz .LBB110_64
; %bb.1:
	s_load_dwordx4 s[28:31], s[4:5], 0x0
	s_waitcnt lgkmcnt(0)
	s_add_i32 s0, s30, -1
	s_ashr_i32 s1, s0, 31
	s_lshr_b32 s1, s1, 27
	s_add_i32 s0, s0, s1
	s_ashr_i32 s31, s0, 5
	s_cmp_gt_i32 s7, s31
	s_cbranch_scc1 .LBB110_64
; %bb.2:
	s_clause 0x2
	s_load_dwordx4 s[44:47], s[4:5], 0x70
	s_load_dwordx8 s[36:43], s[4:5], 0x50
	s_load_dword s33, s[4:5], 0x8c
	v_lshlrev_b32_e32 v2, 9, v1
	v_lshlrev_b32_e32 v58, 4, v0
	s_mov_b32 s10, s29
	v_lshl_add_u32 v28, s7, 5, v1
	v_add_nc_u32_e32 v59, 0x4000, v2
	v_add_nc_u32_e32 v60, v58, v2
	;; [unrolled: 1-line block ×8, first 2 shown]
	s_waitcnt lgkmcnt(0)
	s_mul_i32 s1, s47, s8
	s_mul_hi_u32 s2, s46, s8
	s_mul_i32 s0, s46, s8
	s_add_i32 s1, s2, s1
	s_mul_i32 s4, s39, s8
	s_lshl_b64 s[0:1], s[0:1], 4
	s_mul_hi_u32 s5, s38, s8
	s_add_u32 s2, s40, s0
	s_addc_u32 s3, s41, s1
	s_lshl_b64 s[0:1], s[42:43], 4
	s_add_u32 s42, s2, s0
	s_addc_u32 s43, s3, s1
	s_lshl_b32 s0, s6, 5
	s_sub_i32 s46, s29, s0
	v_add_nc_u32_e32 v14, s0, v0
	v_add_nc_u32_e32 v12, s0, v1
	s_cmp_gt_i32 s46, 0
	v_add_nc_u32_e32 v0, 0x2100, v61
	s_cselect_b32 s47, -1, 0
	s_cmpk_eq_i32 s28, 0x84
	v_ashrrev_i32_e32 v15, 31, v14
	s_cselect_b32 s48, -1, 0
	s_ashr_i32 s11, s29, 31
	s_ashr_i32 s49, s30, 31
	s_lshl_b64 s[34:35], s[20:21], 9
	v_ashrrev_i32_e32 v13, 31, v12
	s_add_u32 s40, s29, -16
	s_addc_u32 s41, s11, -1
	s_add_i32 s5, s5, s4
	s_mul_i32 s4, s38, s8
	v_add_co_u32 v18, vcc_lo, v14, 16
	s_lshl_b64 s[4:5], s[4:5], 4
	s_lshl_b64 s[26:27], s[26:27], 4
	v_add_co_ci_u32_e64 v19, null, 0, v15, vcc_lo
	v_sub_co_u32 v20, vcc_lo, v14, v12
	s_add_u32 s4, s4, s26
	v_lshlrev_b64 v[2:3], 4, v[12:13]
	v_sub_co_ci_u32_e64 v21, null, v15, v13, vcc_lo
	s_addc_u32 s5, s5, s27
	v_add_nc_u32_e32 v16, 16, v14
	s_add_u32 s24, s24, s4
	v_mul_lo_u32 v6, s20, v13
	v_mul_lo_u32 v7, s21, v12
	v_mad_u64_u32 v[4:5], null, s20, v12, 0
	s_addc_u32 s25, s25, s5
	s_mul_i32 s4, s23, s8
	s_mul_hi_u32 s5, s22, s8
	v_add_co_u32 v22, vcc_lo, v20, 16
	s_add_u32 s26, s24, 0x100
	s_addc_u32 s27, s25, 0
	s_add_i32 s5, s5, s4
	s_mul_i32 s4, s22, s8
	v_add_co_ci_u32_e64 v23, null, 0, v21, vcc_lo
	s_lshl_b64 s[8:9], s[18:19], 4
	v_add_co_u32 v8, vcc_lo, 0x100, v2
	v_cmp_le_i32_e64 s0, s29, v14
	v_cmp_gt_i32_e64 s1, s29, v14
	v_cmp_gt_i32_e64 s3, s29, v16
	s_lshl_b64 s[28:29], s[36:37], 4
	s_lshl_b32 s22, s33, 5
	s_lshl_b64 s[4:5], s[4:5], 4
	v_add_co_ci_u32_e64 v9, null, 0, v3, vcc_lo
	s_add_u32 s6, s16, s8
	s_addc_u32 s8, s17, s9
	s_add_u32 s4, s6, s4
	v_add3_u32 v5, v5, v6, v7
	s_addc_u32 s5, s8, s5
	v_mul_lo_u32 v6, s20, v9
	v_mad_u64_u32 v[2:3], null, s20, v8, s[4:5]
	v_mul_lo_u32 v7, s21, v8
	v_lshlrev_b64 v[4:5], 4, v[4:5]
	v_add_co_u32 v24, vcc_lo, v20, -16
	v_add_co_ci_u32_e64 v25, null, -1, v21, vcc_lo
	v_cmp_le_i64_e64 s2, s[10:11], v[18:19]
	v_add_co_u32 v4, vcc_lo, s4, v4
	v_add3_u32 v3, v7, v3, v6
	v_add_co_ci_u32_e64 v5, null, s5, v5, vcc_lo
	v_add_co_u32 v30, vcc_lo, 0x100, v2
	v_add_co_ci_u32_e64 v31, null, 0, v3, vcc_lo
	v_add_co_u32 v32, vcc_lo, 0x100, v4
	v_lshlrev_b64 v[26:27], 4, v[14:15]
	v_ashrrev_i32_e32 v17, 31, v16
	v_add_co_ci_u32_e64 v33, null, 0, v5, vcc_lo
	v_mov_b32_e32 v2, 0
	v_mov_b32_e32 v3, 0x3ff00000
	s_branch .LBB110_4
.LBB110_3:                              ;   in Loop: Header=BB110_4 Depth=1
	s_or_b32 exec_lo, exec_lo, s4
	v_add_nc_u32_e32 v28, s22, v28
	s_add_i32 s7, s33, s7
	s_cmp_le_i32 s7, s31
	s_cbranch_scc0 .LBB110_64
.LBB110_4:                              ; =>This Loop Header: Depth=1
                                        ;     Child Loop BB110_7 Depth 2
	v_lshl_add_u32 v67, s7, 5, v1
	s_andn2_b32 vcc_lo, exec_lo, s47
	v_ashrrev_i32_e32 v68, 31, v67
	s_cbranch_vccnz .LBB110_55
; %bb.5:                                ;   in Loop: Header=BB110_4 Depth=1
	v_ashrrev_i32_e32 v29, 31, v28
	v_mad_u64_u32 v[34:35], null, s28, v28, s[26:27]
	v_mul_lo_u32 v6, s29, v28
	v_mov_b32_e32 v54, 0
	v_lshlrev_b64 v[4:5], 4, v[28:29]
	v_mul_lo_u32 v9, s28, v29
	v_mov_b32_e32 v39, v33
	v_mov_b32_e32 v56, 0
	;; [unrolled: 1-line block ×4, first 2 shown]
	v_add_co_u32 v7, vcc_lo, 0x100, v4
	v_add_co_ci_u32_e64 v8, null, 0, v5, vcc_lo
	v_sub_co_u32 v4, vcc_lo, s30, v67
	v_mul_lo_u32 v10, s37, v7
	v_mul_lo_u32 v8, s36, v8
	v_mad_u64_u32 v[36:37], null, s36, v7, s[24:25]
	v_sub_co_ci_u32_e64 v5, null, s49, v68, vcc_lo
	v_mov_b32_e32 v44, 0
	v_mov_b32_e32 v42, 0
	;; [unrolled: 1-line block ×3, first 2 shown]
	v_cmp_lt_i64_e64 s4, 16, v[4:5]
	v_mov_b32_e32 v50, 0
	v_mov_b32_e32 v41, v31
	;; [unrolled: 1-line block ×5, first 2 shown]
	v_add3_u32 v35, v6, v35, v9
	v_add3_u32 v37, v10, v37, v8
	v_mov_b32_e32 v49, 0
	v_mov_b32_e32 v47, 0
	;; [unrolled: 1-line block ×7, first 2 shown]
	s_mov_b64 s[16:17], 0
	v_cmp_lt_i64_e32 vcc_lo, 0, v[4:5]
	s_branch .LBB110_7
.LBB110_6:                              ;   in Loop: Header=BB110_7 Depth=2
	s_or_b32 exec_lo, exec_lo, s5
	s_waitcnt lgkmcnt(0)
	s_barrier
	buffer_gl0_inv
	ds_read_b128 v[69:72], v59
	ds_read_b128 v[73:76], v59 offset:16
	ds_read_b128 v[8:11], v59 offset:32
	;; [unrolled: 1-line block ×3, first 2 shown]
	ds_read_b128 v[77:80], v58
	v_add_co_u32 v34, s5, 0x200, v34
	v_add_co_ci_u32_e64 v35, null, 0, v35, s5
	v_add_co_u32 v40, s5, v40, s34
	v_add_co_ci_u32_e64 v41, null, s35, v41, s5
	;; [unrolled: 2-line block ×4, first 2 shown]
	s_add_u32 s16, s16, 32
	s_addc_u32 s17, s17, 0
	s_cmp_ge_i32 s16, s46
	s_waitcnt lgkmcnt(0)
	v_mul_f64 v[81:82], v[71:72], v[79:80]
	v_mul_f64 v[83:84], v[69:70], v[79:80]
	v_fma_f64 v[81:82], v[69:70], v[77:78], -v[81:82]
	v_fma_f64 v[83:84], v[71:72], v[77:78], v[83:84]
	v_add_f64 v[81:82], v[50:51], v[81:82]
	v_add_f64 v[83:84], v[83:84], v[52:53]
	ds_read_b128 v[50:53], v58 offset:256
	s_waitcnt lgkmcnt(0)
	v_mul_f64 v[85:86], v[71:72], v[52:53]
	v_fma_f64 v[85:86], v[69:70], v[50:51], -v[85:86]
	v_mul_f64 v[69:70], v[69:70], v[52:53]
	v_fma_f64 v[69:70], v[71:72], v[50:51], v[69:70]
	v_add_f64 v[71:72], v[42:43], v[85:86]
	v_add_f64 v[69:70], v[69:70], v[44:45]
	ds_read_b128 v[42:45], v59 offset:8192
	s_waitcnt lgkmcnt(0)
	v_mul_f64 v[85:86], v[44:45], v[79:80]
	v_mul_f64 v[79:80], v[42:43], v[79:80]
	v_fma_f64 v[85:86], v[42:43], v[77:78], -v[85:86]
	v_fma_f64 v[77:78], v[44:45], v[77:78], v[79:80]
	v_add_f64 v[79:80], v[46:47], v[85:86]
	v_mul_f64 v[46:47], v[44:45], v[52:53]
	v_add_f64 v[77:78], v[77:78], v[48:49]
	v_fma_f64 v[46:47], v[42:43], v[50:51], -v[46:47]
	v_mul_f64 v[42:43], v[42:43], v[52:53]
	v_add_f64 v[56:57], v[56:57], v[46:47]
	v_fma_f64 v[42:43], v[44:45], v[50:51], v[42:43]
	v_add_f64 v[54:55], v[42:43], v[54:55]
	ds_read_b128 v[42:45], v58 offset:512
	s_waitcnt lgkmcnt(0)
	v_mul_f64 v[46:47], v[75:76], v[44:45]
	v_mul_f64 v[48:49], v[73:74], v[44:45]
	v_fma_f64 v[46:47], v[73:74], v[42:43], -v[46:47]
	v_fma_f64 v[48:49], v[75:76], v[42:43], v[48:49]
	v_add_f64 v[81:82], v[81:82], v[46:47]
	v_add_f64 v[83:84], v[48:49], v[83:84]
	ds_read_b128 v[46:49], v58 offset:768
	s_waitcnt lgkmcnt(0)
	v_mul_f64 v[50:51], v[75:76], v[48:49]
	v_mul_f64 v[52:53], v[73:74], v[48:49]
	v_fma_f64 v[50:51], v[73:74], v[46:47], -v[50:51]
	v_fma_f64 v[52:53], v[75:76], v[46:47], v[52:53]
	v_add_f64 v[71:72], v[71:72], v[50:51]
	v_add_f64 v[69:70], v[52:53], v[69:70]
	ds_read_b128 v[50:53], v59 offset:8208
	s_waitcnt lgkmcnt(0)
	v_mul_f64 v[73:74], v[52:53], v[44:45]
	v_mul_f64 v[44:45], v[50:51], v[44:45]
	v_fma_f64 v[73:74], v[50:51], v[42:43], -v[73:74]
	v_fma_f64 v[42:43], v[52:53], v[42:43], v[44:45]
	v_mul_f64 v[44:45], v[50:51], v[48:49]
	v_add_f64 v[73:74], v[79:80], v[73:74]
	v_add_f64 v[75:76], v[42:43], v[77:78]
	v_mul_f64 v[42:43], v[52:53], v[48:49]
	v_fma_f64 v[44:45], v[52:53], v[46:47], v[44:45]
	v_fma_f64 v[42:43], v[50:51], v[46:47], -v[42:43]
	v_add_f64 v[52:53], v[44:45], v[54:55]
	v_add_f64 v[50:51], v[56:57], v[42:43]
	ds_read_b128 v[42:45], v58 offset:1024
	s_waitcnt lgkmcnt(0)
	v_mul_f64 v[46:47], v[10:11], v[44:45]
	v_mul_f64 v[48:49], v[8:9], v[44:45]
	v_fma_f64 v[46:47], v[8:9], v[42:43], -v[46:47]
	v_fma_f64 v[48:49], v[10:11], v[42:43], v[48:49]
	v_add_f64 v[54:55], v[81:82], v[46:47]
	v_add_f64 v[56:57], v[48:49], v[83:84]
	ds_read_b128 v[46:49], v58 offset:1280
	s_waitcnt lgkmcnt(0)
	v_mul_f64 v[77:78], v[10:11], v[48:49]
	v_fma_f64 v[77:78], v[8:9], v[46:47], -v[77:78]
	v_mul_f64 v[8:9], v[8:9], v[48:49]
	v_add_f64 v[71:72], v[71:72], v[77:78]
	v_fma_f64 v[8:9], v[10:11], v[46:47], v[8:9]
	v_add_f64 v[69:70], v[8:9], v[69:70]
	ds_read_b128 v[8:11], v59 offset:8224
	s_waitcnt lgkmcnt(0)
	v_mul_f64 v[77:78], v[10:11], v[44:45]
	v_mul_f64 v[44:45], v[8:9], v[44:45]
	v_fma_f64 v[77:78], v[8:9], v[42:43], -v[77:78]
	v_fma_f64 v[42:43], v[10:11], v[42:43], v[44:45]
	v_add_f64 v[73:74], v[73:74], v[77:78]
	v_add_f64 v[75:76], v[42:43], v[75:76]
	v_mul_f64 v[42:43], v[10:11], v[48:49]
	v_fma_f64 v[42:43], v[8:9], v[46:47], -v[42:43]
	v_mul_f64 v[8:9], v[8:9], v[48:49]
	v_fma_f64 v[8:9], v[10:11], v[46:47], v[8:9]
	v_add_f64 v[46:47], v[50:51], v[42:43]
	v_add_f64 v[48:49], v[8:9], v[52:53]
	ds_read_b128 v[8:11], v58 offset:1536
	s_waitcnt lgkmcnt(0)
	v_mul_f64 v[42:43], v[6:7], v[10:11]
	v_mul_f64 v[44:45], v[4:5], v[10:11]
	v_fma_f64 v[42:43], v[4:5], v[8:9], -v[42:43]
	v_fma_f64 v[44:45], v[6:7], v[8:9], v[44:45]
	v_add_f64 v[50:51], v[54:55], v[42:43]
	v_add_f64 v[52:53], v[44:45], v[56:57]
	ds_read_b128 v[42:45], v58 offset:1792
	s_waitcnt lgkmcnt(0)
	v_mul_f64 v[54:55], v[6:7], v[44:45]
	v_fma_f64 v[54:55], v[4:5], v[42:43], -v[54:55]
	v_mul_f64 v[4:5], v[4:5], v[44:45]
	v_add_f64 v[54:55], v[71:72], v[54:55]
	v_fma_f64 v[4:5], v[6:7], v[42:43], v[4:5]
	v_add_f64 v[56:57], v[4:5], v[69:70]
	ds_read_b128 v[4:7], v59 offset:8240
	s_waitcnt lgkmcnt(0)
	v_mul_f64 v[69:70], v[6:7], v[10:11]
	v_mul_f64 v[10:11], v[4:5], v[10:11]
	v_fma_f64 v[69:70], v[4:5], v[8:9], -v[69:70]
	v_fma_f64 v[8:9], v[6:7], v[8:9], v[10:11]
	v_add_f64 v[69:70], v[73:74], v[69:70]
	v_add_f64 v[71:72], v[8:9], v[75:76]
	v_mul_f64 v[8:9], v[6:7], v[44:45]
	v_fma_f64 v[8:9], v[4:5], v[42:43], -v[8:9]
	v_mul_f64 v[4:5], v[4:5], v[44:45]
	v_add_f64 v[46:47], v[46:47], v[8:9]
	v_fma_f64 v[4:5], v[6:7], v[42:43], v[4:5]
	v_add_f64 v[48:49], v[4:5], v[48:49]
	ds_read_b128 v[4:7], v59 offset:64
	ds_read_b128 v[8:11], v58 offset:2048
	s_waitcnt lgkmcnt(0)
	v_mul_f64 v[42:43], v[6:7], v[10:11]
	v_mul_f64 v[44:45], v[4:5], v[10:11]
	v_fma_f64 v[42:43], v[4:5], v[8:9], -v[42:43]
	v_fma_f64 v[44:45], v[6:7], v[8:9], v[44:45]
	v_add_f64 v[50:51], v[50:51], v[42:43]
	v_add_f64 v[52:53], v[44:45], v[52:53]
	ds_read_b128 v[42:45], v58 offset:2304
	s_waitcnt lgkmcnt(0)
	v_mul_f64 v[73:74], v[6:7], v[44:45]
	v_fma_f64 v[73:74], v[4:5], v[42:43], -v[73:74]
	v_mul_f64 v[4:5], v[4:5], v[44:45]
	v_add_f64 v[54:55], v[54:55], v[73:74]
	v_fma_f64 v[4:5], v[6:7], v[42:43], v[4:5]
	v_add_f64 v[56:57], v[4:5], v[56:57]
	ds_read_b128 v[4:7], v59 offset:8256
	s_waitcnt lgkmcnt(0)
	v_mul_f64 v[73:74], v[6:7], v[10:11]
	v_mul_f64 v[10:11], v[4:5], v[10:11]
	v_fma_f64 v[73:74], v[4:5], v[8:9], -v[73:74]
	v_fma_f64 v[8:9], v[6:7], v[8:9], v[10:11]
	v_add_f64 v[69:70], v[69:70], v[73:74]
	v_add_f64 v[71:72], v[8:9], v[71:72]
	v_mul_f64 v[8:9], v[6:7], v[44:45]
	v_fma_f64 v[8:9], v[4:5], v[42:43], -v[8:9]
	v_mul_f64 v[4:5], v[4:5], v[44:45]
	v_add_f64 v[46:47], v[46:47], v[8:9]
	v_fma_f64 v[4:5], v[6:7], v[42:43], v[4:5]
	v_add_f64 v[48:49], v[4:5], v[48:49]
	ds_read_b128 v[4:7], v59 offset:80
	;; [unrolled: 31-line block ×27, first 2 shown]
	ds_read_b128 v[8:11], v58 offset:15360
	s_waitcnt lgkmcnt(0)
	v_mul_f64 v[42:43], v[6:7], v[10:11]
	v_mul_f64 v[44:45], v[4:5], v[10:11]
	v_fma_f64 v[42:43], v[4:5], v[8:9], -v[42:43]
	v_fma_f64 v[44:45], v[6:7], v[8:9], v[44:45]
	v_add_f64 v[50:51], v[50:51], v[42:43]
	v_add_f64 v[52:53], v[44:45], v[52:53]
	ds_read_b128 v[42:45], v58 offset:15616
	s_waitcnt lgkmcnt(0)
	v_mul_f64 v[73:74], v[6:7], v[44:45]
	v_fma_f64 v[73:74], v[4:5], v[42:43], -v[73:74]
	v_mul_f64 v[4:5], v[4:5], v[44:45]
	v_add_f64 v[73:74], v[54:55], v[73:74]
	v_fma_f64 v[4:5], v[6:7], v[42:43], v[4:5]
	v_add_f64 v[75:76], v[4:5], v[56:57]
	ds_read_b128 v[4:7], v59 offset:8672
	s_waitcnt lgkmcnt(0)
	v_mul_f64 v[54:55], v[6:7], v[10:11]
	v_mul_f64 v[10:11], v[4:5], v[10:11]
	v_fma_f64 v[54:55], v[4:5], v[8:9], -v[54:55]
	v_fma_f64 v[8:9], v[6:7], v[8:9], v[10:11]
	v_add_f64 v[77:78], v[69:70], v[54:55]
	v_add_f64 v[79:80], v[8:9], v[71:72]
	v_mul_f64 v[8:9], v[6:7], v[44:45]
	v_fma_f64 v[8:9], v[4:5], v[42:43], -v[8:9]
	v_mul_f64 v[4:5], v[4:5], v[44:45]
	v_fma_f64 v[6:7], v[6:7], v[42:43], v[4:5]
	v_add_f64 v[4:5], v[46:47], v[8:9]
	v_add_f64 v[6:7], v[6:7], v[48:49]
	ds_read_b128 v[8:11], v59 offset:496
	ds_read_b128 v[46:49], v58 offset:15872
	;; [unrolled: 1-line block ×4, first 2 shown]
	s_waitcnt lgkmcnt(0)
	s_barrier
	buffer_gl0_inv
	v_mul_f64 v[42:43], v[10:11], v[48:49]
	v_mul_f64 v[44:45], v[8:9], v[48:49]
	v_fma_f64 v[42:43], v[8:9], v[46:47], -v[42:43]
	v_fma_f64 v[44:45], v[10:11], v[46:47], v[44:45]
	v_add_f64 v[50:51], v[50:51], v[42:43]
	v_mul_f64 v[42:43], v[10:11], v[56:57]
	v_add_f64 v[52:53], v[44:45], v[52:53]
	v_fma_f64 v[42:43], v[8:9], v[54:55], -v[42:43]
	v_mul_f64 v[8:9], v[8:9], v[56:57]
	v_add_f64 v[42:43], v[73:74], v[42:43]
	v_fma_f64 v[8:9], v[10:11], v[54:55], v[8:9]
	v_mul_f64 v[10:11], v[69:70], v[48:49]
	v_add_f64 v[44:45], v[8:9], v[75:76]
	v_mul_f64 v[8:9], v[71:72], v[48:49]
	v_fma_f64 v[10:11], v[71:72], v[46:47], v[10:11]
	v_fma_f64 v[8:9], v[69:70], v[46:47], -v[8:9]
	v_add_f64 v[48:49], v[10:11], v[79:80]
	v_mul_f64 v[10:11], v[69:70], v[56:57]
	v_add_f64 v[46:47], v[77:78], v[8:9]
	v_mul_f64 v[8:9], v[71:72], v[56:57]
	v_fma_f64 v[10:11], v[71:72], v[54:55], v[10:11]
	v_fma_f64 v[8:9], v[69:70], v[54:55], -v[8:9]
	v_add_f64 v[54:55], v[10:11], v[6:7]
	v_add_f64 v[56:57], v[4:5], v[8:9]
	s_cbranch_scc1 .LBB110_56
.LBB110_7:                              ;   Parent Loop BB110_4 Depth=1
                                        ; =>  This Inner Loop Header: Depth=2
	v_add_co_u32 v6, s5, v12, s16
	v_add_co_ci_u32_e64 v7, null, s17, v13, s5
	v_cmp_eq_u64_e64 s8, s[16:17], v[20:21]
	v_cmp_le_i64_e64 s6, s[10:11], v[6:7]
	v_cmp_lt_i64_e64 s5, v[6:7], v[14:15]
	s_and_b32 s19, s48, s8
	v_add_co_u32 v8, s8, v38, v26
	v_add_co_ci_u32_e64 v9, null, v39, v27, s8
	s_or_b32 s9, s6, s5
	s_or_b32 s8, s9, s19
	s_nor_b32 s8, s0, s8
	s_and_saveexec_b32 s9, s8
	s_xor_b32 s8, exec_lo, s9
	s_cbranch_execz .LBB110_9
; %bb.8:                                ;   in Loop: Header=BB110_7 Depth=2
	global_load_dwordx4 v[69:72], v[8:9], off offset:-256
	s_waitcnt vmcnt(0)
	ds_write2_b64 v60, v[69:70], v[71:72] offset1:1
.LBB110_9:                              ;   in Loop: Header=BB110_7 Depth=2
	s_or_saveexec_b32 s8, s8
	s_xor_b32 s18, s19, -1
	s_xor_b32 exec_lo, exec_lo, s8
	s_cbranch_execz .LBB110_15
; %bb.10:                               ;   in Loop: Header=BB110_7 Depth=2
	s_and_saveexec_b32 s9, s18
	s_xor_b32 s9, exec_lo, s9
	s_cbranch_execz .LBB110_12
; %bb.11:                               ;   in Loop: Header=BB110_7 Depth=2
	v_mov_b32_e32 v69, v2
	v_mov_b32_e32 v70, v2
	;; [unrolled: 1-line block ×4, first 2 shown]
	ds_write_b128 v60, v[69:72]
.LBB110_12:                             ;   in Loop: Header=BB110_7 Depth=2
	s_andn2_saveexec_b32 s9, s9
; %bb.13:                               ;   in Loop: Header=BB110_7 Depth=2
	v_mov_b32_e32 v4, v2
	v_mov_b32_e32 v5, v2
	ds_write_b128 v60, v[2:5]
; %bb.14:                               ;   in Loop: Header=BB110_7 Depth=2
	s_or_b32 exec_lo, exec_lo, s9
.LBB110_15:                             ;   in Loop: Header=BB110_7 Depth=2
	s_or_b32 exec_lo, exec_lo, s8
	v_cmp_eq_u64_e64 s8, s[16:17], v[22:23]
	v_cmp_gt_i64_e64 s9, v[18:19], v[6:7]
	s_and_b32 s8, s48, s8
	s_or_b32 s6, s6, s9
	s_or_b32 s6, s6, s8
	s_nor_b32 s6, s2, s6
	s_and_saveexec_b32 s9, s6
	s_xor_b32 s6, exec_lo, s9
	s_cbranch_execz .LBB110_17
; %bb.16:                               ;   in Loop: Header=BB110_7 Depth=2
	global_load_dwordx4 v[8:11], v[8:9], off
	s_waitcnt vmcnt(0)
	ds_write2_b64 v62, v[8:9], v[10:11] offset1:1
.LBB110_17:                             ;   in Loop: Header=BB110_7 Depth=2
	s_andn2_saveexec_b32 s6, s6
	s_cbranch_execz .LBB110_23
; %bb.18:                               ;   in Loop: Header=BB110_7 Depth=2
	s_xor_b32 s8, s8, -1
	s_and_saveexec_b32 s9, s8
	s_xor_b32 s8, exec_lo, s9
	s_cbranch_execz .LBB110_20
; %bb.19:                               ;   in Loop: Header=BB110_7 Depth=2
	v_mov_b32_e32 v8, v2
	v_mov_b32_e32 v9, v2
	;; [unrolled: 1-line block ×4, first 2 shown]
	ds_write_b128 v60, v[8:11] offset:256
.LBB110_20:                             ;   in Loop: Header=BB110_7 Depth=2
	s_andn2_saveexec_b32 s8, s8
; %bb.21:                               ;   in Loop: Header=BB110_7 Depth=2
	v_mov_b32_e32 v4, v2
	v_mov_b32_e32 v5, v2
	ds_write_b128 v60, v[2:5] offset:256
; %bb.22:                               ;   in Loop: Header=BB110_7 Depth=2
	s_or_b32 exec_lo, exec_lo, s8
.LBB110_23:                             ;   in Loop: Header=BB110_7 Depth=2
	s_or_b32 exec_lo, exec_lo, s6
	v_add_co_u32 v4, s6, v6, 16
	v_add_co_ci_u32_e64 v5, null, 0, v7, s6
	v_cmp_eq_u64_e64 s8, s[16:17], v[24:25]
	v_cmp_le_i64_e64 s6, s[10:11], v[4:5]
	v_cmp_lt_i64_e64 s9, v[4:5], v[14:15]
	s_and_b32 s20, s48, s8
	v_add_co_u32 v6, s8, v40, v26
	v_add_co_ci_u32_e64 v7, null, v41, v27, s8
	s_or_b32 s9, s6, s9
	s_or_b32 s8, s9, s20
	s_nor_b32 s8, s0, s8
	s_and_saveexec_b32 s9, s8
	s_xor_b32 s8, exec_lo, s9
	s_cbranch_execz .LBB110_25
; %bb.24:                               ;   in Loop: Header=BB110_7 Depth=2
	global_load_dwordx4 v[8:11], v[6:7], off offset:-256
	s_waitcnt vmcnt(0)
	ds_write2_b64 v63, v[8:9], v[10:11] offset1:1
.LBB110_25:                             ;   in Loop: Header=BB110_7 Depth=2
	s_andn2_saveexec_b32 s8, s8
	s_cbranch_execz .LBB110_31
; %bb.26:                               ;   in Loop: Header=BB110_7 Depth=2
	s_xor_b32 s9, s20, -1
	s_and_saveexec_b32 s20, s9
	s_xor_b32 s9, exec_lo, s20
	s_cbranch_execz .LBB110_28
; %bb.27:                               ;   in Loop: Header=BB110_7 Depth=2
	v_mov_b32_e32 v8, v2
	v_mov_b32_e32 v9, v2
	;; [unrolled: 1-line block ×4, first 2 shown]
	ds_write_b128 v60, v[8:11] offset:8192
.LBB110_28:                             ;   in Loop: Header=BB110_7 Depth=2
	s_andn2_saveexec_b32 s9, s9
; %bb.29:                               ;   in Loop: Header=BB110_7 Depth=2
	v_mov_b32_e32 v4, v2
	v_mov_b32_e32 v5, v2
	ds_write_b128 v60, v[2:5] offset:8192
; %bb.30:                               ;   in Loop: Header=BB110_7 Depth=2
	s_or_b32 exec_lo, exec_lo, s9
.LBB110_31:                             ;   in Loop: Header=BB110_7 Depth=2
	s_or_b32 exec_lo, exec_lo, s8
	s_or_b32 s5, s6, s5
	s_or_b32 s5, s5, s19
	s_nor_b32 s5, s2, s5
	s_and_saveexec_b32 s6, s5
	s_xor_b32 s5, exec_lo, s6
	s_cbranch_execz .LBB110_33
; %bb.32:                               ;   in Loop: Header=BB110_7 Depth=2
	global_load_dwordx4 v[4:7], v[6:7], off
	s_waitcnt vmcnt(0)
	ds_write2_b64 v64, v[4:5], v[6:7] offset1:1
.LBB110_33:                             ;   in Loop: Header=BB110_7 Depth=2
	s_andn2_saveexec_b32 s5, s5
	s_cbranch_execz .LBB110_39
; %bb.34:                               ;   in Loop: Header=BB110_7 Depth=2
	s_and_saveexec_b32 s6, s18
	s_xor_b32 s6, exec_lo, s6
	s_cbranch_execz .LBB110_36
; %bb.35:                               ;   in Loop: Header=BB110_7 Depth=2
	v_mov_b32_e32 v4, v2
	v_mov_b32_e32 v5, v2
	;; [unrolled: 1-line block ×4, first 2 shown]
	ds_write_b128 v60, v[4:7] offset:8448
.LBB110_36:                             ;   in Loop: Header=BB110_7 Depth=2
	s_andn2_saveexec_b32 s6, s6
; %bb.37:                               ;   in Loop: Header=BB110_7 Depth=2
	v_mov_b32_e32 v4, v2
	v_mov_b32_e32 v5, v2
	ds_write_b128 v60, v[2:5] offset:8448
; %bb.38:                               ;   in Loop: Header=BB110_7 Depth=2
	s_or_b32 exec_lo, exec_lo, s6
.LBB110_39:                             ;   in Loop: Header=BB110_7 Depth=2
	s_or_b32 exec_lo, exec_lo, s5
	v_add_co_u32 v4, s5, v14, s16
	v_add_co_ci_u32_e64 v5, null, s17, v15, s5
	v_cmp_gt_i64_e64 s5, s[10:11], v[4:5]
	s_and_b32 s6, vcc_lo, s5
	s_xor_b32 s6, s6, -1
	s_and_saveexec_b32 s8, s6
	s_xor_b32 s6, exec_lo, s8
	s_cbranch_execz .LBB110_41
; %bb.40:                               ;   in Loop: Header=BB110_7 Depth=2
	v_mov_b32_e32 v6, v2
	v_mov_b32_e32 v7, v2
	;; [unrolled: 1-line block ×4, first 2 shown]
	ds_write_b128 v61, v[6:9]
.LBB110_41:                             ;   in Loop: Header=BB110_7 Depth=2
	s_or_saveexec_b32 s8, s6
	v_add_co_u32 v6, s6, v34, v26
	v_add_co_ci_u32_e64 v7, null, v35, v27, s6
	s_xor_b32 exec_lo, exec_lo, s8
	s_cbranch_execz .LBB110_43
; %bb.42:                               ;   in Loop: Header=BB110_7 Depth=2
	global_load_dwordx4 v[8:11], v[6:7], off offset:-256
	s_waitcnt vmcnt(0)
	ds_write2_b64 v61, v[8:9], v[10:11] offset1:1
.LBB110_43:                             ;   in Loop: Header=BB110_7 Depth=2
	s_or_b32 exec_lo, exec_lo, s8
	v_cmp_gt_i64_e64 s6, s[40:41], v[4:5]
	s_and_b32 s8, vcc_lo, s6
	s_xor_b32 s8, s8, -1
	s_and_saveexec_b32 s9, s8
	s_xor_b32 s8, exec_lo, s9
	s_cbranch_execz .LBB110_45
; %bb.44:                               ;   in Loop: Header=BB110_7 Depth=2
	v_mov_b32_e32 v4, v2
	v_mov_b32_e32 v5, v2
	;; [unrolled: 1-line block ×4, first 2 shown]
	ds_write_b128 v61, v[4:7] offset:256
                                        ; implicit-def: $vgpr6_vgpr7
.LBB110_45:                             ;   in Loop: Header=BB110_7 Depth=2
	s_andn2_saveexec_b32 s8, s8
	s_cbranch_execz .LBB110_47
; %bb.46:                               ;   in Loop: Header=BB110_7 Depth=2
	global_load_dwordx4 v[4:7], v[6:7], off
	s_waitcnt vmcnt(0)
	ds_write2_b64 v65, v[4:5], v[6:7] offset1:1
.LBB110_47:                             ;   in Loop: Header=BB110_7 Depth=2
	s_or_b32 exec_lo, exec_lo, s8
	s_and_b32 s5, s4, s5
	s_xor_b32 s5, s5, -1
	s_and_saveexec_b32 s8, s5
	s_xor_b32 s5, exec_lo, s8
	s_cbranch_execz .LBB110_49
; %bb.48:                               ;   in Loop: Header=BB110_7 Depth=2
	v_mov_b32_e32 v4, v2
	v_mov_b32_e32 v5, v2
	;; [unrolled: 1-line block ×4, first 2 shown]
	ds_write_b128 v61, v[4:7] offset:8192
.LBB110_49:                             ;   in Loop: Header=BB110_7 Depth=2
	s_or_saveexec_b32 s8, s5
	v_add_co_u32 v4, s5, v36, v26
	v_add_co_ci_u32_e64 v5, null, v37, v27, s5
	s_xor_b32 exec_lo, exec_lo, s8
	s_cbranch_execz .LBB110_51
; %bb.50:                               ;   in Loop: Header=BB110_7 Depth=2
	global_load_dwordx4 v[6:9], v[4:5], off
	s_waitcnt vmcnt(0)
	ds_write2_b64 v66, v[6:7], v[8:9] offset1:1
.LBB110_51:                             ;   in Loop: Header=BB110_7 Depth=2
	s_or_b32 exec_lo, exec_lo, s8
	s_and_b32 s5, s4, s6
	s_xor_b32 s5, s5, -1
	s_and_saveexec_b32 s6, s5
	s_xor_b32 s5, exec_lo, s6
	s_cbranch_execz .LBB110_53
; %bb.52:                               ;   in Loop: Header=BB110_7 Depth=2
	v_mov_b32_e32 v4, v2
	v_mov_b32_e32 v5, v2
	v_mov_b32_e32 v6, v2
	v_mov_b32_e32 v7, v2
	ds_write_b128 v61, v[4:7] offset:8448
                                        ; implicit-def: $vgpr4_vgpr5
.LBB110_53:                             ;   in Loop: Header=BB110_7 Depth=2
	s_andn2_saveexec_b32 s5, s5
	s_cbranch_execz .LBB110_6
; %bb.54:                               ;   in Loop: Header=BB110_7 Depth=2
	global_load_dwordx4 v[4:7], v[4:5], off offset:256
	s_waitcnt vmcnt(0)
	ds_write2_b64 v0, v[4:5], v[6:7] offset1:1
	s_branch .LBB110_6
.LBB110_55:                             ;   in Loop: Header=BB110_4 Depth=1
	v_mov_b32_e32 v50, 0
	v_mov_b32_e32 v52, 0
	;; [unrolled: 1-line block ×16, first 2 shown]
.LBB110_56:                             ;   in Loop: Header=BB110_4 Depth=1
	v_mul_lo_u32 v6, s45, v67
	v_mul_lo_u32 v7, s44, v68
	v_mad_u64_u32 v[4:5], null, s44, v67, 0
	v_cmp_gt_i32_e32 vcc_lo, s30, v67
	v_add3_u32 v5, v5, v7, v6
	v_lshlrev_b64 v[4:5], 4, v[4:5]
	v_add_co_u32 v4, s4, s42, v4
	v_add_co_ci_u32_e64 v5, null, s43, v5, s4
	s_and_b32 s4, s1, vcc_lo
	s_and_saveexec_b32 s5, s4
	s_cbranch_execz .LBB110_58
; %bb.57:                               ;   in Loop: Header=BB110_4 Depth=1
	v_add_co_u32 v10, s4, v4, v26
	v_add_co_ci_u32_e64 v11, null, v5, v27, s4
	v_mul_f64 v[34:35], s[14:15], v[52:53]
	v_mul_f64 v[36:37], s[12:13], v[52:53]
	global_load_dwordx4 v[6:9], v[10:11], off
	v_fma_f64 v[34:35], s[12:13], v[50:51], -v[34:35]
	v_fma_f64 v[36:37], s[14:15], v[50:51], v[36:37]
	s_waitcnt vmcnt(0)
	v_add_f64 v[6:7], v[6:7], v[34:35]
	v_add_f64 v[8:9], v[36:37], v[8:9]
	global_store_dwordx4 v[10:11], v[6:9], off
.LBB110_58:                             ;   in Loop: Header=BB110_4 Depth=1
	s_or_b32 exec_lo, exec_lo, s5
	s_and_b32 s5, s3, vcc_lo
	s_and_saveexec_b32 s4, s5
	s_cbranch_execz .LBB110_60
; %bb.59:                               ;   in Loop: Header=BB110_4 Depth=1
	v_lshlrev_b64 v[6:7], 4, v[16:17]
	v_mul_f64 v[10:11], s[14:15], v[44:45]
	v_mul_f64 v[34:35], s[12:13], v[44:45]
	v_add_co_u32 v8, vcc_lo, v4, v6
	v_add_co_ci_u32_e64 v9, null, v5, v7, vcc_lo
	global_load_dwordx4 v[4:7], v[8:9], off
	v_fma_f64 v[10:11], s[12:13], v[42:43], -v[10:11]
	v_fma_f64 v[34:35], s[14:15], v[42:43], v[34:35]
	s_waitcnt vmcnt(0)
	v_add_f64 v[4:5], v[4:5], v[10:11]
	v_add_f64 v[6:7], v[34:35], v[6:7]
	global_store_dwordx4 v[8:9], v[4:7], off
.LBB110_60:                             ;   in Loop: Header=BB110_4 Depth=1
	s_or_b32 exec_lo, exec_lo, s4
	v_add_nc_u32_e32 v6, 16, v67
	v_ashrrev_i32_e32 v7, 31, v6
	v_mul_lo_u32 v8, s45, v6
	v_mad_u64_u32 v[4:5], null, s44, v6, 0
	v_cmp_gt_i32_e32 vcc_lo, s30, v6
	v_mul_lo_u32 v7, s44, v7
	v_add3_u32 v5, v5, v7, v8
	v_lshlrev_b64 v[4:5], 4, v[4:5]
	v_add_co_u32 v4, s4, s42, v4
	v_add_co_ci_u32_e64 v5, null, s43, v5, s4
	s_and_b32 s4, s1, vcc_lo
	s_and_saveexec_b32 s5, s4
	s_cbranch_execz .LBB110_62
; %bb.61:                               ;   in Loop: Header=BB110_4 Depth=1
	v_add_co_u32 v10, s4, v4, v26
	v_add_co_ci_u32_e64 v11, null, v5, v27, s4
	v_mul_f64 v[34:35], s[14:15], v[48:49]
	v_mul_f64 v[36:37], s[12:13], v[48:49]
	global_load_dwordx4 v[6:9], v[10:11], off
	v_fma_f64 v[34:35], s[12:13], v[46:47], -v[34:35]
	v_fma_f64 v[36:37], s[14:15], v[46:47], v[36:37]
	s_waitcnt vmcnt(0)
	v_add_f64 v[6:7], v[6:7], v[34:35]
	v_add_f64 v[8:9], v[36:37], v[8:9]
	global_store_dwordx4 v[10:11], v[6:9], off
.LBB110_62:                             ;   in Loop: Header=BB110_4 Depth=1
	s_or_b32 exec_lo, exec_lo, s5
	s_and_b32 s5, s3, vcc_lo
	s_and_saveexec_b32 s4, s5
	s_cbranch_execz .LBB110_3
; %bb.63:                               ;   in Loop: Header=BB110_4 Depth=1
	v_lshlrev_b64 v[6:7], 4, v[16:17]
	v_mul_f64 v[10:11], s[14:15], v[54:55]
	v_mul_f64 v[34:35], s[12:13], v[54:55]
	v_add_co_u32 v8, vcc_lo, v4, v6
	v_add_co_ci_u32_e64 v9, null, v5, v7, vcc_lo
	global_load_dwordx4 v[4:7], v[8:9], off
	v_fma_f64 v[10:11], s[12:13], v[56:57], -v[10:11]
	v_fma_f64 v[34:35], s[14:15], v[56:57], v[34:35]
	s_waitcnt vmcnt(0)
	v_add_f64 v[4:5], v[4:5], v[10:11]
	v_add_f64 v[6:7], v[34:35], v[6:7]
	global_store_dwordx4 v[8:9], v[4:7], off
	s_branch .LBB110_3
.LBB110_64:
	s_endpgm
	.section	.rodata,"a",@progbits
	.p2align	6, 0x0
	.amdhsa_kernel _ZL30rocblas_trmm_outofplace_kernelI19rocblas_complex_numIdELi32ELi2ELb1ELb1ELb0ELb0EPKS1_S2_S1_Ev17rocblas_diagonal_iiT6_lPT7_lllS7_lllPT8_llli
		.amdhsa_group_segment_fixed_size 32768
		.amdhsa_private_segment_fixed_size 0
		.amdhsa_kernarg_size 392
		.amdhsa_user_sgpr_count 6
		.amdhsa_user_sgpr_private_segment_buffer 1
		.amdhsa_user_sgpr_dispatch_ptr 0
		.amdhsa_user_sgpr_queue_ptr 0
		.amdhsa_user_sgpr_kernarg_segment_ptr 1
		.amdhsa_user_sgpr_dispatch_id 0
		.amdhsa_user_sgpr_flat_scratch_init 0
		.amdhsa_user_sgpr_private_segment_size 0
		.amdhsa_wavefront_size32 1
		.amdhsa_uses_dynamic_stack 0
		.amdhsa_system_sgpr_private_segment_wavefront_offset 0
		.amdhsa_system_sgpr_workgroup_id_x 1
		.amdhsa_system_sgpr_workgroup_id_y 1
		.amdhsa_system_sgpr_workgroup_id_z 1
		.amdhsa_system_sgpr_workgroup_info 0
		.amdhsa_system_vgpr_workitem_id 1
		.amdhsa_next_free_vgpr 87
		.amdhsa_next_free_sgpr 50
		.amdhsa_reserve_vcc 1
		.amdhsa_reserve_flat_scratch 0
		.amdhsa_float_round_mode_32 0
		.amdhsa_float_round_mode_16_64 0
		.amdhsa_float_denorm_mode_32 3
		.amdhsa_float_denorm_mode_16_64 3
		.amdhsa_dx10_clamp 1
		.amdhsa_ieee_mode 1
		.amdhsa_fp16_overflow 0
		.amdhsa_workgroup_processor_mode 1
		.amdhsa_memory_ordered 1
		.amdhsa_forward_progress 1
		.amdhsa_shared_vgpr_count 0
		.amdhsa_exception_fp_ieee_invalid_op 0
		.amdhsa_exception_fp_denorm_src 0
		.amdhsa_exception_fp_ieee_div_zero 0
		.amdhsa_exception_fp_ieee_overflow 0
		.amdhsa_exception_fp_ieee_underflow 0
		.amdhsa_exception_fp_ieee_inexact 0
		.amdhsa_exception_int_div_zero 0
	.end_amdhsa_kernel
	.section	.text._ZL30rocblas_trmm_outofplace_kernelI19rocblas_complex_numIdELi32ELi2ELb1ELb1ELb0ELb0EPKS1_S2_S1_Ev17rocblas_diagonal_iiT6_lPT7_lllS7_lllPT8_llli,"axG",@progbits,_ZL30rocblas_trmm_outofplace_kernelI19rocblas_complex_numIdELi32ELi2ELb1ELb1ELb0ELb0EPKS1_S2_S1_Ev17rocblas_diagonal_iiT6_lPT7_lllS7_lllPT8_llli,comdat
.Lfunc_end110:
	.size	_ZL30rocblas_trmm_outofplace_kernelI19rocblas_complex_numIdELi32ELi2ELb1ELb1ELb0ELb0EPKS1_S2_S1_Ev17rocblas_diagonal_iiT6_lPT7_lllS7_lllPT8_llli, .Lfunc_end110-_ZL30rocblas_trmm_outofplace_kernelI19rocblas_complex_numIdELi32ELi2ELb1ELb1ELb0ELb0EPKS1_S2_S1_Ev17rocblas_diagonal_iiT6_lPT7_lllS7_lllPT8_llli
                                        ; -- End function
	.set _ZL30rocblas_trmm_outofplace_kernelI19rocblas_complex_numIdELi32ELi2ELb1ELb1ELb0ELb0EPKS1_S2_S1_Ev17rocblas_diagonal_iiT6_lPT7_lllS7_lllPT8_llli.num_vgpr, 87
	.set _ZL30rocblas_trmm_outofplace_kernelI19rocblas_complex_numIdELi32ELi2ELb1ELb1ELb0ELb0EPKS1_S2_S1_Ev17rocblas_diagonal_iiT6_lPT7_lllS7_lllPT8_llli.num_agpr, 0
	.set _ZL30rocblas_trmm_outofplace_kernelI19rocblas_complex_numIdELi32ELi2ELb1ELb1ELb0ELb0EPKS1_S2_S1_Ev17rocblas_diagonal_iiT6_lPT7_lllS7_lllPT8_llli.numbered_sgpr, 50
	.set _ZL30rocblas_trmm_outofplace_kernelI19rocblas_complex_numIdELi32ELi2ELb1ELb1ELb0ELb0EPKS1_S2_S1_Ev17rocblas_diagonal_iiT6_lPT7_lllS7_lllPT8_llli.num_named_barrier, 0
	.set _ZL30rocblas_trmm_outofplace_kernelI19rocblas_complex_numIdELi32ELi2ELb1ELb1ELb0ELb0EPKS1_S2_S1_Ev17rocblas_diagonal_iiT6_lPT7_lllS7_lllPT8_llli.private_seg_size, 0
	.set _ZL30rocblas_trmm_outofplace_kernelI19rocblas_complex_numIdELi32ELi2ELb1ELb1ELb0ELb0EPKS1_S2_S1_Ev17rocblas_diagonal_iiT6_lPT7_lllS7_lllPT8_llli.uses_vcc, 1
	.set _ZL30rocblas_trmm_outofplace_kernelI19rocblas_complex_numIdELi32ELi2ELb1ELb1ELb0ELb0EPKS1_S2_S1_Ev17rocblas_diagonal_iiT6_lPT7_lllS7_lllPT8_llli.uses_flat_scratch, 0
	.set _ZL30rocblas_trmm_outofplace_kernelI19rocblas_complex_numIdELi32ELi2ELb1ELb1ELb0ELb0EPKS1_S2_S1_Ev17rocblas_diagonal_iiT6_lPT7_lllS7_lllPT8_llli.has_dyn_sized_stack, 0
	.set _ZL30rocblas_trmm_outofplace_kernelI19rocblas_complex_numIdELi32ELi2ELb1ELb1ELb0ELb0EPKS1_S2_S1_Ev17rocblas_diagonal_iiT6_lPT7_lllS7_lllPT8_llli.has_recursion, 0
	.set _ZL30rocblas_trmm_outofplace_kernelI19rocblas_complex_numIdELi32ELi2ELb1ELb1ELb0ELb0EPKS1_S2_S1_Ev17rocblas_diagonal_iiT6_lPT7_lllS7_lllPT8_llli.has_indirect_call, 0
	.section	.AMDGPU.csdata,"",@progbits
; Kernel info:
; codeLenInByte = 10244
; TotalNumSgprs: 52
; NumVgprs: 87
; ScratchSize: 0
; MemoryBound: 0
; FloatMode: 240
; IeeeMode: 1
; LDSByteSize: 32768 bytes/workgroup (compile time only)
; SGPRBlocks: 0
; VGPRBlocks: 10
; NumSGPRsForWavesPerEU: 52
; NumVGPRsForWavesPerEU: 87
; Occupancy: 10
; WaveLimiterHint : 0
; COMPUTE_PGM_RSRC2:SCRATCH_EN: 0
; COMPUTE_PGM_RSRC2:USER_SGPR: 6
; COMPUTE_PGM_RSRC2:TRAP_HANDLER: 0
; COMPUTE_PGM_RSRC2:TGID_X_EN: 1
; COMPUTE_PGM_RSRC2:TGID_Y_EN: 1
; COMPUTE_PGM_RSRC2:TGID_Z_EN: 1
; COMPUTE_PGM_RSRC2:TIDIG_COMP_CNT: 1
	.section	.text._ZL30rocblas_trmm_outofplace_kernelI19rocblas_complex_numIdELi32ELi2ELb1ELb1ELb0ELb0ES1_KS1_S1_Ev17rocblas_diagonal_iiT6_lPT7_lllS6_lllPT8_llli,"axG",@progbits,_ZL30rocblas_trmm_outofplace_kernelI19rocblas_complex_numIdELi32ELi2ELb1ELb1ELb0ELb0ES1_KS1_S1_Ev17rocblas_diagonal_iiT6_lPT7_lllS6_lllPT8_llli,comdat
	.globl	_ZL30rocblas_trmm_outofplace_kernelI19rocblas_complex_numIdELi32ELi2ELb1ELb1ELb0ELb0ES1_KS1_S1_Ev17rocblas_diagonal_iiT6_lPT7_lllS6_lllPT8_llli ; -- Begin function _ZL30rocblas_trmm_outofplace_kernelI19rocblas_complex_numIdELi32ELi2ELb1ELb1ELb0ELb0ES1_KS1_S1_Ev17rocblas_diagonal_iiT6_lPT7_lllS6_lllPT8_llli
	.p2align	8
	.type	_ZL30rocblas_trmm_outofplace_kernelI19rocblas_complex_numIdELi32ELi2ELb1ELb1ELb0ELb0ES1_KS1_S1_Ev17rocblas_diagonal_iiT6_lPT7_lllS6_lllPT8_llli,@function
_ZL30rocblas_trmm_outofplace_kernelI19rocblas_complex_numIdELi32ELi2ELb1ELb1ELb0ELb0ES1_KS1_S1_Ev17rocblas_diagonal_iiT6_lPT7_lllS6_lllPT8_llli: ; @_ZL30rocblas_trmm_outofplace_kernelI19rocblas_complex_numIdELi32ELi2ELb1ELb1ELb0ELb0ES1_KS1_S1_Ev17rocblas_diagonal_iiT6_lPT7_lllS6_lllPT8_llli
; %bb.0:
	s_load_dwordx4 s[28:31], s[4:5], 0x10
	s_waitcnt lgkmcnt(0)
	v_cmp_eq_f64_e64 s0, s[28:29], 0
	v_cmp_eq_f64_e64 s1, s[30:31], 0
	s_and_b32 s0, s0, s1
	s_and_b32 vcc_lo, exec_lo, s0
	s_cbranch_vccnz .LBB111_64
; %bb.1:
	s_load_dwordx4 s[44:47], s[4:5], 0x0
	s_waitcnt lgkmcnt(0)
	s_add_i32 s0, s46, -1
	s_ashr_i32 s1, s0, 31
	s_lshr_b32 s1, s1, 27
	s_add_i32 s0, s0, s1
	s_ashr_i32 s33, s0, 5
	s_cmp_gt_i32 s7, s33
	s_cbranch_scc1 .LBB111_64
; %bb.2:
	s_clause 0x2
	s_load_dwordx8 s[36:43], s[4:5], 0x68
	s_load_dwordx16 s[12:27], s[4:5], 0x28
	s_load_dword s47, s[4:5], 0x94
	v_lshlrev_b32_e32 v2, 9, v1
	v_lshlrev_b32_e32 v58, 4, v0
	s_mov_b32 s10, s45
	v_lshl_add_u32 v28, s7, 5, v1
	v_add_nc_u32_e32 v59, 0x4000, v2
	v_add_nc_u32_e32 v60, v58, v2
	;; [unrolled: 1-line block ×8, first 2 shown]
	s_waitcnt lgkmcnt(0)
	s_mul_i32 s1, s43, s8
	s_mul_hi_u32 s2, s42, s8
	s_mul_i32 s0, s42, s8
	s_add_i32 s1, s2, s1
	s_mul_i32 s4, s27, s8
	s_lshl_b64 s[0:1], s[0:1], 4
	s_mul_hi_u32 s5, s26, s8
	s_add_u32 s2, s36, s0
	s_addc_u32 s3, s37, s1
	s_lshl_b64 s[0:1], s[38:39], 4
	s_add_u32 s38, s2, s0
	s_addc_u32 s39, s3, s1
	s_lshl_b32 s0, s6, 5
	s_sub_i32 s42, s45, s0
	v_add_nc_u32_e32 v14, s0, v0
	v_add_nc_u32_e32 v12, s0, v1
	s_cmp_gt_i32 s42, 0
	v_add_nc_u32_e32 v0, 0x2100, v61
	s_cselect_b32 s43, -1, 0
	s_cmpk_eq_i32 s44, 0x84
	v_ashrrev_i32_e32 v15, 31, v14
	s_cselect_b32 s44, -1, 0
	s_ashr_i32 s11, s45, 31
	s_ashr_i32 s48, s46, 31
	s_lshl_b64 s[34:35], s[16:17], 9
	v_ashrrev_i32_e32 v13, 31, v12
	s_add_u32 s36, s45, -16
	s_addc_u32 s37, s11, -1
	s_add_i32 s5, s5, s4
	s_mul_i32 s4, s26, s8
	v_add_co_u32 v18, vcc_lo, v14, 16
	s_lshl_b64 s[4:5], s[4:5], 4
	s_lshl_b64 s[22:23], s[22:23], 4
	v_add_co_ci_u32_e64 v19, null, 0, v15, vcc_lo
	v_sub_co_u32 v20, vcc_lo, v14, v12
	s_add_u32 s4, s4, s22
	v_lshlrev_b64 v[2:3], 4, v[12:13]
	v_sub_co_ci_u32_e64 v21, null, v15, v13, vcc_lo
	s_addc_u32 s5, s5, s23
	s_add_u32 s20, s20, s4
	v_mul_lo_u32 v6, s16, v13
	v_mul_lo_u32 v7, s17, v12
	v_mad_u64_u32 v[4:5], null, s16, v12, 0
	s_addc_u32 s21, s21, s5
	s_mul_i32 s4, s19, s8
	s_mul_hi_u32 s5, s18, s8
	v_add_co_u32 v22, vcc_lo, v20, 16
	s_add_u32 s22, s20, 0x100
	s_addc_u32 s23, s21, 0
	s_add_i32 s5, s5, s4
	s_mul_i32 s4, s18, s8
	v_add_co_ci_u32_e64 v23, null, 0, v21, vcc_lo
	s_lshl_b64 s[8:9], s[14:15], 4
	v_add_co_u32 v8, vcc_lo, 0x100, v2
	s_lshl_b64 s[26:27], s[24:25], 4
	s_lshl_b32 s18, s47, 5
	s_lshl_b64 s[4:5], s[4:5], 4
	v_add_co_ci_u32_e64 v9, null, 0, v3, vcc_lo
	s_add_u32 s6, s12, s8
	s_addc_u32 s8, s13, s9
	s_add_u32 s4, s6, s4
	v_add3_u32 v5, v5, v6, v7
	s_addc_u32 s5, s8, s5
	v_mul_lo_u32 v6, s16, v9
	v_mad_u64_u32 v[2:3], null, s16, v8, s[4:5]
	v_mul_lo_u32 v7, s17, v8
	v_lshlrev_b64 v[4:5], 4, v[4:5]
	v_add_co_u32 v24, vcc_lo, v20, -16
	v_add_co_ci_u32_e64 v25, null, -1, v21, vcc_lo
	v_add_nc_u32_e32 v16, 16, v14
	v_add_co_u32 v4, vcc_lo, s4, v4
	v_add3_u32 v3, v7, v3, v6
	v_add_co_ci_u32_e64 v5, null, s5, v5, vcc_lo
	v_add_co_u32 v30, vcc_lo, 0x100, v2
	v_add_co_ci_u32_e64 v31, null, 0, v3, vcc_lo
	v_add_co_u32 v32, vcc_lo, 0x100, v4
	v_cmp_le_i64_e64 s2, s[10:11], v[18:19]
	v_lshlrev_b64 v[26:27], 4, v[14:15]
	v_cmp_le_i32_e64 s0, s45, v14
	v_cmp_gt_i32_e64 s1, s45, v14
	v_cmp_gt_i32_e64 s3, s45, v16
	v_ashrrev_i32_e32 v17, 31, v16
	v_add_co_ci_u32_e64 v33, null, 0, v5, vcc_lo
	v_mov_b32_e32 v2, 0
	v_mov_b32_e32 v3, 0x3ff00000
	s_branch .LBB111_4
.LBB111_3:                              ;   in Loop: Header=BB111_4 Depth=1
	s_or_b32 exec_lo, exec_lo, s4
	v_add_nc_u32_e32 v28, s18, v28
	s_add_i32 s7, s47, s7
	s_cmp_le_i32 s7, s33
	s_cbranch_scc0 .LBB111_64
.LBB111_4:                              ; =>This Loop Header: Depth=1
                                        ;     Child Loop BB111_7 Depth 2
	v_lshl_add_u32 v67, s7, 5, v1
	s_andn2_b32 vcc_lo, exec_lo, s43
	v_ashrrev_i32_e32 v68, 31, v67
	s_cbranch_vccnz .LBB111_55
; %bb.5:                                ;   in Loop: Header=BB111_4 Depth=1
	v_ashrrev_i32_e32 v29, 31, v28
	v_mad_u64_u32 v[34:35], null, s26, v28, s[22:23]
	v_mul_lo_u32 v6, s27, v28
	v_mov_b32_e32 v54, 0
	v_lshlrev_b64 v[4:5], 4, v[28:29]
	v_mul_lo_u32 v9, s26, v29
	v_mov_b32_e32 v39, v33
	v_mov_b32_e32 v56, 0
	;; [unrolled: 1-line block ×4, first 2 shown]
	v_add_co_u32 v7, vcc_lo, 0x100, v4
	v_add_co_ci_u32_e64 v8, null, 0, v5, vcc_lo
	v_sub_co_u32 v4, vcc_lo, s46, v67
	v_mul_lo_u32 v10, s25, v7
	v_mul_lo_u32 v8, s24, v8
	v_mad_u64_u32 v[36:37], null, s24, v7, s[20:21]
	v_sub_co_ci_u32_e64 v5, null, s48, v68, vcc_lo
	v_mov_b32_e32 v44, 0
	v_mov_b32_e32 v42, 0
	;; [unrolled: 1-line block ×3, first 2 shown]
	v_cmp_lt_i64_e64 s4, 16, v[4:5]
	v_mov_b32_e32 v50, 0
	v_mov_b32_e32 v41, v31
	;; [unrolled: 1-line block ×5, first 2 shown]
	v_add3_u32 v35, v6, v35, v9
	v_add3_u32 v37, v10, v37, v8
	v_mov_b32_e32 v49, 0
	v_mov_b32_e32 v47, 0
	;; [unrolled: 1-line block ×7, first 2 shown]
	s_mov_b64 s[12:13], 0
	v_cmp_lt_i64_e32 vcc_lo, 0, v[4:5]
	s_branch .LBB111_7
.LBB111_6:                              ;   in Loop: Header=BB111_7 Depth=2
	s_or_b32 exec_lo, exec_lo, s5
	s_waitcnt lgkmcnt(0)
	s_barrier
	buffer_gl0_inv
	ds_read_b128 v[69:72], v59
	ds_read_b128 v[73:76], v59 offset:16
	ds_read_b128 v[8:11], v59 offset:32
	;; [unrolled: 1-line block ×3, first 2 shown]
	ds_read_b128 v[77:80], v58
	v_add_co_u32 v34, s5, 0x200, v34
	v_add_co_ci_u32_e64 v35, null, 0, v35, s5
	v_add_co_u32 v40, s5, v40, s34
	v_add_co_ci_u32_e64 v41, null, s35, v41, s5
	;; [unrolled: 2-line block ×4, first 2 shown]
	s_add_u32 s12, s12, 32
	s_addc_u32 s13, s13, 0
	s_cmp_ge_i32 s12, s42
	s_waitcnt lgkmcnt(0)
	v_mul_f64 v[81:82], v[71:72], v[79:80]
	v_mul_f64 v[83:84], v[69:70], v[79:80]
	v_fma_f64 v[81:82], v[69:70], v[77:78], -v[81:82]
	v_fma_f64 v[83:84], v[71:72], v[77:78], v[83:84]
	v_add_f64 v[81:82], v[50:51], v[81:82]
	v_add_f64 v[83:84], v[83:84], v[52:53]
	ds_read_b128 v[50:53], v58 offset:256
	s_waitcnt lgkmcnt(0)
	v_mul_f64 v[85:86], v[71:72], v[52:53]
	v_fma_f64 v[85:86], v[69:70], v[50:51], -v[85:86]
	v_mul_f64 v[69:70], v[69:70], v[52:53]
	v_fma_f64 v[69:70], v[71:72], v[50:51], v[69:70]
	v_add_f64 v[71:72], v[42:43], v[85:86]
	v_add_f64 v[69:70], v[69:70], v[44:45]
	ds_read_b128 v[42:45], v59 offset:8192
	s_waitcnt lgkmcnt(0)
	v_mul_f64 v[85:86], v[44:45], v[79:80]
	v_mul_f64 v[79:80], v[42:43], v[79:80]
	v_fma_f64 v[85:86], v[42:43], v[77:78], -v[85:86]
	v_fma_f64 v[77:78], v[44:45], v[77:78], v[79:80]
	v_add_f64 v[79:80], v[46:47], v[85:86]
	v_mul_f64 v[46:47], v[44:45], v[52:53]
	v_add_f64 v[77:78], v[77:78], v[48:49]
	v_fma_f64 v[46:47], v[42:43], v[50:51], -v[46:47]
	v_mul_f64 v[42:43], v[42:43], v[52:53]
	v_add_f64 v[56:57], v[56:57], v[46:47]
	v_fma_f64 v[42:43], v[44:45], v[50:51], v[42:43]
	v_add_f64 v[54:55], v[42:43], v[54:55]
	ds_read_b128 v[42:45], v58 offset:512
	s_waitcnt lgkmcnt(0)
	v_mul_f64 v[46:47], v[75:76], v[44:45]
	v_mul_f64 v[48:49], v[73:74], v[44:45]
	v_fma_f64 v[46:47], v[73:74], v[42:43], -v[46:47]
	v_fma_f64 v[48:49], v[75:76], v[42:43], v[48:49]
	v_add_f64 v[81:82], v[81:82], v[46:47]
	v_add_f64 v[83:84], v[48:49], v[83:84]
	ds_read_b128 v[46:49], v58 offset:768
	s_waitcnt lgkmcnt(0)
	v_mul_f64 v[50:51], v[75:76], v[48:49]
	v_mul_f64 v[52:53], v[73:74], v[48:49]
	v_fma_f64 v[50:51], v[73:74], v[46:47], -v[50:51]
	v_fma_f64 v[52:53], v[75:76], v[46:47], v[52:53]
	v_add_f64 v[71:72], v[71:72], v[50:51]
	v_add_f64 v[69:70], v[52:53], v[69:70]
	ds_read_b128 v[50:53], v59 offset:8208
	s_waitcnt lgkmcnt(0)
	v_mul_f64 v[73:74], v[52:53], v[44:45]
	v_mul_f64 v[44:45], v[50:51], v[44:45]
	v_fma_f64 v[73:74], v[50:51], v[42:43], -v[73:74]
	v_fma_f64 v[42:43], v[52:53], v[42:43], v[44:45]
	v_mul_f64 v[44:45], v[50:51], v[48:49]
	v_add_f64 v[73:74], v[79:80], v[73:74]
	v_add_f64 v[75:76], v[42:43], v[77:78]
	v_mul_f64 v[42:43], v[52:53], v[48:49]
	v_fma_f64 v[44:45], v[52:53], v[46:47], v[44:45]
	v_fma_f64 v[42:43], v[50:51], v[46:47], -v[42:43]
	v_add_f64 v[52:53], v[44:45], v[54:55]
	v_add_f64 v[50:51], v[56:57], v[42:43]
	ds_read_b128 v[42:45], v58 offset:1024
	s_waitcnt lgkmcnt(0)
	v_mul_f64 v[46:47], v[10:11], v[44:45]
	v_mul_f64 v[48:49], v[8:9], v[44:45]
	v_fma_f64 v[46:47], v[8:9], v[42:43], -v[46:47]
	v_fma_f64 v[48:49], v[10:11], v[42:43], v[48:49]
	v_add_f64 v[54:55], v[81:82], v[46:47]
	v_add_f64 v[56:57], v[48:49], v[83:84]
	ds_read_b128 v[46:49], v58 offset:1280
	s_waitcnt lgkmcnt(0)
	v_mul_f64 v[77:78], v[10:11], v[48:49]
	v_fma_f64 v[77:78], v[8:9], v[46:47], -v[77:78]
	v_mul_f64 v[8:9], v[8:9], v[48:49]
	v_add_f64 v[71:72], v[71:72], v[77:78]
	v_fma_f64 v[8:9], v[10:11], v[46:47], v[8:9]
	v_add_f64 v[69:70], v[8:9], v[69:70]
	ds_read_b128 v[8:11], v59 offset:8224
	s_waitcnt lgkmcnt(0)
	v_mul_f64 v[77:78], v[10:11], v[44:45]
	v_mul_f64 v[44:45], v[8:9], v[44:45]
	v_fma_f64 v[77:78], v[8:9], v[42:43], -v[77:78]
	v_fma_f64 v[42:43], v[10:11], v[42:43], v[44:45]
	v_add_f64 v[73:74], v[73:74], v[77:78]
	v_add_f64 v[75:76], v[42:43], v[75:76]
	v_mul_f64 v[42:43], v[10:11], v[48:49]
	v_fma_f64 v[42:43], v[8:9], v[46:47], -v[42:43]
	v_mul_f64 v[8:9], v[8:9], v[48:49]
	v_fma_f64 v[8:9], v[10:11], v[46:47], v[8:9]
	v_add_f64 v[46:47], v[50:51], v[42:43]
	v_add_f64 v[48:49], v[8:9], v[52:53]
	ds_read_b128 v[8:11], v58 offset:1536
	s_waitcnt lgkmcnt(0)
	v_mul_f64 v[42:43], v[6:7], v[10:11]
	v_mul_f64 v[44:45], v[4:5], v[10:11]
	v_fma_f64 v[42:43], v[4:5], v[8:9], -v[42:43]
	v_fma_f64 v[44:45], v[6:7], v[8:9], v[44:45]
	v_add_f64 v[50:51], v[54:55], v[42:43]
	v_add_f64 v[52:53], v[44:45], v[56:57]
	ds_read_b128 v[42:45], v58 offset:1792
	s_waitcnt lgkmcnt(0)
	v_mul_f64 v[54:55], v[6:7], v[44:45]
	v_fma_f64 v[54:55], v[4:5], v[42:43], -v[54:55]
	v_mul_f64 v[4:5], v[4:5], v[44:45]
	v_add_f64 v[54:55], v[71:72], v[54:55]
	v_fma_f64 v[4:5], v[6:7], v[42:43], v[4:5]
	v_add_f64 v[56:57], v[4:5], v[69:70]
	ds_read_b128 v[4:7], v59 offset:8240
	s_waitcnt lgkmcnt(0)
	v_mul_f64 v[69:70], v[6:7], v[10:11]
	v_mul_f64 v[10:11], v[4:5], v[10:11]
	v_fma_f64 v[69:70], v[4:5], v[8:9], -v[69:70]
	v_fma_f64 v[8:9], v[6:7], v[8:9], v[10:11]
	v_add_f64 v[69:70], v[73:74], v[69:70]
	v_add_f64 v[71:72], v[8:9], v[75:76]
	v_mul_f64 v[8:9], v[6:7], v[44:45]
	v_fma_f64 v[8:9], v[4:5], v[42:43], -v[8:9]
	v_mul_f64 v[4:5], v[4:5], v[44:45]
	v_add_f64 v[46:47], v[46:47], v[8:9]
	v_fma_f64 v[4:5], v[6:7], v[42:43], v[4:5]
	v_add_f64 v[48:49], v[4:5], v[48:49]
	ds_read_b128 v[4:7], v59 offset:64
	ds_read_b128 v[8:11], v58 offset:2048
	s_waitcnt lgkmcnt(0)
	v_mul_f64 v[42:43], v[6:7], v[10:11]
	v_mul_f64 v[44:45], v[4:5], v[10:11]
	v_fma_f64 v[42:43], v[4:5], v[8:9], -v[42:43]
	v_fma_f64 v[44:45], v[6:7], v[8:9], v[44:45]
	v_add_f64 v[50:51], v[50:51], v[42:43]
	v_add_f64 v[52:53], v[44:45], v[52:53]
	ds_read_b128 v[42:45], v58 offset:2304
	s_waitcnt lgkmcnt(0)
	v_mul_f64 v[73:74], v[6:7], v[44:45]
	v_fma_f64 v[73:74], v[4:5], v[42:43], -v[73:74]
	v_mul_f64 v[4:5], v[4:5], v[44:45]
	v_add_f64 v[54:55], v[54:55], v[73:74]
	v_fma_f64 v[4:5], v[6:7], v[42:43], v[4:5]
	v_add_f64 v[56:57], v[4:5], v[56:57]
	ds_read_b128 v[4:7], v59 offset:8256
	s_waitcnt lgkmcnt(0)
	v_mul_f64 v[73:74], v[6:7], v[10:11]
	v_mul_f64 v[10:11], v[4:5], v[10:11]
	v_fma_f64 v[73:74], v[4:5], v[8:9], -v[73:74]
	v_fma_f64 v[8:9], v[6:7], v[8:9], v[10:11]
	v_add_f64 v[69:70], v[69:70], v[73:74]
	v_add_f64 v[71:72], v[8:9], v[71:72]
	v_mul_f64 v[8:9], v[6:7], v[44:45]
	v_fma_f64 v[8:9], v[4:5], v[42:43], -v[8:9]
	v_mul_f64 v[4:5], v[4:5], v[44:45]
	v_add_f64 v[46:47], v[46:47], v[8:9]
	v_fma_f64 v[4:5], v[6:7], v[42:43], v[4:5]
	v_add_f64 v[48:49], v[4:5], v[48:49]
	ds_read_b128 v[4:7], v59 offset:80
	;; [unrolled: 31-line block ×27, first 2 shown]
	ds_read_b128 v[8:11], v58 offset:15360
	s_waitcnt lgkmcnt(0)
	v_mul_f64 v[42:43], v[6:7], v[10:11]
	v_mul_f64 v[44:45], v[4:5], v[10:11]
	v_fma_f64 v[42:43], v[4:5], v[8:9], -v[42:43]
	v_fma_f64 v[44:45], v[6:7], v[8:9], v[44:45]
	v_add_f64 v[50:51], v[50:51], v[42:43]
	v_add_f64 v[52:53], v[44:45], v[52:53]
	ds_read_b128 v[42:45], v58 offset:15616
	s_waitcnt lgkmcnt(0)
	v_mul_f64 v[73:74], v[6:7], v[44:45]
	v_fma_f64 v[73:74], v[4:5], v[42:43], -v[73:74]
	v_mul_f64 v[4:5], v[4:5], v[44:45]
	v_add_f64 v[73:74], v[54:55], v[73:74]
	v_fma_f64 v[4:5], v[6:7], v[42:43], v[4:5]
	v_add_f64 v[75:76], v[4:5], v[56:57]
	ds_read_b128 v[4:7], v59 offset:8672
	s_waitcnt lgkmcnt(0)
	v_mul_f64 v[54:55], v[6:7], v[10:11]
	v_mul_f64 v[10:11], v[4:5], v[10:11]
	v_fma_f64 v[54:55], v[4:5], v[8:9], -v[54:55]
	v_fma_f64 v[8:9], v[6:7], v[8:9], v[10:11]
	v_add_f64 v[77:78], v[69:70], v[54:55]
	v_add_f64 v[79:80], v[8:9], v[71:72]
	v_mul_f64 v[8:9], v[6:7], v[44:45]
	v_fma_f64 v[8:9], v[4:5], v[42:43], -v[8:9]
	v_mul_f64 v[4:5], v[4:5], v[44:45]
	v_fma_f64 v[6:7], v[6:7], v[42:43], v[4:5]
	v_add_f64 v[4:5], v[46:47], v[8:9]
	v_add_f64 v[6:7], v[6:7], v[48:49]
	ds_read_b128 v[8:11], v59 offset:496
	ds_read_b128 v[46:49], v58 offset:15872
	;; [unrolled: 1-line block ×4, first 2 shown]
	s_waitcnt lgkmcnt(0)
	s_barrier
	buffer_gl0_inv
	v_mul_f64 v[42:43], v[10:11], v[48:49]
	v_mul_f64 v[44:45], v[8:9], v[48:49]
	v_fma_f64 v[42:43], v[8:9], v[46:47], -v[42:43]
	v_fma_f64 v[44:45], v[10:11], v[46:47], v[44:45]
	v_add_f64 v[50:51], v[50:51], v[42:43]
	v_mul_f64 v[42:43], v[10:11], v[56:57]
	v_add_f64 v[52:53], v[44:45], v[52:53]
	v_fma_f64 v[42:43], v[8:9], v[54:55], -v[42:43]
	v_mul_f64 v[8:9], v[8:9], v[56:57]
	v_add_f64 v[42:43], v[73:74], v[42:43]
	v_fma_f64 v[8:9], v[10:11], v[54:55], v[8:9]
	v_mul_f64 v[10:11], v[69:70], v[48:49]
	v_add_f64 v[44:45], v[8:9], v[75:76]
	v_mul_f64 v[8:9], v[71:72], v[48:49]
	v_fma_f64 v[10:11], v[71:72], v[46:47], v[10:11]
	v_fma_f64 v[8:9], v[69:70], v[46:47], -v[8:9]
	v_add_f64 v[48:49], v[10:11], v[79:80]
	v_mul_f64 v[10:11], v[69:70], v[56:57]
	v_add_f64 v[46:47], v[77:78], v[8:9]
	v_mul_f64 v[8:9], v[71:72], v[56:57]
	v_fma_f64 v[10:11], v[71:72], v[54:55], v[10:11]
	v_fma_f64 v[8:9], v[69:70], v[54:55], -v[8:9]
	v_add_f64 v[54:55], v[10:11], v[6:7]
	v_add_f64 v[56:57], v[4:5], v[8:9]
	s_cbranch_scc1 .LBB111_56
.LBB111_7:                              ;   Parent Loop BB111_4 Depth=1
                                        ; =>  This Inner Loop Header: Depth=2
	v_add_co_u32 v6, s5, v12, s12
	v_add_co_ci_u32_e64 v7, null, s13, v13, s5
	v_cmp_eq_u64_e64 s8, s[12:13], v[20:21]
	v_cmp_le_i64_e64 s6, s[10:11], v[6:7]
	v_cmp_lt_i64_e64 s5, v[6:7], v[14:15]
	s_and_b32 s15, s44, s8
	v_add_co_u32 v8, s8, v38, v26
	v_add_co_ci_u32_e64 v9, null, v39, v27, s8
	s_or_b32 s9, s6, s5
	s_or_b32 s8, s9, s15
	s_nor_b32 s8, s0, s8
	s_and_saveexec_b32 s9, s8
	s_xor_b32 s8, exec_lo, s9
	s_cbranch_execz .LBB111_9
; %bb.8:                                ;   in Loop: Header=BB111_7 Depth=2
	global_load_dwordx4 v[69:72], v[8:9], off offset:-256
	s_waitcnt vmcnt(0)
	ds_write2_b64 v60, v[69:70], v[71:72] offset1:1
.LBB111_9:                              ;   in Loop: Header=BB111_7 Depth=2
	s_or_saveexec_b32 s8, s8
	s_xor_b32 s14, s15, -1
	s_xor_b32 exec_lo, exec_lo, s8
	s_cbranch_execz .LBB111_15
; %bb.10:                               ;   in Loop: Header=BB111_7 Depth=2
	s_and_saveexec_b32 s9, s14
	s_xor_b32 s9, exec_lo, s9
	s_cbranch_execz .LBB111_12
; %bb.11:                               ;   in Loop: Header=BB111_7 Depth=2
	v_mov_b32_e32 v69, v2
	v_mov_b32_e32 v70, v2
	;; [unrolled: 1-line block ×4, first 2 shown]
	ds_write_b128 v60, v[69:72]
.LBB111_12:                             ;   in Loop: Header=BB111_7 Depth=2
	s_andn2_saveexec_b32 s9, s9
; %bb.13:                               ;   in Loop: Header=BB111_7 Depth=2
	v_mov_b32_e32 v4, v2
	v_mov_b32_e32 v5, v2
	ds_write_b128 v60, v[2:5]
; %bb.14:                               ;   in Loop: Header=BB111_7 Depth=2
	s_or_b32 exec_lo, exec_lo, s9
.LBB111_15:                             ;   in Loop: Header=BB111_7 Depth=2
	s_or_b32 exec_lo, exec_lo, s8
	v_cmp_eq_u64_e64 s8, s[12:13], v[22:23]
	v_cmp_gt_i64_e64 s9, v[18:19], v[6:7]
	s_and_b32 s8, s44, s8
	s_or_b32 s6, s6, s9
	s_or_b32 s6, s6, s8
	s_nor_b32 s6, s2, s6
	s_and_saveexec_b32 s9, s6
	s_xor_b32 s6, exec_lo, s9
	s_cbranch_execz .LBB111_17
; %bb.16:                               ;   in Loop: Header=BB111_7 Depth=2
	global_load_dwordx4 v[8:11], v[8:9], off
	s_waitcnt vmcnt(0)
	ds_write2_b64 v62, v[8:9], v[10:11] offset1:1
.LBB111_17:                             ;   in Loop: Header=BB111_7 Depth=2
	s_andn2_saveexec_b32 s6, s6
	s_cbranch_execz .LBB111_23
; %bb.18:                               ;   in Loop: Header=BB111_7 Depth=2
	s_xor_b32 s8, s8, -1
	s_and_saveexec_b32 s9, s8
	s_xor_b32 s8, exec_lo, s9
	s_cbranch_execz .LBB111_20
; %bb.19:                               ;   in Loop: Header=BB111_7 Depth=2
	v_mov_b32_e32 v8, v2
	v_mov_b32_e32 v9, v2
	;; [unrolled: 1-line block ×4, first 2 shown]
	ds_write_b128 v60, v[8:11] offset:256
.LBB111_20:                             ;   in Loop: Header=BB111_7 Depth=2
	s_andn2_saveexec_b32 s8, s8
; %bb.21:                               ;   in Loop: Header=BB111_7 Depth=2
	v_mov_b32_e32 v4, v2
	v_mov_b32_e32 v5, v2
	ds_write_b128 v60, v[2:5] offset:256
; %bb.22:                               ;   in Loop: Header=BB111_7 Depth=2
	s_or_b32 exec_lo, exec_lo, s8
.LBB111_23:                             ;   in Loop: Header=BB111_7 Depth=2
	s_or_b32 exec_lo, exec_lo, s6
	v_add_co_u32 v4, s6, v6, 16
	v_add_co_ci_u32_e64 v5, null, 0, v7, s6
	v_cmp_eq_u64_e64 s8, s[12:13], v[24:25]
	v_cmp_le_i64_e64 s6, s[10:11], v[4:5]
	v_cmp_lt_i64_e64 s9, v[4:5], v[14:15]
	s_and_b32 s16, s44, s8
	v_add_co_u32 v6, s8, v40, v26
	v_add_co_ci_u32_e64 v7, null, v41, v27, s8
	s_or_b32 s9, s6, s9
	s_or_b32 s8, s9, s16
	s_nor_b32 s8, s0, s8
	s_and_saveexec_b32 s9, s8
	s_xor_b32 s8, exec_lo, s9
	s_cbranch_execz .LBB111_25
; %bb.24:                               ;   in Loop: Header=BB111_7 Depth=2
	global_load_dwordx4 v[8:11], v[6:7], off offset:-256
	s_waitcnt vmcnt(0)
	ds_write2_b64 v63, v[8:9], v[10:11] offset1:1
.LBB111_25:                             ;   in Loop: Header=BB111_7 Depth=2
	s_andn2_saveexec_b32 s8, s8
	s_cbranch_execz .LBB111_31
; %bb.26:                               ;   in Loop: Header=BB111_7 Depth=2
	s_xor_b32 s9, s16, -1
	s_and_saveexec_b32 s16, s9
	s_xor_b32 s9, exec_lo, s16
	s_cbranch_execz .LBB111_28
; %bb.27:                               ;   in Loop: Header=BB111_7 Depth=2
	v_mov_b32_e32 v8, v2
	v_mov_b32_e32 v9, v2
	;; [unrolled: 1-line block ×4, first 2 shown]
	ds_write_b128 v60, v[8:11] offset:8192
.LBB111_28:                             ;   in Loop: Header=BB111_7 Depth=2
	s_andn2_saveexec_b32 s9, s9
; %bb.29:                               ;   in Loop: Header=BB111_7 Depth=2
	v_mov_b32_e32 v4, v2
	v_mov_b32_e32 v5, v2
	ds_write_b128 v60, v[2:5] offset:8192
; %bb.30:                               ;   in Loop: Header=BB111_7 Depth=2
	s_or_b32 exec_lo, exec_lo, s9
.LBB111_31:                             ;   in Loop: Header=BB111_7 Depth=2
	s_or_b32 exec_lo, exec_lo, s8
	s_or_b32 s5, s6, s5
	s_or_b32 s5, s5, s15
	s_nor_b32 s5, s2, s5
	s_and_saveexec_b32 s6, s5
	s_xor_b32 s5, exec_lo, s6
	s_cbranch_execz .LBB111_33
; %bb.32:                               ;   in Loop: Header=BB111_7 Depth=2
	global_load_dwordx4 v[4:7], v[6:7], off
	s_waitcnt vmcnt(0)
	ds_write2_b64 v64, v[4:5], v[6:7] offset1:1
.LBB111_33:                             ;   in Loop: Header=BB111_7 Depth=2
	s_andn2_saveexec_b32 s5, s5
	s_cbranch_execz .LBB111_39
; %bb.34:                               ;   in Loop: Header=BB111_7 Depth=2
	s_and_saveexec_b32 s6, s14
	s_xor_b32 s6, exec_lo, s6
	s_cbranch_execz .LBB111_36
; %bb.35:                               ;   in Loop: Header=BB111_7 Depth=2
	v_mov_b32_e32 v4, v2
	v_mov_b32_e32 v5, v2
	;; [unrolled: 1-line block ×4, first 2 shown]
	ds_write_b128 v60, v[4:7] offset:8448
.LBB111_36:                             ;   in Loop: Header=BB111_7 Depth=2
	s_andn2_saveexec_b32 s6, s6
; %bb.37:                               ;   in Loop: Header=BB111_7 Depth=2
	v_mov_b32_e32 v4, v2
	v_mov_b32_e32 v5, v2
	ds_write_b128 v60, v[2:5] offset:8448
; %bb.38:                               ;   in Loop: Header=BB111_7 Depth=2
	s_or_b32 exec_lo, exec_lo, s6
.LBB111_39:                             ;   in Loop: Header=BB111_7 Depth=2
	s_or_b32 exec_lo, exec_lo, s5
	v_add_co_u32 v4, s5, v14, s12
	v_add_co_ci_u32_e64 v5, null, s13, v15, s5
	v_cmp_gt_i64_e64 s5, s[10:11], v[4:5]
	s_and_b32 s6, vcc_lo, s5
	s_xor_b32 s6, s6, -1
	s_and_saveexec_b32 s8, s6
	s_xor_b32 s6, exec_lo, s8
	s_cbranch_execz .LBB111_41
; %bb.40:                               ;   in Loop: Header=BB111_7 Depth=2
	v_mov_b32_e32 v6, v2
	v_mov_b32_e32 v7, v2
	;; [unrolled: 1-line block ×4, first 2 shown]
	ds_write_b128 v61, v[6:9]
.LBB111_41:                             ;   in Loop: Header=BB111_7 Depth=2
	s_or_saveexec_b32 s8, s6
	v_add_co_u32 v6, s6, v34, v26
	v_add_co_ci_u32_e64 v7, null, v35, v27, s6
	s_xor_b32 exec_lo, exec_lo, s8
	s_cbranch_execz .LBB111_43
; %bb.42:                               ;   in Loop: Header=BB111_7 Depth=2
	global_load_dwordx4 v[8:11], v[6:7], off offset:-256
	s_waitcnt vmcnt(0)
	ds_write2_b64 v61, v[8:9], v[10:11] offset1:1
.LBB111_43:                             ;   in Loop: Header=BB111_7 Depth=2
	s_or_b32 exec_lo, exec_lo, s8
	v_cmp_gt_i64_e64 s6, s[36:37], v[4:5]
	s_and_b32 s8, vcc_lo, s6
	s_xor_b32 s8, s8, -1
	s_and_saveexec_b32 s9, s8
	s_xor_b32 s8, exec_lo, s9
	s_cbranch_execz .LBB111_45
; %bb.44:                               ;   in Loop: Header=BB111_7 Depth=2
	v_mov_b32_e32 v4, v2
	v_mov_b32_e32 v5, v2
	v_mov_b32_e32 v6, v2
	v_mov_b32_e32 v7, v2
	ds_write_b128 v61, v[4:7] offset:256
                                        ; implicit-def: $vgpr6_vgpr7
.LBB111_45:                             ;   in Loop: Header=BB111_7 Depth=2
	s_andn2_saveexec_b32 s8, s8
	s_cbranch_execz .LBB111_47
; %bb.46:                               ;   in Loop: Header=BB111_7 Depth=2
	global_load_dwordx4 v[4:7], v[6:7], off
	s_waitcnt vmcnt(0)
	ds_write2_b64 v65, v[4:5], v[6:7] offset1:1
.LBB111_47:                             ;   in Loop: Header=BB111_7 Depth=2
	s_or_b32 exec_lo, exec_lo, s8
	s_and_b32 s5, s4, s5
	s_xor_b32 s5, s5, -1
	s_and_saveexec_b32 s8, s5
	s_xor_b32 s5, exec_lo, s8
	s_cbranch_execz .LBB111_49
; %bb.48:                               ;   in Loop: Header=BB111_7 Depth=2
	v_mov_b32_e32 v4, v2
	v_mov_b32_e32 v5, v2
	v_mov_b32_e32 v6, v2
	v_mov_b32_e32 v7, v2
	ds_write_b128 v61, v[4:7] offset:8192
.LBB111_49:                             ;   in Loop: Header=BB111_7 Depth=2
	s_or_saveexec_b32 s8, s5
	v_add_co_u32 v4, s5, v36, v26
	v_add_co_ci_u32_e64 v5, null, v37, v27, s5
	s_xor_b32 exec_lo, exec_lo, s8
	s_cbranch_execz .LBB111_51
; %bb.50:                               ;   in Loop: Header=BB111_7 Depth=2
	global_load_dwordx4 v[6:9], v[4:5], off
	s_waitcnt vmcnt(0)
	ds_write2_b64 v66, v[6:7], v[8:9] offset1:1
.LBB111_51:                             ;   in Loop: Header=BB111_7 Depth=2
	s_or_b32 exec_lo, exec_lo, s8
	s_and_b32 s5, s4, s6
	s_xor_b32 s5, s5, -1
	s_and_saveexec_b32 s6, s5
	s_xor_b32 s5, exec_lo, s6
	s_cbranch_execz .LBB111_53
; %bb.52:                               ;   in Loop: Header=BB111_7 Depth=2
	v_mov_b32_e32 v4, v2
	v_mov_b32_e32 v5, v2
	;; [unrolled: 1-line block ×4, first 2 shown]
	ds_write_b128 v61, v[4:7] offset:8448
                                        ; implicit-def: $vgpr4_vgpr5
.LBB111_53:                             ;   in Loop: Header=BB111_7 Depth=2
	s_andn2_saveexec_b32 s5, s5
	s_cbranch_execz .LBB111_6
; %bb.54:                               ;   in Loop: Header=BB111_7 Depth=2
	global_load_dwordx4 v[4:7], v[4:5], off offset:256
	s_waitcnt vmcnt(0)
	ds_write2_b64 v0, v[4:5], v[6:7] offset1:1
	s_branch .LBB111_6
.LBB111_55:                             ;   in Loop: Header=BB111_4 Depth=1
	v_mov_b32_e32 v50, 0
	v_mov_b32_e32 v52, 0
	;; [unrolled: 1-line block ×16, first 2 shown]
.LBB111_56:                             ;   in Loop: Header=BB111_4 Depth=1
	v_mul_lo_u32 v6, s41, v67
	v_mul_lo_u32 v7, s40, v68
	v_mad_u64_u32 v[4:5], null, s40, v67, 0
	v_cmp_gt_i32_e32 vcc_lo, s46, v67
	v_add3_u32 v5, v5, v7, v6
	v_lshlrev_b64 v[4:5], 4, v[4:5]
	v_add_co_u32 v4, s4, s38, v4
	v_add_co_ci_u32_e64 v5, null, s39, v5, s4
	s_and_b32 s4, s1, vcc_lo
	s_and_saveexec_b32 s5, s4
	s_cbranch_execz .LBB111_58
; %bb.57:                               ;   in Loop: Header=BB111_4 Depth=1
	v_add_co_u32 v10, s4, v4, v26
	v_add_co_ci_u32_e64 v11, null, v5, v27, s4
	v_mul_f64 v[34:35], s[30:31], v[52:53]
	v_mul_f64 v[36:37], s[28:29], v[52:53]
	global_load_dwordx4 v[6:9], v[10:11], off
	v_fma_f64 v[34:35], s[28:29], v[50:51], -v[34:35]
	v_fma_f64 v[36:37], s[30:31], v[50:51], v[36:37]
	s_waitcnt vmcnt(0)
	v_add_f64 v[6:7], v[6:7], v[34:35]
	v_add_f64 v[8:9], v[36:37], v[8:9]
	global_store_dwordx4 v[10:11], v[6:9], off
.LBB111_58:                             ;   in Loop: Header=BB111_4 Depth=1
	s_or_b32 exec_lo, exec_lo, s5
	s_and_b32 s5, s3, vcc_lo
	s_and_saveexec_b32 s4, s5
	s_cbranch_execz .LBB111_60
; %bb.59:                               ;   in Loop: Header=BB111_4 Depth=1
	v_lshlrev_b64 v[6:7], 4, v[16:17]
	v_mul_f64 v[10:11], s[30:31], v[44:45]
	v_mul_f64 v[34:35], s[28:29], v[44:45]
	v_add_co_u32 v8, vcc_lo, v4, v6
	v_add_co_ci_u32_e64 v9, null, v5, v7, vcc_lo
	global_load_dwordx4 v[4:7], v[8:9], off
	v_fma_f64 v[10:11], s[28:29], v[42:43], -v[10:11]
	v_fma_f64 v[34:35], s[30:31], v[42:43], v[34:35]
	s_waitcnt vmcnt(0)
	v_add_f64 v[4:5], v[4:5], v[10:11]
	v_add_f64 v[6:7], v[34:35], v[6:7]
	global_store_dwordx4 v[8:9], v[4:7], off
.LBB111_60:                             ;   in Loop: Header=BB111_4 Depth=1
	s_or_b32 exec_lo, exec_lo, s4
	v_add_nc_u32_e32 v6, 16, v67
	v_ashrrev_i32_e32 v7, 31, v6
	v_mul_lo_u32 v8, s41, v6
	v_mad_u64_u32 v[4:5], null, s40, v6, 0
	v_cmp_gt_i32_e32 vcc_lo, s46, v6
	v_mul_lo_u32 v7, s40, v7
	v_add3_u32 v5, v5, v7, v8
	v_lshlrev_b64 v[4:5], 4, v[4:5]
	v_add_co_u32 v4, s4, s38, v4
	v_add_co_ci_u32_e64 v5, null, s39, v5, s4
	s_and_b32 s4, s1, vcc_lo
	s_and_saveexec_b32 s5, s4
	s_cbranch_execz .LBB111_62
; %bb.61:                               ;   in Loop: Header=BB111_4 Depth=1
	v_add_co_u32 v10, s4, v4, v26
	v_add_co_ci_u32_e64 v11, null, v5, v27, s4
	v_mul_f64 v[34:35], s[30:31], v[48:49]
	v_mul_f64 v[36:37], s[28:29], v[48:49]
	global_load_dwordx4 v[6:9], v[10:11], off
	v_fma_f64 v[34:35], s[28:29], v[46:47], -v[34:35]
	v_fma_f64 v[36:37], s[30:31], v[46:47], v[36:37]
	s_waitcnt vmcnt(0)
	v_add_f64 v[6:7], v[6:7], v[34:35]
	v_add_f64 v[8:9], v[36:37], v[8:9]
	global_store_dwordx4 v[10:11], v[6:9], off
.LBB111_62:                             ;   in Loop: Header=BB111_4 Depth=1
	s_or_b32 exec_lo, exec_lo, s5
	s_and_b32 s5, s3, vcc_lo
	s_and_saveexec_b32 s4, s5
	s_cbranch_execz .LBB111_3
; %bb.63:                               ;   in Loop: Header=BB111_4 Depth=1
	v_lshlrev_b64 v[6:7], 4, v[16:17]
	v_mul_f64 v[10:11], s[30:31], v[54:55]
	v_mul_f64 v[34:35], s[28:29], v[54:55]
	v_add_co_u32 v8, vcc_lo, v4, v6
	v_add_co_ci_u32_e64 v9, null, v5, v7, vcc_lo
	global_load_dwordx4 v[4:7], v[8:9], off
	v_fma_f64 v[10:11], s[28:29], v[56:57], -v[10:11]
	v_fma_f64 v[34:35], s[30:31], v[56:57], v[34:35]
	s_waitcnt vmcnt(0)
	v_add_f64 v[4:5], v[4:5], v[10:11]
	v_add_f64 v[6:7], v[34:35], v[6:7]
	global_store_dwordx4 v[8:9], v[4:7], off
	s_branch .LBB111_3
.LBB111_64:
	s_endpgm
	.section	.rodata,"a",@progbits
	.p2align	6, 0x0
	.amdhsa_kernel _ZL30rocblas_trmm_outofplace_kernelI19rocblas_complex_numIdELi32ELi2ELb1ELb1ELb0ELb0ES1_KS1_S1_Ev17rocblas_diagonal_iiT6_lPT7_lllS6_lllPT8_llli
		.amdhsa_group_segment_fixed_size 32768
		.amdhsa_private_segment_fixed_size 0
		.amdhsa_kernarg_size 400
		.amdhsa_user_sgpr_count 6
		.amdhsa_user_sgpr_private_segment_buffer 1
		.amdhsa_user_sgpr_dispatch_ptr 0
		.amdhsa_user_sgpr_queue_ptr 0
		.amdhsa_user_sgpr_kernarg_segment_ptr 1
		.amdhsa_user_sgpr_dispatch_id 0
		.amdhsa_user_sgpr_flat_scratch_init 0
		.amdhsa_user_sgpr_private_segment_size 0
		.amdhsa_wavefront_size32 1
		.amdhsa_uses_dynamic_stack 0
		.amdhsa_system_sgpr_private_segment_wavefront_offset 0
		.amdhsa_system_sgpr_workgroup_id_x 1
		.amdhsa_system_sgpr_workgroup_id_y 1
		.amdhsa_system_sgpr_workgroup_id_z 1
		.amdhsa_system_sgpr_workgroup_info 0
		.amdhsa_system_vgpr_workitem_id 1
		.amdhsa_next_free_vgpr 87
		.amdhsa_next_free_sgpr 49
		.amdhsa_reserve_vcc 1
		.amdhsa_reserve_flat_scratch 0
		.amdhsa_float_round_mode_32 0
		.amdhsa_float_round_mode_16_64 0
		.amdhsa_float_denorm_mode_32 3
		.amdhsa_float_denorm_mode_16_64 3
		.amdhsa_dx10_clamp 1
		.amdhsa_ieee_mode 1
		.amdhsa_fp16_overflow 0
		.amdhsa_workgroup_processor_mode 1
		.amdhsa_memory_ordered 1
		.amdhsa_forward_progress 1
		.amdhsa_shared_vgpr_count 0
		.amdhsa_exception_fp_ieee_invalid_op 0
		.amdhsa_exception_fp_denorm_src 0
		.amdhsa_exception_fp_ieee_div_zero 0
		.amdhsa_exception_fp_ieee_overflow 0
		.amdhsa_exception_fp_ieee_underflow 0
		.amdhsa_exception_fp_ieee_inexact 0
		.amdhsa_exception_int_div_zero 0
	.end_amdhsa_kernel
	.section	.text._ZL30rocblas_trmm_outofplace_kernelI19rocblas_complex_numIdELi32ELi2ELb1ELb1ELb0ELb0ES1_KS1_S1_Ev17rocblas_diagonal_iiT6_lPT7_lllS6_lllPT8_llli,"axG",@progbits,_ZL30rocblas_trmm_outofplace_kernelI19rocblas_complex_numIdELi32ELi2ELb1ELb1ELb0ELb0ES1_KS1_S1_Ev17rocblas_diagonal_iiT6_lPT7_lllS6_lllPT8_llli,comdat
.Lfunc_end111:
	.size	_ZL30rocblas_trmm_outofplace_kernelI19rocblas_complex_numIdELi32ELi2ELb1ELb1ELb0ELb0ES1_KS1_S1_Ev17rocblas_diagonal_iiT6_lPT7_lllS6_lllPT8_llli, .Lfunc_end111-_ZL30rocblas_trmm_outofplace_kernelI19rocblas_complex_numIdELi32ELi2ELb1ELb1ELb0ELb0ES1_KS1_S1_Ev17rocblas_diagonal_iiT6_lPT7_lllS6_lllPT8_llli
                                        ; -- End function
	.set _ZL30rocblas_trmm_outofplace_kernelI19rocblas_complex_numIdELi32ELi2ELb1ELb1ELb0ELb0ES1_KS1_S1_Ev17rocblas_diagonal_iiT6_lPT7_lllS6_lllPT8_llli.num_vgpr, 87
	.set _ZL30rocblas_trmm_outofplace_kernelI19rocblas_complex_numIdELi32ELi2ELb1ELb1ELb0ELb0ES1_KS1_S1_Ev17rocblas_diagonal_iiT6_lPT7_lllS6_lllPT8_llli.num_agpr, 0
	.set _ZL30rocblas_trmm_outofplace_kernelI19rocblas_complex_numIdELi32ELi2ELb1ELb1ELb0ELb0ES1_KS1_S1_Ev17rocblas_diagonal_iiT6_lPT7_lllS6_lllPT8_llli.numbered_sgpr, 49
	.set _ZL30rocblas_trmm_outofplace_kernelI19rocblas_complex_numIdELi32ELi2ELb1ELb1ELb0ELb0ES1_KS1_S1_Ev17rocblas_diagonal_iiT6_lPT7_lllS6_lllPT8_llli.num_named_barrier, 0
	.set _ZL30rocblas_trmm_outofplace_kernelI19rocblas_complex_numIdELi32ELi2ELb1ELb1ELb0ELb0ES1_KS1_S1_Ev17rocblas_diagonal_iiT6_lPT7_lllS6_lllPT8_llli.private_seg_size, 0
	.set _ZL30rocblas_trmm_outofplace_kernelI19rocblas_complex_numIdELi32ELi2ELb1ELb1ELb0ELb0ES1_KS1_S1_Ev17rocblas_diagonal_iiT6_lPT7_lllS6_lllPT8_llli.uses_vcc, 1
	.set _ZL30rocblas_trmm_outofplace_kernelI19rocblas_complex_numIdELi32ELi2ELb1ELb1ELb0ELb0ES1_KS1_S1_Ev17rocblas_diagonal_iiT6_lPT7_lllS6_lllPT8_llli.uses_flat_scratch, 0
	.set _ZL30rocblas_trmm_outofplace_kernelI19rocblas_complex_numIdELi32ELi2ELb1ELb1ELb0ELb0ES1_KS1_S1_Ev17rocblas_diagonal_iiT6_lPT7_lllS6_lllPT8_llli.has_dyn_sized_stack, 0
	.set _ZL30rocblas_trmm_outofplace_kernelI19rocblas_complex_numIdELi32ELi2ELb1ELb1ELb0ELb0ES1_KS1_S1_Ev17rocblas_diagonal_iiT6_lPT7_lllS6_lllPT8_llli.has_recursion, 0
	.set _ZL30rocblas_trmm_outofplace_kernelI19rocblas_complex_numIdELi32ELi2ELb1ELb1ELb0ELb0ES1_KS1_S1_Ev17rocblas_diagonal_iiT6_lPT7_lllS6_lllPT8_llli.has_indirect_call, 0
	.section	.AMDGPU.csdata,"",@progbits
; Kernel info:
; codeLenInByte = 10204
; TotalNumSgprs: 51
; NumVgprs: 87
; ScratchSize: 0
; MemoryBound: 0
; FloatMode: 240
; IeeeMode: 1
; LDSByteSize: 32768 bytes/workgroup (compile time only)
; SGPRBlocks: 0
; VGPRBlocks: 10
; NumSGPRsForWavesPerEU: 51
; NumVGPRsForWavesPerEU: 87
; Occupancy: 10
; WaveLimiterHint : 0
; COMPUTE_PGM_RSRC2:SCRATCH_EN: 0
; COMPUTE_PGM_RSRC2:USER_SGPR: 6
; COMPUTE_PGM_RSRC2:TRAP_HANDLER: 0
; COMPUTE_PGM_RSRC2:TGID_X_EN: 1
; COMPUTE_PGM_RSRC2:TGID_Y_EN: 1
; COMPUTE_PGM_RSRC2:TGID_Z_EN: 1
; COMPUTE_PGM_RSRC2:TIDIG_COMP_CNT: 1
	.section	.text._ZL30rocblas_trmm_outofplace_kernelI19rocblas_complex_numIdELi32ELi2ELb1ELb0ELb1ELb0EPKS1_S2_S1_Ev17rocblas_diagonal_iiT6_lPT7_lllS7_lllPT8_llli,"axG",@progbits,_ZL30rocblas_trmm_outofplace_kernelI19rocblas_complex_numIdELi32ELi2ELb1ELb0ELb1ELb0EPKS1_S2_S1_Ev17rocblas_diagonal_iiT6_lPT7_lllS7_lllPT8_llli,comdat
	.globl	_ZL30rocblas_trmm_outofplace_kernelI19rocblas_complex_numIdELi32ELi2ELb1ELb0ELb1ELb0EPKS1_S2_S1_Ev17rocblas_diagonal_iiT6_lPT7_lllS7_lllPT8_llli ; -- Begin function _ZL30rocblas_trmm_outofplace_kernelI19rocblas_complex_numIdELi32ELi2ELb1ELb0ELb1ELb0EPKS1_S2_S1_Ev17rocblas_diagonal_iiT6_lPT7_lllS7_lllPT8_llli
	.p2align	8
	.type	_ZL30rocblas_trmm_outofplace_kernelI19rocblas_complex_numIdELi32ELi2ELb1ELb0ELb1ELb0EPKS1_S2_S1_Ev17rocblas_diagonal_iiT6_lPT7_lllS7_lllPT8_llli,@function
_ZL30rocblas_trmm_outofplace_kernelI19rocblas_complex_numIdELi32ELi2ELb1ELb0ELb1ELb0EPKS1_S2_S1_Ev17rocblas_diagonal_iiT6_lPT7_lllS7_lllPT8_llli: ; @_ZL30rocblas_trmm_outofplace_kernelI19rocblas_complex_numIdELi32ELi2ELb1ELb0ELb1ELb0EPKS1_S2_S1_Ev17rocblas_diagonal_iiT6_lPT7_lllS7_lllPT8_llli
; %bb.0:
	s_load_dwordx16 s[12:27], s[4:5], 0x10
	s_waitcnt lgkmcnt(0)
	s_mul_i32 s1, s15, s8
	s_mul_hi_u32 s2, s14, s8
	s_mul_i32 s0, s14, s8
	s_add_i32 s1, s2, s1
	s_lshl_b64 s[0:1], s[0:1], 4
	s_add_u32 s0, s12, s0
	s_addc_u32 s1, s13, s1
	s_load_dwordx4 s[12:15], s[0:1], 0x0
	s_waitcnt lgkmcnt(0)
	v_cmp_eq_f64_e64 s0, s[12:13], 0
	v_cmp_eq_f64_e64 s1, s[14:15], 0
	s_and_b32 s0, s0, s1
	s_and_b32 vcc_lo, exec_lo, s0
	s_cbranch_vccnz .LBB112_64
; %bb.1:
	s_load_dwordx4 s[28:31], s[4:5], 0x0
	s_waitcnt lgkmcnt(0)
	s_add_i32 s0, s30, -1
	s_ashr_i32 s1, s0, 31
	s_lshr_b32 s1, s1, 27
	s_add_i32 s0, s0, s1
	s_ashr_i32 s31, s0, 5
	s_cmp_gt_i32 s7, s31
	s_cbranch_scc1 .LBB112_64
; %bb.2:
	s_clause 0x1
	s_load_dwordx4 s[44:47], s[4:5], 0x70
	s_load_dwordx8 s[36:43], s[4:5], 0x50
	v_lshlrev_b32_e32 v2, 9, v1
	v_lshlrev_b32_e32 v54, 4, v0
	s_load_dword s33, s[4:5], 0x8c
	s_mov_b32 s10, s29
	v_lshl_add_u32 v32, s7, 5, v1
	v_add_nc_u32_e32 v55, 0x4000, v2
	v_add_nc_u32_e32 v56, v54, v2
	;; [unrolled: 1-line block ×8, first 2 shown]
	s_waitcnt lgkmcnt(0)
	s_mul_i32 s1, s47, s8
	s_mul_hi_u32 s2, s46, s8
	s_mul_i32 s0, s46, s8
	s_add_i32 s1, s2, s1
	s_mul_i32 s4, s39, s8
	s_lshl_b64 s[0:1], s[0:1], 4
	s_mul_hi_u32 s5, s38, s8
	s_add_u32 s2, s40, s0
	s_addc_u32 s3, s41, s1
	s_lshl_b64 s[0:1], s[42:43], 4
	s_add_u32 s40, s2, s0
	s_addc_u32 s41, s3, s1
	s_lshl_b32 s0, s6, 5
	v_add_nc_u32_e32 v14, s0, v0
	v_add_nc_u32_e32 v12, s0, v1
	s_sub_i32 s42, s29, s0
	v_add_nc_u32_e32 v0, 0x2100, v57
	s_cmp_gt_i32 s42, 0
	v_ashrrev_i32_e32 v15, 31, v14
	s_cselect_b32 s43, -1, 0
	s_cmpk_eq_i32 s28, 0x84
	v_ashrrev_i32_e32 v13, 31, v12
	v_add_co_u32 v18, vcc_lo, v14, 16
	s_cselect_b32 s28, -1, 0
	s_ashr_i32 s11, s29, 31
	s_ashr_i32 s46, s30, 31
	v_add_co_ci_u32_e64 v19, null, 0, v15, vcc_lo
	s_add_u32 s34, s29, -16
	v_sub_co_u32 v20, vcc_lo, v14, v12
	s_addc_u32 s35, s11, -1
	s_add_i32 s5, s5, s4
	s_mul_i32 s4, s38, s8
	v_sub_co_ci_u32_e64 v21, null, v15, v13, vcc_lo
	s_lshl_b64 s[4:5], s[4:5], 4
	s_lshl_b64 s[26:27], s[26:27], 4
	v_lshlrev_b64 v[26:27], 4, v[14:15]
	v_mul_lo_u32 v4, s20, v15
	v_mul_lo_u32 v5, s21, v14
	v_mad_u64_u32 v[2:3], null, s20, v14, 0
	v_add_co_u32 v22, vcc_lo, v20, 16
	s_add_u32 s4, s4, s26
	s_addc_u32 s5, s5, s27
	v_add_co_ci_u32_e64 v23, null, 0, v21, vcc_lo
	v_add_co_u32 v24, vcc_lo, v20, -16
	s_add_u32 s4, s24, s4
	v_add_co_ci_u32_e64 v25, null, -1, v21, vcc_lo
	s_addc_u32 s5, s25, s5
	v_add_co_u32 v28, vcc_lo, s4, v26
	v_add_co_ci_u32_e64 v29, null, s5, v27, vcc_lo
	v_add3_u32 v3, v3, v4, v5
	v_add_co_u32 v30, vcc_lo, 0x100, v28
	s_mul_i32 s4, s23, s8
	s_mul_hi_u32 s5, s22, s8
	v_add_co_ci_u32_e64 v31, null, 0, v29, vcc_lo
	s_add_i32 s5, s5, s4
	s_mul_i32 s4, s22, s8
	v_lshlrev_b64 v[2:3], 4, v[2:3]
	v_add_co_u32 v8, vcc_lo, 0x100, v26
	s_lshl_b64 s[4:5], s[4:5], 4
	s_lshl_b64 s[8:9], s[18:19], 4
	v_add_co_ci_u32_e64 v9, null, 0, v27, vcc_lo
	s_lshl_b64 s[24:25], s[36:37], 4
	s_lshl_b32 s22, s33, 5
	s_add_u32 s4, s8, s4
	s_addc_u32 s5, s9, s5
	v_lshlrev_b64 v[4:5], 4, v[12:13]
	v_add_co_u32 v2, vcc_lo, s4, v2
	v_mad_u64_u32 v[6:7], null, s20, v8, s[4:5]
	v_mul_lo_u32 v9, s20, v9
	v_mul_lo_u32 v8, s21, v8
	v_add_co_ci_u32_e64 v3, null, s5, v3, vcc_lo
	v_add_co_u32 v2, vcc_lo, v2, v4
	v_add_nc_u32_e32 v16, 16, v14
	v_add_co_ci_u32_e64 v3, null, v3, v5, vcc_lo
	v_add3_u32 v7, v8, v7, v9
	v_add_co_u32 v2, vcc_lo, s16, v2
	v_add_co_ci_u32_e64 v3, null, s17, v3, vcc_lo
	v_add_co_u32 v4, vcc_lo, v6, v4
	v_add_co_ci_u32_e64 v5, null, v7, v5, vcc_lo
	;; [unrolled: 2-line block ×3, first 2 shown]
	v_add_co_u32 v65, vcc_lo, s16, v4
	v_cmp_le_i64_e64 s3, s[10:11], v[18:19]
	v_cmp_le_i32_e64 s0, s29, v14
	v_cmp_gt_i32_e64 s1, s29, v14
	v_cmp_gt_i32_e64 s2, s29, v16
	v_ashrrev_i32_e32 v17, 31, v16
	v_add_co_ci_u32_e64 v66, null, s17, v5, vcc_lo
	v_mov_b32_e32 v2, 0
	v_mov_b32_e32 v3, 0x3ff00000
	s_branch .LBB112_4
.LBB112_3:                              ;   in Loop: Header=BB112_4 Depth=1
	s_or_b32 exec_lo, exec_lo, s4
	v_add_nc_u32_e32 v32, s22, v32
	s_add_i32 s7, s33, s7
	s_cmp_le_i32 s7, s31
	s_cbranch_scc0 .LBB112_64
.LBB112_4:                              ; =>This Loop Header: Depth=1
                                        ;     Child Loop BB112_7 Depth 2
	v_lshl_add_u32 v67, s7, 5, v1
	s_andn2_b32 vcc_lo, exec_lo, s43
	v_ashrrev_i32_e32 v68, 31, v67
	s_cbranch_vccnz .LBB112_55
; %bb.5:                                ;   in Loop: Header=BB112_4 Depth=1
	v_ashrrev_i32_e32 v33, 31, v32
	v_mad_u64_u32 v[34:35], null, s24, v32, v[30:31]
	v_mul_lo_u32 v6, s25, v32
	v_mov_b32_e32 v50, 0
	v_lshlrev_b64 v[4:5], 4, v[32:33]
	v_mul_lo_u32 v7, s24, v33
	v_mov_b32_e32 v52, 0
	v_mov_b32_e32 v48, 0
	;; [unrolled: 1-line block ×4, first 2 shown]
	v_add_co_u32 v8, vcc_lo, 0x100, v4
	v_add_co_ci_u32_e64 v9, null, 0, v5, vcc_lo
	v_sub_co_u32 v4, vcc_lo, s30, v67
	v_add3_u32 v35, v6, v35, v7
	v_mul_lo_u32 v6, s36, v9
	v_mul_lo_u32 v7, s37, v8
	v_mad_u64_u32 v[36:37], null, s36, v8, v[28:29]
	v_sub_co_ci_u32_e64 v5, null, s46, v68, vcc_lo
	v_mov_b32_e32 v38, 0
	v_mov_b32_e32 v44, 0
	;; [unrolled: 1-line block ×3, first 2 shown]
	v_cmp_lt_i64_e64 s4, 16, v[4:5]
	v_mov_b32_e32 v51, 0
	v_mov_b32_e32 v53, 0
	;; [unrolled: 1-line block ×8, first 2 shown]
	v_add3_u32 v37, v7, v37, v6
	s_mov_b64 s[16:17], 0
	s_mov_b64 s[18:19], 0
	v_cmp_lt_i64_e32 vcc_lo, 0, v[4:5]
	s_branch .LBB112_7
.LBB112_6:                              ;   in Loop: Header=BB112_7 Depth=2
	s_or_b32 exec_lo, exec_lo, s5
	s_waitcnt lgkmcnt(0)
	s_barrier
	buffer_gl0_inv
	ds_read_b128 v[69:72], v55
	ds_read_b128 v[73:76], v55 offset:16
	ds_read_b128 v[8:11], v55 offset:32
	;; [unrolled: 1-line block ×3, first 2 shown]
	ds_read_b128 v[77:80], v54
	s_add_u32 s18, s18, 32
	s_addc_u32 s19, s19, 0
	s_add_u32 s16, s16, 0x200
	s_addc_u32 s17, s17, 0
	s_cmp_ge_i32 s18, s42
	s_waitcnt lgkmcnt(0)
	v_mul_f64 v[81:82], v[71:72], v[79:80]
	v_mul_f64 v[83:84], v[69:70], v[79:80]
	v_fma_f64 v[81:82], v[69:70], v[77:78], -v[81:82]
	v_fma_f64 v[83:84], v[71:72], v[77:78], v[83:84]
	v_add_f64 v[81:82], v[42:43], v[81:82]
	v_add_f64 v[83:84], v[83:84], v[44:45]
	ds_read_b128 v[42:45], v54 offset:256
	s_waitcnt lgkmcnt(0)
	v_mul_f64 v[85:86], v[71:72], v[44:45]
	v_fma_f64 v[85:86], v[69:70], v[42:43], -v[85:86]
	v_mul_f64 v[69:70], v[69:70], v[44:45]
	v_fma_f64 v[69:70], v[71:72], v[42:43], v[69:70]
	v_add_f64 v[71:72], v[38:39], v[85:86]
	v_add_f64 v[69:70], v[69:70], v[40:41]
	ds_read_b128 v[38:41], v55 offset:8192
	s_waitcnt lgkmcnt(0)
	v_mul_f64 v[85:86], v[40:41], v[79:80]
	v_mul_f64 v[79:80], v[38:39], v[79:80]
	v_fma_f64 v[85:86], v[38:39], v[77:78], -v[85:86]
	v_fma_f64 v[77:78], v[40:41], v[77:78], v[79:80]
	v_add_f64 v[79:80], v[46:47], v[85:86]
	v_mul_f64 v[46:47], v[40:41], v[44:45]
	v_add_f64 v[77:78], v[77:78], v[48:49]
	v_fma_f64 v[46:47], v[38:39], v[42:43], -v[46:47]
	v_mul_f64 v[38:39], v[38:39], v[44:45]
	v_add_f64 v[85:86], v[52:53], v[46:47]
	v_fma_f64 v[38:39], v[40:41], v[42:43], v[38:39]
	ds_read_b128 v[42:45], v54 offset:512
	ds_read_b128 v[46:49], v54 offset:768
	s_waitcnt lgkmcnt(1)
	v_mul_f64 v[40:41], v[73:74], v[44:45]
	v_add_f64 v[87:88], v[38:39], v[50:51]
	v_mul_f64 v[38:39], v[75:76], v[44:45]
	ds_read_b128 v[50:53], v55 offset:8208
	v_fma_f64 v[40:41], v[75:76], v[42:43], v[40:41]
	v_fma_f64 v[38:39], v[73:74], v[42:43], -v[38:39]
	v_add_f64 v[83:84], v[40:41], v[83:84]
	s_waitcnt lgkmcnt(1)
	v_mul_f64 v[40:41], v[73:74], v[48:49]
	v_add_f64 v[81:82], v[81:82], v[38:39]
	v_mul_f64 v[38:39], v[75:76], v[48:49]
	v_fma_f64 v[40:41], v[75:76], v[46:47], v[40:41]
	v_fma_f64 v[38:39], v[73:74], v[46:47], -v[38:39]
	v_add_f64 v[40:41], v[40:41], v[69:70]
	s_waitcnt lgkmcnt(0)
	v_mul_f64 v[69:70], v[52:53], v[44:45]
	v_mul_f64 v[44:45], v[50:51], v[44:45]
	v_add_f64 v[38:39], v[71:72], v[38:39]
	v_fma_f64 v[69:70], v[50:51], v[42:43], -v[69:70]
	v_fma_f64 v[42:43], v[52:53], v[42:43], v[44:45]
	v_mul_f64 v[44:45], v[50:51], v[48:49]
	v_add_f64 v[69:70], v[79:80], v[69:70]
	v_add_f64 v[71:72], v[42:43], v[77:78]
	v_mul_f64 v[42:43], v[52:53], v[48:49]
	v_fma_f64 v[44:45], v[52:53], v[46:47], v[44:45]
	v_fma_f64 v[42:43], v[50:51], v[46:47], -v[42:43]
	v_add_f64 v[52:53], v[44:45], v[87:88]
	v_add_f64 v[50:51], v[85:86], v[42:43]
	ds_read_b128 v[42:45], v54 offset:1024
	s_waitcnt lgkmcnt(0)
	v_mul_f64 v[46:47], v[10:11], v[44:45]
	v_mul_f64 v[48:49], v[8:9], v[44:45]
	v_fma_f64 v[46:47], v[8:9], v[42:43], -v[46:47]
	v_fma_f64 v[48:49], v[10:11], v[42:43], v[48:49]
	v_add_f64 v[73:74], v[81:82], v[46:47]
	v_add_f64 v[75:76], v[48:49], v[83:84]
	ds_read_b128 v[46:49], v54 offset:1280
	s_waitcnt lgkmcnt(0)
	v_mul_f64 v[77:78], v[10:11], v[48:49]
	v_fma_f64 v[77:78], v[8:9], v[46:47], -v[77:78]
	v_mul_f64 v[8:9], v[8:9], v[48:49]
	v_add_f64 v[77:78], v[38:39], v[77:78]
	v_fma_f64 v[8:9], v[10:11], v[46:47], v[8:9]
	v_add_f64 v[79:80], v[8:9], v[40:41]
	ds_read_b128 v[8:11], v55 offset:8224
	s_waitcnt lgkmcnt(0)
	v_mul_f64 v[38:39], v[10:11], v[44:45]
	v_mul_f64 v[40:41], v[8:9], v[44:45]
	v_fma_f64 v[38:39], v[8:9], v[42:43], -v[38:39]
	v_fma_f64 v[40:41], v[10:11], v[42:43], v[40:41]
	v_add_f64 v[42:43], v[69:70], v[38:39]
	v_mul_f64 v[38:39], v[10:11], v[48:49]
	v_add_f64 v[44:45], v[40:41], v[71:72]
	v_fma_f64 v[38:39], v[8:9], v[46:47], -v[38:39]
	v_mul_f64 v[8:9], v[8:9], v[48:49]
	v_fma_f64 v[8:9], v[10:11], v[46:47], v[8:9]
	v_add_f64 v[46:47], v[50:51], v[38:39]
	v_add_f64 v[48:49], v[8:9], v[52:53]
	ds_read_b128 v[8:11], v54 offset:1536
	s_waitcnt lgkmcnt(0)
	v_mul_f64 v[38:39], v[6:7], v[10:11]
	v_mul_f64 v[40:41], v[4:5], v[10:11]
	v_fma_f64 v[38:39], v[4:5], v[8:9], -v[38:39]
	v_fma_f64 v[40:41], v[6:7], v[8:9], v[40:41]
	v_add_f64 v[50:51], v[73:74], v[38:39]
	v_add_f64 v[52:53], v[40:41], v[75:76]
	ds_read_b128 v[38:41], v54 offset:1792
	s_waitcnt lgkmcnt(0)
	v_mul_f64 v[69:70], v[6:7], v[40:41]
	v_fma_f64 v[69:70], v[4:5], v[38:39], -v[69:70]
	v_mul_f64 v[4:5], v[4:5], v[40:41]
	v_add_f64 v[69:70], v[77:78], v[69:70]
	v_fma_f64 v[4:5], v[6:7], v[38:39], v[4:5]
	v_add_f64 v[71:72], v[4:5], v[79:80]
	ds_read_b128 v[4:7], v55 offset:8240
	s_waitcnt lgkmcnt(0)
	v_mul_f64 v[73:74], v[6:7], v[10:11]
	v_mul_f64 v[10:11], v[4:5], v[10:11]
	v_fma_f64 v[73:74], v[4:5], v[8:9], -v[73:74]
	v_fma_f64 v[8:9], v[6:7], v[8:9], v[10:11]
	v_add_f64 v[42:43], v[42:43], v[73:74]
	v_add_f64 v[44:45], v[8:9], v[44:45]
	v_mul_f64 v[8:9], v[6:7], v[40:41]
	v_fma_f64 v[8:9], v[4:5], v[38:39], -v[8:9]
	v_mul_f64 v[4:5], v[4:5], v[40:41]
	v_add_f64 v[46:47], v[46:47], v[8:9]
	v_fma_f64 v[4:5], v[6:7], v[38:39], v[4:5]
	v_add_f64 v[48:49], v[4:5], v[48:49]
	ds_read_b128 v[4:7], v55 offset:64
	ds_read_b128 v[8:11], v54 offset:2048
	s_waitcnt lgkmcnt(0)
	v_mul_f64 v[38:39], v[6:7], v[10:11]
	v_mul_f64 v[40:41], v[4:5], v[10:11]
	v_fma_f64 v[38:39], v[4:5], v[8:9], -v[38:39]
	v_fma_f64 v[40:41], v[6:7], v[8:9], v[40:41]
	v_add_f64 v[50:51], v[50:51], v[38:39]
	v_add_f64 v[52:53], v[40:41], v[52:53]
	ds_read_b128 v[38:41], v54 offset:2304
	s_waitcnt lgkmcnt(0)
	v_mul_f64 v[73:74], v[6:7], v[40:41]
	v_fma_f64 v[73:74], v[4:5], v[38:39], -v[73:74]
	v_mul_f64 v[4:5], v[4:5], v[40:41]
	v_add_f64 v[69:70], v[69:70], v[73:74]
	v_fma_f64 v[4:5], v[6:7], v[38:39], v[4:5]
	v_add_f64 v[71:72], v[4:5], v[71:72]
	ds_read_b128 v[4:7], v55 offset:8256
	s_waitcnt lgkmcnt(0)
	v_mul_f64 v[73:74], v[6:7], v[10:11]
	v_mul_f64 v[10:11], v[4:5], v[10:11]
	v_fma_f64 v[73:74], v[4:5], v[8:9], -v[73:74]
	v_fma_f64 v[8:9], v[6:7], v[8:9], v[10:11]
	v_add_f64 v[42:43], v[42:43], v[73:74]
	v_add_f64 v[44:45], v[8:9], v[44:45]
	v_mul_f64 v[8:9], v[6:7], v[40:41]
	v_fma_f64 v[8:9], v[4:5], v[38:39], -v[8:9]
	v_mul_f64 v[4:5], v[4:5], v[40:41]
	v_add_f64 v[46:47], v[46:47], v[8:9]
	v_fma_f64 v[4:5], v[6:7], v[38:39], v[4:5]
	v_add_f64 v[48:49], v[4:5], v[48:49]
	ds_read_b128 v[4:7], v55 offset:80
	ds_read_b128 v[8:11], v54 offset:2560
	s_waitcnt lgkmcnt(0)
	v_mul_f64 v[38:39], v[6:7], v[10:11]
	v_mul_f64 v[40:41], v[4:5], v[10:11]
	v_fma_f64 v[38:39], v[4:5], v[8:9], -v[38:39]
	v_fma_f64 v[40:41], v[6:7], v[8:9], v[40:41]
	v_add_f64 v[50:51], v[50:51], v[38:39]
	v_add_f64 v[52:53], v[40:41], v[52:53]
	ds_read_b128 v[38:41], v54 offset:2816
	s_waitcnt lgkmcnt(0)
	v_mul_f64 v[73:74], v[6:7], v[40:41]
	v_fma_f64 v[73:74], v[4:5], v[38:39], -v[73:74]
	v_mul_f64 v[4:5], v[4:5], v[40:41]
	v_add_f64 v[69:70], v[69:70], v[73:74]
	v_fma_f64 v[4:5], v[6:7], v[38:39], v[4:5]
	v_add_f64 v[71:72], v[4:5], v[71:72]
	ds_read_b128 v[4:7], v55 offset:8272
	s_waitcnt lgkmcnt(0)
	v_mul_f64 v[73:74], v[6:7], v[10:11]
	v_mul_f64 v[10:11], v[4:5], v[10:11]
	v_fma_f64 v[73:74], v[4:5], v[8:9], -v[73:74]
	v_fma_f64 v[8:9], v[6:7], v[8:9], v[10:11]
	v_add_f64 v[42:43], v[42:43], v[73:74]
	v_add_f64 v[44:45], v[8:9], v[44:45]
	v_mul_f64 v[8:9], v[6:7], v[40:41]
	v_fma_f64 v[8:9], v[4:5], v[38:39], -v[8:9]
	v_mul_f64 v[4:5], v[4:5], v[40:41]
	v_add_f64 v[46:47], v[46:47], v[8:9]
	v_fma_f64 v[4:5], v[6:7], v[38:39], v[4:5]
	v_add_f64 v[48:49], v[4:5], v[48:49]
	ds_read_b128 v[4:7], v55 offset:96
	ds_read_b128 v[8:11], v54 offset:3072
	s_waitcnt lgkmcnt(0)
	v_mul_f64 v[38:39], v[6:7], v[10:11]
	v_mul_f64 v[40:41], v[4:5], v[10:11]
	v_fma_f64 v[38:39], v[4:5], v[8:9], -v[38:39]
	v_fma_f64 v[40:41], v[6:7], v[8:9], v[40:41]
	v_add_f64 v[50:51], v[50:51], v[38:39]
	v_add_f64 v[52:53], v[40:41], v[52:53]
	ds_read_b128 v[38:41], v54 offset:3328
	s_waitcnt lgkmcnt(0)
	v_mul_f64 v[73:74], v[6:7], v[40:41]
	v_fma_f64 v[73:74], v[4:5], v[38:39], -v[73:74]
	v_mul_f64 v[4:5], v[4:5], v[40:41]
	v_add_f64 v[69:70], v[69:70], v[73:74]
	v_fma_f64 v[4:5], v[6:7], v[38:39], v[4:5]
	v_add_f64 v[71:72], v[4:5], v[71:72]
	ds_read_b128 v[4:7], v55 offset:8288
	s_waitcnt lgkmcnt(0)
	v_mul_f64 v[73:74], v[6:7], v[10:11]
	v_mul_f64 v[10:11], v[4:5], v[10:11]
	v_fma_f64 v[73:74], v[4:5], v[8:9], -v[73:74]
	v_fma_f64 v[8:9], v[6:7], v[8:9], v[10:11]
	v_add_f64 v[42:43], v[42:43], v[73:74]
	v_add_f64 v[44:45], v[8:9], v[44:45]
	v_mul_f64 v[8:9], v[6:7], v[40:41]
	v_fma_f64 v[8:9], v[4:5], v[38:39], -v[8:9]
	v_mul_f64 v[4:5], v[4:5], v[40:41]
	v_add_f64 v[46:47], v[46:47], v[8:9]
	v_fma_f64 v[4:5], v[6:7], v[38:39], v[4:5]
	v_add_f64 v[48:49], v[4:5], v[48:49]
	ds_read_b128 v[4:7], v55 offset:112
	ds_read_b128 v[8:11], v54 offset:3584
	s_waitcnt lgkmcnt(0)
	v_mul_f64 v[38:39], v[6:7], v[10:11]
	v_mul_f64 v[40:41], v[4:5], v[10:11]
	v_fma_f64 v[38:39], v[4:5], v[8:9], -v[38:39]
	v_fma_f64 v[40:41], v[6:7], v[8:9], v[40:41]
	v_add_f64 v[50:51], v[50:51], v[38:39]
	v_add_f64 v[52:53], v[40:41], v[52:53]
	ds_read_b128 v[38:41], v54 offset:3840
	s_waitcnt lgkmcnt(0)
	v_mul_f64 v[73:74], v[6:7], v[40:41]
	v_fma_f64 v[73:74], v[4:5], v[38:39], -v[73:74]
	v_mul_f64 v[4:5], v[4:5], v[40:41]
	v_add_f64 v[69:70], v[69:70], v[73:74]
	v_fma_f64 v[4:5], v[6:7], v[38:39], v[4:5]
	v_add_f64 v[71:72], v[4:5], v[71:72]
	ds_read_b128 v[4:7], v55 offset:8304
	s_waitcnt lgkmcnt(0)
	v_mul_f64 v[73:74], v[6:7], v[10:11]
	v_mul_f64 v[10:11], v[4:5], v[10:11]
	v_fma_f64 v[73:74], v[4:5], v[8:9], -v[73:74]
	v_fma_f64 v[8:9], v[6:7], v[8:9], v[10:11]
	v_add_f64 v[42:43], v[42:43], v[73:74]
	v_add_f64 v[44:45], v[8:9], v[44:45]
	v_mul_f64 v[8:9], v[6:7], v[40:41]
	v_fma_f64 v[8:9], v[4:5], v[38:39], -v[8:9]
	v_mul_f64 v[4:5], v[4:5], v[40:41]
	v_add_f64 v[46:47], v[46:47], v[8:9]
	v_fma_f64 v[4:5], v[6:7], v[38:39], v[4:5]
	v_add_f64 v[48:49], v[4:5], v[48:49]
	ds_read_b128 v[4:7], v55 offset:128
	ds_read_b128 v[8:11], v54 offset:4096
	s_waitcnt lgkmcnt(0)
	v_mul_f64 v[38:39], v[6:7], v[10:11]
	v_mul_f64 v[40:41], v[4:5], v[10:11]
	v_fma_f64 v[38:39], v[4:5], v[8:9], -v[38:39]
	v_fma_f64 v[40:41], v[6:7], v[8:9], v[40:41]
	v_add_f64 v[50:51], v[50:51], v[38:39]
	v_add_f64 v[52:53], v[40:41], v[52:53]
	ds_read_b128 v[38:41], v54 offset:4352
	s_waitcnt lgkmcnt(0)
	v_mul_f64 v[73:74], v[6:7], v[40:41]
	v_fma_f64 v[73:74], v[4:5], v[38:39], -v[73:74]
	v_mul_f64 v[4:5], v[4:5], v[40:41]
	v_add_f64 v[69:70], v[69:70], v[73:74]
	v_fma_f64 v[4:5], v[6:7], v[38:39], v[4:5]
	v_add_f64 v[71:72], v[4:5], v[71:72]
	ds_read_b128 v[4:7], v55 offset:8320
	s_waitcnt lgkmcnt(0)
	v_mul_f64 v[73:74], v[6:7], v[10:11]
	v_mul_f64 v[10:11], v[4:5], v[10:11]
	v_fma_f64 v[73:74], v[4:5], v[8:9], -v[73:74]
	v_fma_f64 v[8:9], v[6:7], v[8:9], v[10:11]
	v_add_f64 v[42:43], v[42:43], v[73:74]
	v_add_f64 v[44:45], v[8:9], v[44:45]
	v_mul_f64 v[8:9], v[6:7], v[40:41]
	v_fma_f64 v[8:9], v[4:5], v[38:39], -v[8:9]
	v_mul_f64 v[4:5], v[4:5], v[40:41]
	v_add_f64 v[46:47], v[46:47], v[8:9]
	v_fma_f64 v[4:5], v[6:7], v[38:39], v[4:5]
	v_add_f64 v[48:49], v[4:5], v[48:49]
	ds_read_b128 v[4:7], v55 offset:144
	ds_read_b128 v[8:11], v54 offset:4608
	s_waitcnt lgkmcnt(0)
	v_mul_f64 v[38:39], v[6:7], v[10:11]
	v_mul_f64 v[40:41], v[4:5], v[10:11]
	v_fma_f64 v[38:39], v[4:5], v[8:9], -v[38:39]
	v_fma_f64 v[40:41], v[6:7], v[8:9], v[40:41]
	v_add_f64 v[50:51], v[50:51], v[38:39]
	v_add_f64 v[52:53], v[40:41], v[52:53]
	ds_read_b128 v[38:41], v54 offset:4864
	s_waitcnt lgkmcnt(0)
	v_mul_f64 v[73:74], v[6:7], v[40:41]
	v_fma_f64 v[73:74], v[4:5], v[38:39], -v[73:74]
	v_mul_f64 v[4:5], v[4:5], v[40:41]
	v_add_f64 v[69:70], v[69:70], v[73:74]
	v_fma_f64 v[4:5], v[6:7], v[38:39], v[4:5]
	v_add_f64 v[71:72], v[4:5], v[71:72]
	ds_read_b128 v[4:7], v55 offset:8336
	s_waitcnt lgkmcnt(0)
	v_mul_f64 v[73:74], v[6:7], v[10:11]
	v_mul_f64 v[10:11], v[4:5], v[10:11]
	v_fma_f64 v[73:74], v[4:5], v[8:9], -v[73:74]
	v_fma_f64 v[8:9], v[6:7], v[8:9], v[10:11]
	v_add_f64 v[42:43], v[42:43], v[73:74]
	v_add_f64 v[44:45], v[8:9], v[44:45]
	v_mul_f64 v[8:9], v[6:7], v[40:41]
	v_fma_f64 v[8:9], v[4:5], v[38:39], -v[8:9]
	v_mul_f64 v[4:5], v[4:5], v[40:41]
	v_add_f64 v[46:47], v[46:47], v[8:9]
	v_fma_f64 v[4:5], v[6:7], v[38:39], v[4:5]
	v_add_f64 v[48:49], v[4:5], v[48:49]
	ds_read_b128 v[4:7], v55 offset:160
	ds_read_b128 v[8:11], v54 offset:5120
	s_waitcnt lgkmcnt(0)
	v_mul_f64 v[38:39], v[6:7], v[10:11]
	v_mul_f64 v[40:41], v[4:5], v[10:11]
	v_fma_f64 v[38:39], v[4:5], v[8:9], -v[38:39]
	v_fma_f64 v[40:41], v[6:7], v[8:9], v[40:41]
	v_add_f64 v[50:51], v[50:51], v[38:39]
	v_add_f64 v[52:53], v[40:41], v[52:53]
	ds_read_b128 v[38:41], v54 offset:5376
	s_waitcnt lgkmcnt(0)
	v_mul_f64 v[73:74], v[6:7], v[40:41]
	v_fma_f64 v[73:74], v[4:5], v[38:39], -v[73:74]
	v_mul_f64 v[4:5], v[4:5], v[40:41]
	v_add_f64 v[69:70], v[69:70], v[73:74]
	v_fma_f64 v[4:5], v[6:7], v[38:39], v[4:5]
	v_add_f64 v[71:72], v[4:5], v[71:72]
	ds_read_b128 v[4:7], v55 offset:8352
	s_waitcnt lgkmcnt(0)
	v_mul_f64 v[73:74], v[6:7], v[10:11]
	v_mul_f64 v[10:11], v[4:5], v[10:11]
	v_fma_f64 v[73:74], v[4:5], v[8:9], -v[73:74]
	v_fma_f64 v[8:9], v[6:7], v[8:9], v[10:11]
	v_add_f64 v[42:43], v[42:43], v[73:74]
	v_add_f64 v[44:45], v[8:9], v[44:45]
	v_mul_f64 v[8:9], v[6:7], v[40:41]
	v_fma_f64 v[8:9], v[4:5], v[38:39], -v[8:9]
	v_mul_f64 v[4:5], v[4:5], v[40:41]
	v_add_f64 v[46:47], v[46:47], v[8:9]
	v_fma_f64 v[4:5], v[6:7], v[38:39], v[4:5]
	v_add_f64 v[48:49], v[4:5], v[48:49]
	ds_read_b128 v[4:7], v55 offset:176
	ds_read_b128 v[8:11], v54 offset:5632
	s_waitcnt lgkmcnt(0)
	v_mul_f64 v[38:39], v[6:7], v[10:11]
	v_mul_f64 v[40:41], v[4:5], v[10:11]
	v_fma_f64 v[38:39], v[4:5], v[8:9], -v[38:39]
	v_fma_f64 v[40:41], v[6:7], v[8:9], v[40:41]
	v_add_f64 v[50:51], v[50:51], v[38:39]
	v_add_f64 v[52:53], v[40:41], v[52:53]
	ds_read_b128 v[38:41], v54 offset:5888
	s_waitcnt lgkmcnt(0)
	v_mul_f64 v[73:74], v[6:7], v[40:41]
	v_fma_f64 v[73:74], v[4:5], v[38:39], -v[73:74]
	v_mul_f64 v[4:5], v[4:5], v[40:41]
	v_add_f64 v[69:70], v[69:70], v[73:74]
	v_fma_f64 v[4:5], v[6:7], v[38:39], v[4:5]
	v_add_f64 v[71:72], v[4:5], v[71:72]
	ds_read_b128 v[4:7], v55 offset:8368
	s_waitcnt lgkmcnt(0)
	v_mul_f64 v[73:74], v[6:7], v[10:11]
	v_mul_f64 v[10:11], v[4:5], v[10:11]
	v_fma_f64 v[73:74], v[4:5], v[8:9], -v[73:74]
	v_fma_f64 v[8:9], v[6:7], v[8:9], v[10:11]
	v_add_f64 v[42:43], v[42:43], v[73:74]
	v_add_f64 v[44:45], v[8:9], v[44:45]
	v_mul_f64 v[8:9], v[6:7], v[40:41]
	v_fma_f64 v[8:9], v[4:5], v[38:39], -v[8:9]
	v_mul_f64 v[4:5], v[4:5], v[40:41]
	v_add_f64 v[46:47], v[46:47], v[8:9]
	v_fma_f64 v[4:5], v[6:7], v[38:39], v[4:5]
	v_add_f64 v[48:49], v[4:5], v[48:49]
	ds_read_b128 v[4:7], v55 offset:192
	ds_read_b128 v[8:11], v54 offset:6144
	s_waitcnt lgkmcnt(0)
	v_mul_f64 v[38:39], v[6:7], v[10:11]
	v_mul_f64 v[40:41], v[4:5], v[10:11]
	v_fma_f64 v[38:39], v[4:5], v[8:9], -v[38:39]
	v_fma_f64 v[40:41], v[6:7], v[8:9], v[40:41]
	v_add_f64 v[50:51], v[50:51], v[38:39]
	v_add_f64 v[52:53], v[40:41], v[52:53]
	ds_read_b128 v[38:41], v54 offset:6400
	s_waitcnt lgkmcnt(0)
	v_mul_f64 v[73:74], v[6:7], v[40:41]
	v_fma_f64 v[73:74], v[4:5], v[38:39], -v[73:74]
	v_mul_f64 v[4:5], v[4:5], v[40:41]
	v_add_f64 v[69:70], v[69:70], v[73:74]
	v_fma_f64 v[4:5], v[6:7], v[38:39], v[4:5]
	v_add_f64 v[71:72], v[4:5], v[71:72]
	ds_read_b128 v[4:7], v55 offset:8384
	s_waitcnt lgkmcnt(0)
	v_mul_f64 v[73:74], v[6:7], v[10:11]
	v_mul_f64 v[10:11], v[4:5], v[10:11]
	v_fma_f64 v[73:74], v[4:5], v[8:9], -v[73:74]
	v_fma_f64 v[8:9], v[6:7], v[8:9], v[10:11]
	v_add_f64 v[42:43], v[42:43], v[73:74]
	v_add_f64 v[44:45], v[8:9], v[44:45]
	v_mul_f64 v[8:9], v[6:7], v[40:41]
	v_fma_f64 v[8:9], v[4:5], v[38:39], -v[8:9]
	v_mul_f64 v[4:5], v[4:5], v[40:41]
	v_add_f64 v[46:47], v[46:47], v[8:9]
	v_fma_f64 v[4:5], v[6:7], v[38:39], v[4:5]
	v_add_f64 v[48:49], v[4:5], v[48:49]
	ds_read_b128 v[4:7], v55 offset:208
	ds_read_b128 v[8:11], v54 offset:6656
	s_waitcnt lgkmcnt(0)
	v_mul_f64 v[38:39], v[6:7], v[10:11]
	v_mul_f64 v[40:41], v[4:5], v[10:11]
	v_fma_f64 v[38:39], v[4:5], v[8:9], -v[38:39]
	v_fma_f64 v[40:41], v[6:7], v[8:9], v[40:41]
	v_add_f64 v[50:51], v[50:51], v[38:39]
	v_add_f64 v[52:53], v[40:41], v[52:53]
	ds_read_b128 v[38:41], v54 offset:6912
	s_waitcnt lgkmcnt(0)
	v_mul_f64 v[73:74], v[6:7], v[40:41]
	v_fma_f64 v[73:74], v[4:5], v[38:39], -v[73:74]
	v_mul_f64 v[4:5], v[4:5], v[40:41]
	v_add_f64 v[69:70], v[69:70], v[73:74]
	v_fma_f64 v[4:5], v[6:7], v[38:39], v[4:5]
	v_add_f64 v[71:72], v[4:5], v[71:72]
	ds_read_b128 v[4:7], v55 offset:8400
	s_waitcnt lgkmcnt(0)
	v_mul_f64 v[73:74], v[6:7], v[10:11]
	v_mul_f64 v[10:11], v[4:5], v[10:11]
	v_fma_f64 v[73:74], v[4:5], v[8:9], -v[73:74]
	v_fma_f64 v[8:9], v[6:7], v[8:9], v[10:11]
	v_add_f64 v[42:43], v[42:43], v[73:74]
	v_add_f64 v[44:45], v[8:9], v[44:45]
	v_mul_f64 v[8:9], v[6:7], v[40:41]
	v_fma_f64 v[8:9], v[4:5], v[38:39], -v[8:9]
	v_mul_f64 v[4:5], v[4:5], v[40:41]
	v_add_f64 v[46:47], v[46:47], v[8:9]
	v_fma_f64 v[4:5], v[6:7], v[38:39], v[4:5]
	v_add_f64 v[48:49], v[4:5], v[48:49]
	ds_read_b128 v[4:7], v55 offset:224
	ds_read_b128 v[8:11], v54 offset:7168
	s_waitcnt lgkmcnt(0)
	v_mul_f64 v[38:39], v[6:7], v[10:11]
	v_mul_f64 v[40:41], v[4:5], v[10:11]
	v_fma_f64 v[38:39], v[4:5], v[8:9], -v[38:39]
	v_fma_f64 v[40:41], v[6:7], v[8:9], v[40:41]
	v_add_f64 v[50:51], v[50:51], v[38:39]
	v_add_f64 v[52:53], v[40:41], v[52:53]
	ds_read_b128 v[38:41], v54 offset:7424
	s_waitcnt lgkmcnt(0)
	v_mul_f64 v[73:74], v[6:7], v[40:41]
	v_fma_f64 v[73:74], v[4:5], v[38:39], -v[73:74]
	v_mul_f64 v[4:5], v[4:5], v[40:41]
	v_add_f64 v[69:70], v[69:70], v[73:74]
	v_fma_f64 v[4:5], v[6:7], v[38:39], v[4:5]
	v_add_f64 v[71:72], v[4:5], v[71:72]
	ds_read_b128 v[4:7], v55 offset:8416
	s_waitcnt lgkmcnt(0)
	v_mul_f64 v[73:74], v[6:7], v[10:11]
	v_mul_f64 v[10:11], v[4:5], v[10:11]
	v_fma_f64 v[73:74], v[4:5], v[8:9], -v[73:74]
	v_fma_f64 v[8:9], v[6:7], v[8:9], v[10:11]
	v_add_f64 v[42:43], v[42:43], v[73:74]
	v_add_f64 v[44:45], v[8:9], v[44:45]
	v_mul_f64 v[8:9], v[6:7], v[40:41]
	v_fma_f64 v[8:9], v[4:5], v[38:39], -v[8:9]
	v_mul_f64 v[4:5], v[4:5], v[40:41]
	v_add_f64 v[46:47], v[46:47], v[8:9]
	v_fma_f64 v[4:5], v[6:7], v[38:39], v[4:5]
	v_add_f64 v[48:49], v[4:5], v[48:49]
	ds_read_b128 v[4:7], v55 offset:240
	ds_read_b128 v[8:11], v54 offset:7680
	s_waitcnt lgkmcnt(0)
	v_mul_f64 v[38:39], v[6:7], v[10:11]
	v_mul_f64 v[40:41], v[4:5], v[10:11]
	v_fma_f64 v[38:39], v[4:5], v[8:9], -v[38:39]
	v_fma_f64 v[40:41], v[6:7], v[8:9], v[40:41]
	v_add_f64 v[50:51], v[50:51], v[38:39]
	v_add_f64 v[52:53], v[40:41], v[52:53]
	ds_read_b128 v[38:41], v54 offset:7936
	s_waitcnt lgkmcnt(0)
	v_mul_f64 v[73:74], v[6:7], v[40:41]
	v_fma_f64 v[73:74], v[4:5], v[38:39], -v[73:74]
	v_mul_f64 v[4:5], v[4:5], v[40:41]
	v_add_f64 v[69:70], v[69:70], v[73:74]
	v_fma_f64 v[4:5], v[6:7], v[38:39], v[4:5]
	v_add_f64 v[71:72], v[4:5], v[71:72]
	ds_read_b128 v[4:7], v55 offset:8432
	s_waitcnt lgkmcnt(0)
	v_mul_f64 v[73:74], v[6:7], v[10:11]
	v_mul_f64 v[10:11], v[4:5], v[10:11]
	v_fma_f64 v[73:74], v[4:5], v[8:9], -v[73:74]
	v_fma_f64 v[8:9], v[6:7], v[8:9], v[10:11]
	v_add_f64 v[42:43], v[42:43], v[73:74]
	v_add_f64 v[44:45], v[8:9], v[44:45]
	v_mul_f64 v[8:9], v[6:7], v[40:41]
	v_fma_f64 v[8:9], v[4:5], v[38:39], -v[8:9]
	v_mul_f64 v[4:5], v[4:5], v[40:41]
	v_add_f64 v[46:47], v[46:47], v[8:9]
	v_fma_f64 v[4:5], v[6:7], v[38:39], v[4:5]
	v_add_f64 v[48:49], v[4:5], v[48:49]
	ds_read_b128 v[4:7], v55 offset:256
	ds_read_b128 v[8:11], v54 offset:8192
	s_waitcnt lgkmcnt(0)
	v_mul_f64 v[38:39], v[6:7], v[10:11]
	v_mul_f64 v[40:41], v[4:5], v[10:11]
	v_fma_f64 v[38:39], v[4:5], v[8:9], -v[38:39]
	v_fma_f64 v[40:41], v[6:7], v[8:9], v[40:41]
	v_add_f64 v[50:51], v[50:51], v[38:39]
	v_add_f64 v[52:53], v[40:41], v[52:53]
	ds_read_b128 v[38:41], v54 offset:8448
	s_waitcnt lgkmcnt(0)
	v_mul_f64 v[73:74], v[6:7], v[40:41]
	v_fma_f64 v[73:74], v[4:5], v[38:39], -v[73:74]
	v_mul_f64 v[4:5], v[4:5], v[40:41]
	v_add_f64 v[69:70], v[69:70], v[73:74]
	v_fma_f64 v[4:5], v[6:7], v[38:39], v[4:5]
	v_add_f64 v[71:72], v[4:5], v[71:72]
	ds_read_b128 v[4:7], v55 offset:8448
	s_waitcnt lgkmcnt(0)
	v_mul_f64 v[73:74], v[6:7], v[10:11]
	v_mul_f64 v[10:11], v[4:5], v[10:11]
	v_fma_f64 v[73:74], v[4:5], v[8:9], -v[73:74]
	v_fma_f64 v[8:9], v[6:7], v[8:9], v[10:11]
	v_add_f64 v[42:43], v[42:43], v[73:74]
	v_add_f64 v[44:45], v[8:9], v[44:45]
	v_mul_f64 v[8:9], v[6:7], v[40:41]
	v_fma_f64 v[8:9], v[4:5], v[38:39], -v[8:9]
	v_mul_f64 v[4:5], v[4:5], v[40:41]
	v_add_f64 v[46:47], v[46:47], v[8:9]
	v_fma_f64 v[4:5], v[6:7], v[38:39], v[4:5]
	v_add_f64 v[48:49], v[4:5], v[48:49]
	ds_read_b128 v[4:7], v55 offset:272
	ds_read_b128 v[8:11], v54 offset:8704
	s_waitcnt lgkmcnt(0)
	v_mul_f64 v[38:39], v[6:7], v[10:11]
	v_mul_f64 v[40:41], v[4:5], v[10:11]
	v_fma_f64 v[38:39], v[4:5], v[8:9], -v[38:39]
	v_fma_f64 v[40:41], v[6:7], v[8:9], v[40:41]
	v_add_f64 v[50:51], v[50:51], v[38:39]
	v_add_f64 v[52:53], v[40:41], v[52:53]
	ds_read_b128 v[38:41], v54 offset:8960
	s_waitcnt lgkmcnt(0)
	v_mul_f64 v[73:74], v[6:7], v[40:41]
	v_fma_f64 v[73:74], v[4:5], v[38:39], -v[73:74]
	v_mul_f64 v[4:5], v[4:5], v[40:41]
	v_add_f64 v[69:70], v[69:70], v[73:74]
	v_fma_f64 v[4:5], v[6:7], v[38:39], v[4:5]
	v_add_f64 v[71:72], v[4:5], v[71:72]
	ds_read_b128 v[4:7], v55 offset:8464
	s_waitcnt lgkmcnt(0)
	v_mul_f64 v[73:74], v[6:7], v[10:11]
	v_mul_f64 v[10:11], v[4:5], v[10:11]
	v_fma_f64 v[73:74], v[4:5], v[8:9], -v[73:74]
	v_fma_f64 v[8:9], v[6:7], v[8:9], v[10:11]
	v_add_f64 v[42:43], v[42:43], v[73:74]
	v_add_f64 v[44:45], v[8:9], v[44:45]
	v_mul_f64 v[8:9], v[6:7], v[40:41]
	v_fma_f64 v[8:9], v[4:5], v[38:39], -v[8:9]
	v_mul_f64 v[4:5], v[4:5], v[40:41]
	v_add_f64 v[46:47], v[46:47], v[8:9]
	v_fma_f64 v[4:5], v[6:7], v[38:39], v[4:5]
	v_add_f64 v[48:49], v[4:5], v[48:49]
	ds_read_b128 v[4:7], v55 offset:288
	ds_read_b128 v[8:11], v54 offset:9216
	s_waitcnt lgkmcnt(0)
	v_mul_f64 v[38:39], v[6:7], v[10:11]
	v_mul_f64 v[40:41], v[4:5], v[10:11]
	v_fma_f64 v[38:39], v[4:5], v[8:9], -v[38:39]
	v_fma_f64 v[40:41], v[6:7], v[8:9], v[40:41]
	v_add_f64 v[50:51], v[50:51], v[38:39]
	v_add_f64 v[52:53], v[40:41], v[52:53]
	ds_read_b128 v[38:41], v54 offset:9472
	s_waitcnt lgkmcnt(0)
	v_mul_f64 v[73:74], v[6:7], v[40:41]
	v_fma_f64 v[73:74], v[4:5], v[38:39], -v[73:74]
	v_mul_f64 v[4:5], v[4:5], v[40:41]
	v_add_f64 v[69:70], v[69:70], v[73:74]
	v_fma_f64 v[4:5], v[6:7], v[38:39], v[4:5]
	v_add_f64 v[71:72], v[4:5], v[71:72]
	ds_read_b128 v[4:7], v55 offset:8480
	s_waitcnt lgkmcnt(0)
	v_mul_f64 v[73:74], v[6:7], v[10:11]
	v_mul_f64 v[10:11], v[4:5], v[10:11]
	v_fma_f64 v[73:74], v[4:5], v[8:9], -v[73:74]
	v_fma_f64 v[8:9], v[6:7], v[8:9], v[10:11]
	v_add_f64 v[42:43], v[42:43], v[73:74]
	v_add_f64 v[44:45], v[8:9], v[44:45]
	v_mul_f64 v[8:9], v[6:7], v[40:41]
	v_fma_f64 v[8:9], v[4:5], v[38:39], -v[8:9]
	v_mul_f64 v[4:5], v[4:5], v[40:41]
	v_add_f64 v[46:47], v[46:47], v[8:9]
	v_fma_f64 v[4:5], v[6:7], v[38:39], v[4:5]
	v_add_f64 v[48:49], v[4:5], v[48:49]
	ds_read_b128 v[4:7], v55 offset:304
	ds_read_b128 v[8:11], v54 offset:9728
	s_waitcnt lgkmcnt(0)
	v_mul_f64 v[38:39], v[6:7], v[10:11]
	v_mul_f64 v[40:41], v[4:5], v[10:11]
	v_fma_f64 v[38:39], v[4:5], v[8:9], -v[38:39]
	v_fma_f64 v[40:41], v[6:7], v[8:9], v[40:41]
	v_add_f64 v[50:51], v[50:51], v[38:39]
	v_add_f64 v[52:53], v[40:41], v[52:53]
	ds_read_b128 v[38:41], v54 offset:9984
	s_waitcnt lgkmcnt(0)
	v_mul_f64 v[73:74], v[6:7], v[40:41]
	v_fma_f64 v[73:74], v[4:5], v[38:39], -v[73:74]
	v_mul_f64 v[4:5], v[4:5], v[40:41]
	v_add_f64 v[69:70], v[69:70], v[73:74]
	v_fma_f64 v[4:5], v[6:7], v[38:39], v[4:5]
	v_add_f64 v[71:72], v[4:5], v[71:72]
	ds_read_b128 v[4:7], v55 offset:8496
	s_waitcnt lgkmcnt(0)
	v_mul_f64 v[73:74], v[6:7], v[10:11]
	v_mul_f64 v[10:11], v[4:5], v[10:11]
	v_fma_f64 v[73:74], v[4:5], v[8:9], -v[73:74]
	v_fma_f64 v[8:9], v[6:7], v[8:9], v[10:11]
	v_add_f64 v[42:43], v[42:43], v[73:74]
	v_add_f64 v[44:45], v[8:9], v[44:45]
	v_mul_f64 v[8:9], v[6:7], v[40:41]
	v_fma_f64 v[8:9], v[4:5], v[38:39], -v[8:9]
	v_mul_f64 v[4:5], v[4:5], v[40:41]
	v_add_f64 v[46:47], v[46:47], v[8:9]
	v_fma_f64 v[4:5], v[6:7], v[38:39], v[4:5]
	v_add_f64 v[48:49], v[4:5], v[48:49]
	ds_read_b128 v[4:7], v55 offset:320
	ds_read_b128 v[8:11], v54 offset:10240
	s_waitcnt lgkmcnt(0)
	v_mul_f64 v[38:39], v[6:7], v[10:11]
	v_mul_f64 v[40:41], v[4:5], v[10:11]
	v_fma_f64 v[38:39], v[4:5], v[8:9], -v[38:39]
	v_fma_f64 v[40:41], v[6:7], v[8:9], v[40:41]
	v_add_f64 v[50:51], v[50:51], v[38:39]
	v_add_f64 v[52:53], v[40:41], v[52:53]
	ds_read_b128 v[38:41], v54 offset:10496
	s_waitcnt lgkmcnt(0)
	v_mul_f64 v[73:74], v[6:7], v[40:41]
	v_fma_f64 v[73:74], v[4:5], v[38:39], -v[73:74]
	v_mul_f64 v[4:5], v[4:5], v[40:41]
	v_add_f64 v[69:70], v[69:70], v[73:74]
	v_fma_f64 v[4:5], v[6:7], v[38:39], v[4:5]
	v_add_f64 v[71:72], v[4:5], v[71:72]
	ds_read_b128 v[4:7], v55 offset:8512
	s_waitcnt lgkmcnt(0)
	v_mul_f64 v[73:74], v[6:7], v[10:11]
	v_mul_f64 v[10:11], v[4:5], v[10:11]
	v_fma_f64 v[73:74], v[4:5], v[8:9], -v[73:74]
	v_fma_f64 v[10:11], v[6:7], v[8:9], v[10:11]
	v_add_f64 v[8:9], v[42:43], v[73:74]
	v_mul_f64 v[42:43], v[6:7], v[40:41]
	v_add_f64 v[10:11], v[10:11], v[44:45]
	v_fma_f64 v[42:43], v[4:5], v[38:39], -v[42:43]
	v_mul_f64 v[4:5], v[4:5], v[40:41]
	v_fma_f64 v[6:7], v[6:7], v[38:39], v[4:5]
	v_add_f64 v[4:5], v[46:47], v[42:43]
	ds_read_b128 v[38:41], v55 offset:336
	ds_read_b128 v[42:45], v54 offset:10752
	v_add_f64 v[6:7], v[6:7], v[48:49]
	s_waitcnt lgkmcnt(0)
	v_mul_f64 v[46:47], v[40:41], v[44:45]
	v_mul_f64 v[48:49], v[38:39], v[44:45]
	v_fma_f64 v[46:47], v[38:39], v[42:43], -v[46:47]
	v_fma_f64 v[48:49], v[40:41], v[42:43], v[48:49]
	v_add_f64 v[50:51], v[50:51], v[46:47]
	v_add_f64 v[52:53], v[48:49], v[52:53]
	ds_read_b128 v[46:49], v54 offset:11008
	s_waitcnt lgkmcnt(0)
	v_mul_f64 v[73:74], v[40:41], v[48:49]
	v_fma_f64 v[73:74], v[38:39], v[46:47], -v[73:74]
	v_mul_f64 v[38:39], v[38:39], v[48:49]
	v_add_f64 v[69:70], v[69:70], v[73:74]
	v_fma_f64 v[38:39], v[40:41], v[46:47], v[38:39]
	v_add_f64 v[71:72], v[38:39], v[71:72]
	ds_read_b128 v[38:41], v55 offset:8528
	s_waitcnt lgkmcnt(0)
	v_mul_f64 v[73:74], v[40:41], v[44:45]
	v_mul_f64 v[44:45], v[38:39], v[44:45]
	v_fma_f64 v[73:74], v[38:39], v[42:43], -v[73:74]
	v_fma_f64 v[42:43], v[40:41], v[42:43], v[44:45]
	v_add_f64 v[44:45], v[8:9], v[73:74]
	v_add_f64 v[42:43], v[42:43], v[10:11]
	v_mul_f64 v[8:9], v[40:41], v[48:49]
	v_mul_f64 v[10:11], v[38:39], v[48:49]
	v_fma_f64 v[8:9], v[38:39], v[46:47], -v[8:9]
	v_fma_f64 v[10:11], v[40:41], v[46:47], v[10:11]
	v_add_f64 v[46:47], v[4:5], v[8:9]
	v_add_f64 v[48:49], v[10:11], v[6:7]
	ds_read_b128 v[4:7], v55 offset:352
	ds_read_b128 v[8:11], v54 offset:11264
	s_waitcnt lgkmcnt(0)
	v_mul_f64 v[38:39], v[6:7], v[10:11]
	v_mul_f64 v[40:41], v[4:5], v[10:11]
	v_fma_f64 v[38:39], v[4:5], v[8:9], -v[38:39]
	v_fma_f64 v[40:41], v[6:7], v[8:9], v[40:41]
	v_add_f64 v[50:51], v[50:51], v[38:39]
	v_add_f64 v[52:53], v[40:41], v[52:53]
	ds_read_b128 v[38:41], v54 offset:11520
	s_waitcnt lgkmcnt(0)
	v_mul_f64 v[73:74], v[6:7], v[40:41]
	v_fma_f64 v[73:74], v[4:5], v[38:39], -v[73:74]
	v_mul_f64 v[4:5], v[4:5], v[40:41]
	v_add_f64 v[69:70], v[69:70], v[73:74]
	v_fma_f64 v[4:5], v[6:7], v[38:39], v[4:5]
	v_add_f64 v[71:72], v[4:5], v[71:72]
	ds_read_b128 v[4:7], v55 offset:8544
	s_waitcnt lgkmcnt(0)
	v_mul_f64 v[73:74], v[6:7], v[10:11]
	v_mul_f64 v[10:11], v[4:5], v[10:11]
	v_fma_f64 v[73:74], v[4:5], v[8:9], -v[73:74]
	v_fma_f64 v[8:9], v[6:7], v[8:9], v[10:11]
	v_add_f64 v[44:45], v[44:45], v[73:74]
	v_add_f64 v[42:43], v[8:9], v[42:43]
	v_mul_f64 v[8:9], v[6:7], v[40:41]
	v_fma_f64 v[8:9], v[4:5], v[38:39], -v[8:9]
	v_mul_f64 v[4:5], v[4:5], v[40:41]
	v_add_f64 v[46:47], v[46:47], v[8:9]
	v_fma_f64 v[4:5], v[6:7], v[38:39], v[4:5]
	v_add_f64 v[48:49], v[4:5], v[48:49]
	ds_read_b128 v[4:7], v55 offset:368
	ds_read_b128 v[8:11], v54 offset:11776
	s_waitcnt lgkmcnt(0)
	v_mul_f64 v[38:39], v[6:7], v[10:11]
	v_mul_f64 v[40:41], v[4:5], v[10:11]
	v_fma_f64 v[38:39], v[4:5], v[8:9], -v[38:39]
	v_fma_f64 v[40:41], v[6:7], v[8:9], v[40:41]
	v_add_f64 v[50:51], v[50:51], v[38:39]
	v_add_f64 v[52:53], v[40:41], v[52:53]
	ds_read_b128 v[38:41], v54 offset:12032
	s_waitcnt lgkmcnt(0)
	v_mul_f64 v[73:74], v[6:7], v[40:41]
	v_fma_f64 v[73:74], v[4:5], v[38:39], -v[73:74]
	v_mul_f64 v[4:5], v[4:5], v[40:41]
	v_add_f64 v[69:70], v[69:70], v[73:74]
	v_fma_f64 v[4:5], v[6:7], v[38:39], v[4:5]
	v_add_f64 v[71:72], v[4:5], v[71:72]
	ds_read_b128 v[4:7], v55 offset:8560
	s_waitcnt lgkmcnt(0)
	v_mul_f64 v[73:74], v[6:7], v[10:11]
	v_mul_f64 v[10:11], v[4:5], v[10:11]
	v_fma_f64 v[73:74], v[4:5], v[8:9], -v[73:74]
	v_fma_f64 v[8:9], v[6:7], v[8:9], v[10:11]
	v_add_f64 v[44:45], v[44:45], v[73:74]
	v_add_f64 v[42:43], v[8:9], v[42:43]
	v_mul_f64 v[8:9], v[6:7], v[40:41]
	v_fma_f64 v[8:9], v[4:5], v[38:39], -v[8:9]
	v_mul_f64 v[4:5], v[4:5], v[40:41]
	v_add_f64 v[46:47], v[46:47], v[8:9]
	v_fma_f64 v[4:5], v[6:7], v[38:39], v[4:5]
	v_add_f64 v[48:49], v[4:5], v[48:49]
	ds_read_b128 v[4:7], v55 offset:384
	ds_read_b128 v[8:11], v54 offset:12288
	s_waitcnt lgkmcnt(0)
	v_mul_f64 v[38:39], v[6:7], v[10:11]
	v_mul_f64 v[40:41], v[4:5], v[10:11]
	v_fma_f64 v[38:39], v[4:5], v[8:9], -v[38:39]
	v_fma_f64 v[40:41], v[6:7], v[8:9], v[40:41]
	v_add_f64 v[50:51], v[50:51], v[38:39]
	v_add_f64 v[52:53], v[40:41], v[52:53]
	ds_read_b128 v[38:41], v54 offset:12544
	s_waitcnt lgkmcnt(0)
	v_mul_f64 v[73:74], v[6:7], v[40:41]
	v_fma_f64 v[73:74], v[4:5], v[38:39], -v[73:74]
	v_mul_f64 v[4:5], v[4:5], v[40:41]
	v_add_f64 v[69:70], v[69:70], v[73:74]
	v_fma_f64 v[4:5], v[6:7], v[38:39], v[4:5]
	v_add_f64 v[71:72], v[4:5], v[71:72]
	ds_read_b128 v[4:7], v55 offset:8576
	s_waitcnt lgkmcnt(0)
	v_mul_f64 v[73:74], v[6:7], v[10:11]
	v_mul_f64 v[10:11], v[4:5], v[10:11]
	v_fma_f64 v[73:74], v[4:5], v[8:9], -v[73:74]
	v_fma_f64 v[8:9], v[6:7], v[8:9], v[10:11]
	v_add_f64 v[44:45], v[44:45], v[73:74]
	v_add_f64 v[42:43], v[8:9], v[42:43]
	v_mul_f64 v[8:9], v[6:7], v[40:41]
	v_fma_f64 v[8:9], v[4:5], v[38:39], -v[8:9]
	v_mul_f64 v[4:5], v[4:5], v[40:41]
	v_add_f64 v[46:47], v[46:47], v[8:9]
	v_fma_f64 v[4:5], v[6:7], v[38:39], v[4:5]
	v_add_f64 v[48:49], v[4:5], v[48:49]
	ds_read_b128 v[4:7], v55 offset:400
	ds_read_b128 v[8:11], v54 offset:12800
	s_waitcnt lgkmcnt(0)
	v_mul_f64 v[38:39], v[6:7], v[10:11]
	v_mul_f64 v[40:41], v[4:5], v[10:11]
	v_fma_f64 v[38:39], v[4:5], v[8:9], -v[38:39]
	v_fma_f64 v[40:41], v[6:7], v[8:9], v[40:41]
	v_add_f64 v[50:51], v[50:51], v[38:39]
	v_add_f64 v[52:53], v[40:41], v[52:53]
	ds_read_b128 v[38:41], v54 offset:13056
	s_waitcnt lgkmcnt(0)
	v_mul_f64 v[73:74], v[6:7], v[40:41]
	v_fma_f64 v[73:74], v[4:5], v[38:39], -v[73:74]
	v_mul_f64 v[4:5], v[4:5], v[40:41]
	v_add_f64 v[69:70], v[69:70], v[73:74]
	v_fma_f64 v[4:5], v[6:7], v[38:39], v[4:5]
	v_add_f64 v[71:72], v[4:5], v[71:72]
	ds_read_b128 v[4:7], v55 offset:8592
	s_waitcnt lgkmcnt(0)
	v_mul_f64 v[73:74], v[6:7], v[10:11]
	v_mul_f64 v[10:11], v[4:5], v[10:11]
	v_fma_f64 v[73:74], v[4:5], v[8:9], -v[73:74]
	v_fma_f64 v[8:9], v[6:7], v[8:9], v[10:11]
	v_add_f64 v[44:45], v[44:45], v[73:74]
	v_add_f64 v[42:43], v[8:9], v[42:43]
	v_mul_f64 v[8:9], v[6:7], v[40:41]
	v_fma_f64 v[8:9], v[4:5], v[38:39], -v[8:9]
	v_mul_f64 v[4:5], v[4:5], v[40:41]
	v_add_f64 v[46:47], v[46:47], v[8:9]
	v_fma_f64 v[4:5], v[6:7], v[38:39], v[4:5]
	v_add_f64 v[48:49], v[4:5], v[48:49]
	ds_read_b128 v[4:7], v55 offset:416
	ds_read_b128 v[8:11], v54 offset:13312
	s_waitcnt lgkmcnt(0)
	v_mul_f64 v[38:39], v[6:7], v[10:11]
	v_mul_f64 v[40:41], v[4:5], v[10:11]
	v_fma_f64 v[38:39], v[4:5], v[8:9], -v[38:39]
	v_fma_f64 v[40:41], v[6:7], v[8:9], v[40:41]
	v_add_f64 v[50:51], v[50:51], v[38:39]
	v_add_f64 v[52:53], v[40:41], v[52:53]
	ds_read_b128 v[38:41], v54 offset:13568
	s_waitcnt lgkmcnt(0)
	v_mul_f64 v[73:74], v[6:7], v[40:41]
	v_fma_f64 v[73:74], v[4:5], v[38:39], -v[73:74]
	v_mul_f64 v[4:5], v[4:5], v[40:41]
	v_add_f64 v[69:70], v[69:70], v[73:74]
	v_fma_f64 v[4:5], v[6:7], v[38:39], v[4:5]
	v_add_f64 v[71:72], v[4:5], v[71:72]
	ds_read_b128 v[4:7], v55 offset:8608
	s_waitcnt lgkmcnt(0)
	v_mul_f64 v[73:74], v[6:7], v[10:11]
	v_mul_f64 v[10:11], v[4:5], v[10:11]
	v_fma_f64 v[73:74], v[4:5], v[8:9], -v[73:74]
	v_fma_f64 v[8:9], v[6:7], v[8:9], v[10:11]
	v_add_f64 v[44:45], v[44:45], v[73:74]
	v_add_f64 v[42:43], v[8:9], v[42:43]
	v_mul_f64 v[8:9], v[6:7], v[40:41]
	v_fma_f64 v[8:9], v[4:5], v[38:39], -v[8:9]
	v_mul_f64 v[4:5], v[4:5], v[40:41]
	v_add_f64 v[46:47], v[46:47], v[8:9]
	v_fma_f64 v[4:5], v[6:7], v[38:39], v[4:5]
	v_add_f64 v[48:49], v[4:5], v[48:49]
	ds_read_b128 v[4:7], v55 offset:432
	ds_read_b128 v[8:11], v54 offset:13824
	s_waitcnt lgkmcnt(0)
	v_mul_f64 v[38:39], v[6:7], v[10:11]
	v_mul_f64 v[40:41], v[4:5], v[10:11]
	v_fma_f64 v[38:39], v[4:5], v[8:9], -v[38:39]
	v_fma_f64 v[40:41], v[6:7], v[8:9], v[40:41]
	v_add_f64 v[50:51], v[50:51], v[38:39]
	v_add_f64 v[52:53], v[40:41], v[52:53]
	ds_read_b128 v[38:41], v54 offset:14080
	s_waitcnt lgkmcnt(0)
	v_mul_f64 v[73:74], v[6:7], v[40:41]
	v_fma_f64 v[73:74], v[4:5], v[38:39], -v[73:74]
	v_mul_f64 v[4:5], v[4:5], v[40:41]
	v_add_f64 v[69:70], v[69:70], v[73:74]
	v_fma_f64 v[4:5], v[6:7], v[38:39], v[4:5]
	v_add_f64 v[71:72], v[4:5], v[71:72]
	ds_read_b128 v[4:7], v55 offset:8624
	s_waitcnt lgkmcnt(0)
	v_mul_f64 v[73:74], v[6:7], v[10:11]
	v_mul_f64 v[10:11], v[4:5], v[10:11]
	v_fma_f64 v[73:74], v[4:5], v[8:9], -v[73:74]
	v_fma_f64 v[8:9], v[6:7], v[8:9], v[10:11]
	v_add_f64 v[44:45], v[44:45], v[73:74]
	v_add_f64 v[42:43], v[8:9], v[42:43]
	v_mul_f64 v[8:9], v[6:7], v[40:41]
	v_fma_f64 v[8:9], v[4:5], v[38:39], -v[8:9]
	v_mul_f64 v[4:5], v[4:5], v[40:41]
	v_add_f64 v[46:47], v[46:47], v[8:9]
	v_fma_f64 v[4:5], v[6:7], v[38:39], v[4:5]
	v_add_f64 v[48:49], v[4:5], v[48:49]
	ds_read_b128 v[4:7], v55 offset:448
	ds_read_b128 v[8:11], v54 offset:14336
	s_waitcnt lgkmcnt(0)
	v_mul_f64 v[38:39], v[6:7], v[10:11]
	v_mul_f64 v[40:41], v[4:5], v[10:11]
	v_fma_f64 v[38:39], v[4:5], v[8:9], -v[38:39]
	v_fma_f64 v[40:41], v[6:7], v[8:9], v[40:41]
	v_add_f64 v[50:51], v[50:51], v[38:39]
	v_add_f64 v[52:53], v[40:41], v[52:53]
	ds_read_b128 v[38:41], v54 offset:14592
	s_waitcnt lgkmcnt(0)
	v_mul_f64 v[73:74], v[6:7], v[40:41]
	v_fma_f64 v[73:74], v[4:5], v[38:39], -v[73:74]
	v_mul_f64 v[4:5], v[4:5], v[40:41]
	v_add_f64 v[69:70], v[69:70], v[73:74]
	v_fma_f64 v[4:5], v[6:7], v[38:39], v[4:5]
	v_add_f64 v[71:72], v[4:5], v[71:72]
	ds_read_b128 v[4:7], v55 offset:8640
	s_waitcnt lgkmcnt(0)
	v_mul_f64 v[73:74], v[6:7], v[10:11]
	v_mul_f64 v[10:11], v[4:5], v[10:11]
	v_fma_f64 v[73:74], v[4:5], v[8:9], -v[73:74]
	v_fma_f64 v[8:9], v[6:7], v[8:9], v[10:11]
	v_add_f64 v[73:74], v[44:45], v[73:74]
	v_add_f64 v[75:76], v[8:9], v[42:43]
	v_mul_f64 v[8:9], v[6:7], v[40:41]
	v_fma_f64 v[8:9], v[4:5], v[38:39], -v[8:9]
	v_mul_f64 v[4:5], v[4:5], v[40:41]
	v_fma_f64 v[6:7], v[6:7], v[38:39], v[4:5]
	v_add_f64 v[4:5], v[46:47], v[8:9]
	ds_read_b128 v[8:11], v55 offset:464
	ds_read_b128 v[38:41], v54 offset:14848
	s_waitcnt lgkmcnt(0)
	v_mul_f64 v[42:43], v[10:11], v[40:41]
	v_mul_f64 v[44:45], v[8:9], v[40:41]
	v_add_f64 v[6:7], v[6:7], v[48:49]
	v_fma_f64 v[42:43], v[8:9], v[38:39], -v[42:43]
	v_fma_f64 v[44:45], v[10:11], v[38:39], v[44:45]
	v_add_f64 v[46:47], v[50:51], v[42:43]
	v_add_f64 v[48:49], v[44:45], v[52:53]
	ds_read_b128 v[42:45], v54 offset:15104
	s_waitcnt lgkmcnt(0)
	v_mul_f64 v[50:51], v[10:11], v[44:45]
	v_fma_f64 v[50:51], v[8:9], v[42:43], -v[50:51]
	v_mul_f64 v[8:9], v[8:9], v[44:45]
	v_add_f64 v[50:51], v[69:70], v[50:51]
	v_fma_f64 v[8:9], v[10:11], v[42:43], v[8:9]
	v_add_f64 v[52:53], v[8:9], v[71:72]
	ds_read_b128 v[8:11], v55 offset:8656
	s_waitcnt lgkmcnt(0)
	v_mul_f64 v[69:70], v[10:11], v[40:41]
	v_mul_f64 v[40:41], v[8:9], v[40:41]
	v_fma_f64 v[69:70], v[8:9], v[38:39], -v[69:70]
	v_fma_f64 v[38:39], v[10:11], v[38:39], v[40:41]
	v_add_f64 v[69:70], v[73:74], v[69:70]
	v_add_f64 v[71:72], v[38:39], v[75:76]
	v_mul_f64 v[38:39], v[10:11], v[44:45]
	v_fma_f64 v[38:39], v[8:9], v[42:43], -v[38:39]
	v_mul_f64 v[8:9], v[8:9], v[44:45]
	v_fma_f64 v[8:9], v[10:11], v[42:43], v[8:9]
	v_add_f64 v[42:43], v[4:5], v[38:39]
	v_add_f64 v[44:45], v[8:9], v[6:7]
	ds_read_b128 v[4:7], v55 offset:480
	ds_read_b128 v[8:11], v54 offset:15360
	s_waitcnt lgkmcnt(0)
	v_mul_f64 v[38:39], v[6:7], v[10:11]
	v_mul_f64 v[40:41], v[4:5], v[10:11]
	v_fma_f64 v[38:39], v[4:5], v[8:9], -v[38:39]
	v_fma_f64 v[40:41], v[6:7], v[8:9], v[40:41]
	v_add_f64 v[73:74], v[46:47], v[38:39]
	v_add_f64 v[75:76], v[40:41], v[48:49]
	ds_read_b128 v[38:41], v54 offset:15616
	s_waitcnt lgkmcnt(0)
	v_mul_f64 v[46:47], v[6:7], v[40:41]
	v_fma_f64 v[46:47], v[4:5], v[38:39], -v[46:47]
	v_mul_f64 v[4:5], v[4:5], v[40:41]
	v_add_f64 v[77:78], v[50:51], v[46:47]
	v_fma_f64 v[4:5], v[6:7], v[38:39], v[4:5]
	v_add_f64 v[79:80], v[4:5], v[52:53]
	ds_read_b128 v[4:7], v55 offset:8672
	s_waitcnt lgkmcnt(0)
	v_mul_f64 v[46:47], v[6:7], v[10:11]
	v_mul_f64 v[10:11], v[4:5], v[10:11]
	v_fma_f64 v[46:47], v[4:5], v[8:9], -v[46:47]
	v_fma_f64 v[8:9], v[6:7], v[8:9], v[10:11]
	v_add_f64 v[81:82], v[69:70], v[46:47]
	v_add_f64 v[83:84], v[8:9], v[71:72]
	v_mul_f64 v[8:9], v[6:7], v[40:41]
	v_fma_f64 v[8:9], v[4:5], v[38:39], -v[8:9]
	v_mul_f64 v[4:5], v[4:5], v[40:41]
	v_fma_f64 v[6:7], v[6:7], v[38:39], v[4:5]
	v_add_f64 v[4:5], v[42:43], v[8:9]
	ds_read_b128 v[8:11], v55 offset:496
	ds_read_b128 v[46:49], v54 offset:15872
	;; [unrolled: 1-line block ×4, first 2 shown]
	s_waitcnt lgkmcnt(0)
	s_barrier
	buffer_gl0_inv
	v_mul_f64 v[38:39], v[10:11], v[48:49]
	v_mul_f64 v[40:41], v[8:9], v[48:49]
	v_add_f64 v[6:7], v[6:7], v[44:45]
	v_fma_f64 v[38:39], v[8:9], v[46:47], -v[38:39]
	v_fma_f64 v[40:41], v[10:11], v[46:47], v[40:41]
	v_add_f64 v[42:43], v[73:74], v[38:39]
	v_mul_f64 v[38:39], v[10:11], v[52:53]
	v_add_f64 v[44:45], v[40:41], v[75:76]
	v_fma_f64 v[38:39], v[8:9], v[50:51], -v[38:39]
	v_mul_f64 v[8:9], v[8:9], v[52:53]
	v_add_f64 v[38:39], v[77:78], v[38:39]
	v_fma_f64 v[8:9], v[10:11], v[50:51], v[8:9]
	v_mul_f64 v[10:11], v[69:70], v[48:49]
	v_add_f64 v[40:41], v[8:9], v[79:80]
	v_mul_f64 v[8:9], v[71:72], v[48:49]
	v_fma_f64 v[10:11], v[71:72], v[46:47], v[10:11]
	v_fma_f64 v[8:9], v[69:70], v[46:47], -v[8:9]
	v_add_f64 v[48:49], v[10:11], v[83:84]
	v_mul_f64 v[10:11], v[69:70], v[52:53]
	v_add_f64 v[46:47], v[81:82], v[8:9]
	v_mul_f64 v[8:9], v[71:72], v[52:53]
	v_fma_f64 v[10:11], v[71:72], v[50:51], v[10:11]
	v_fma_f64 v[8:9], v[69:70], v[50:51], -v[8:9]
	v_add_f64 v[50:51], v[10:11], v[6:7]
	v_add_f64 v[52:53], v[4:5], v[8:9]
	s_cbranch_scc1 .LBB112_56
.LBB112_7:                              ;   Parent Loop BB112_4 Depth=1
                                        ; =>  This Inner Loop Header: Depth=2
	v_add_co_u32 v8, s5, v12, s18
	v_add_co_ci_u32_e64 v9, null, s19, v13, s5
	v_cmp_eq_u64_e64 s8, s[18:19], v[20:21]
	v_cmp_le_i64_e64 s6, s[10:11], v[8:9]
	v_cmp_lt_i64_e64 s5, v[8:9], v[14:15]
	s_and_b32 s21, s28, s8
	v_add_co_u32 v6, s8, v63, s16
	v_add_co_ci_u32_e64 v7, null, s17, v64, s8
	s_or_b32 s9, s6, s5
	s_or_b32 s8, s9, s21
	s_nor_b32 s8, s0, s8
	s_and_saveexec_b32 s9, s8
	s_xor_b32 s8, exec_lo, s9
	s_cbranch_execz .LBB112_9
; %bb.8:                                ;   in Loop: Header=BB112_7 Depth=2
	global_load_dwordx4 v[69:72], v[6:7], off offset:-256
	s_waitcnt vmcnt(0)
	ds_write2_b64 v56, v[69:70], v[71:72] offset1:1
.LBB112_9:                              ;   in Loop: Header=BB112_7 Depth=2
	s_or_saveexec_b32 s8, s8
	s_xor_b32 s20, s21, -1
	s_xor_b32 exec_lo, exec_lo, s8
	s_cbranch_execz .LBB112_15
; %bb.10:                               ;   in Loop: Header=BB112_7 Depth=2
	s_and_saveexec_b32 s9, s20
	s_xor_b32 s9, exec_lo, s9
	s_cbranch_execz .LBB112_12
; %bb.11:                               ;   in Loop: Header=BB112_7 Depth=2
	v_mov_b32_e32 v69, v2
	v_mov_b32_e32 v70, v2
	;; [unrolled: 1-line block ×4, first 2 shown]
	ds_write_b128 v56, v[69:72]
.LBB112_12:                             ;   in Loop: Header=BB112_7 Depth=2
	s_andn2_saveexec_b32 s9, s9
; %bb.13:                               ;   in Loop: Header=BB112_7 Depth=2
	v_mov_b32_e32 v4, v2
	v_mov_b32_e32 v5, v2
	ds_write_b128 v56, v[2:5]
; %bb.14:                               ;   in Loop: Header=BB112_7 Depth=2
	s_or_b32 exec_lo, exec_lo, s9
.LBB112_15:                             ;   in Loop: Header=BB112_7 Depth=2
	s_or_b32 exec_lo, exec_lo, s8
	v_cmp_eq_u64_e64 s8, s[18:19], v[22:23]
	v_cmp_gt_i64_e64 s9, v[18:19], v[8:9]
	s_and_b32 s8, s28, s8
	s_or_b32 s6, s6, s9
	s_or_b32 s6, s6, s8
	s_nor_b32 s6, s3, s6
	s_and_saveexec_b32 s9, s6
	s_xor_b32 s9, exec_lo, s9
	s_cbranch_execz .LBB112_17
; %bb.16:                               ;   in Loop: Header=BB112_7 Depth=2
	v_add_co_u32 v4, s6, v65, s16
	v_add_co_ci_u32_e64 v5, null, s17, v66, s6
	global_load_dwordx4 v[69:72], v[4:5], off
	s_waitcnt vmcnt(0)
	ds_write2_b64 v58, v[69:70], v[71:72] offset1:1
.LBB112_17:                             ;   in Loop: Header=BB112_7 Depth=2
	s_andn2_saveexec_b32 s6, s9
	s_cbranch_execz .LBB112_23
; %bb.18:                               ;   in Loop: Header=BB112_7 Depth=2
	s_xor_b32 s8, s8, -1
	s_and_saveexec_b32 s9, s8
	s_xor_b32 s8, exec_lo, s9
	s_cbranch_execz .LBB112_20
; %bb.19:                               ;   in Loop: Header=BB112_7 Depth=2
	v_mov_b32_e32 v69, v2
	v_mov_b32_e32 v70, v2
	;; [unrolled: 1-line block ×4, first 2 shown]
	ds_write_b128 v56, v[69:72] offset:256
.LBB112_20:                             ;   in Loop: Header=BB112_7 Depth=2
	s_andn2_saveexec_b32 s8, s8
; %bb.21:                               ;   in Loop: Header=BB112_7 Depth=2
	v_mov_b32_e32 v4, v2
	v_mov_b32_e32 v5, v2
	ds_write_b128 v56, v[2:5] offset:256
; %bb.22:                               ;   in Loop: Header=BB112_7 Depth=2
	s_or_b32 exec_lo, exec_lo, s8
.LBB112_23:                             ;   in Loop: Header=BB112_7 Depth=2
	s_or_b32 exec_lo, exec_lo, s6
	v_add_co_u32 v4, s6, v8, 16
	v_add_co_ci_u32_e64 v5, null, 0, v9, s6
	v_cmp_eq_u64_e64 s8, s[18:19], v[24:25]
	v_cmp_le_i64_e64 s6, s[10:11], v[4:5]
	v_cmp_lt_i64_e64 s9, v[4:5], v[14:15]
	s_and_b32 s23, s28, s8
	s_or_b32 s8, s6, s9
	s_or_b32 s8, s8, s23
	s_nor_b32 s8, s0, s8
	s_and_saveexec_b32 s9, s8
	s_xor_b32 s8, exec_lo, s9
	s_cbranch_execz .LBB112_25
; %bb.24:                               ;   in Loop: Header=BB112_7 Depth=2
	global_load_dwordx4 v[4:7], v[6:7], off
	s_waitcnt vmcnt(0)
	ds_write2_b64 v59, v[4:5], v[6:7] offset1:1
.LBB112_25:                             ;   in Loop: Header=BB112_7 Depth=2
	s_andn2_saveexec_b32 s8, s8
	s_cbranch_execz .LBB112_31
; %bb.26:                               ;   in Loop: Header=BB112_7 Depth=2
	s_xor_b32 s9, s23, -1
	s_and_saveexec_b32 s23, s9
	s_xor_b32 s9, exec_lo, s23
	s_cbranch_execz .LBB112_28
; %bb.27:                               ;   in Loop: Header=BB112_7 Depth=2
	v_mov_b32_e32 v4, v2
	v_mov_b32_e32 v5, v2
	;; [unrolled: 1-line block ×4, first 2 shown]
	ds_write_b128 v56, v[4:7] offset:8192
.LBB112_28:                             ;   in Loop: Header=BB112_7 Depth=2
	s_andn2_saveexec_b32 s9, s9
; %bb.29:                               ;   in Loop: Header=BB112_7 Depth=2
	v_mov_b32_e32 v4, v2
	v_mov_b32_e32 v5, v2
	ds_write_b128 v56, v[2:5] offset:8192
; %bb.30:                               ;   in Loop: Header=BB112_7 Depth=2
	s_or_b32 exec_lo, exec_lo, s9
.LBB112_31:                             ;   in Loop: Header=BB112_7 Depth=2
	s_or_b32 exec_lo, exec_lo, s8
	s_or_b32 s5, s6, s5
	s_or_b32 s5, s5, s21
	s_nor_b32 s5, s3, s5
	s_and_saveexec_b32 s6, s5
	s_xor_b32 s6, exec_lo, s6
	s_cbranch_execz .LBB112_33
; %bb.32:                               ;   in Loop: Header=BB112_7 Depth=2
	v_add_co_u32 v4, s5, v65, s16
	v_add_co_ci_u32_e64 v5, null, s17, v66, s5
	global_load_dwordx4 v[4:7], v[4:5], off offset:256
	s_waitcnt vmcnt(0)
	ds_write2_b64 v60, v[4:5], v[6:7] offset1:1
.LBB112_33:                             ;   in Loop: Header=BB112_7 Depth=2
	s_andn2_saveexec_b32 s5, s6
	s_cbranch_execz .LBB112_39
; %bb.34:                               ;   in Loop: Header=BB112_7 Depth=2
	s_and_saveexec_b32 s6, s20
	s_xor_b32 s6, exec_lo, s6
	s_cbranch_execz .LBB112_36
; %bb.35:                               ;   in Loop: Header=BB112_7 Depth=2
	v_mov_b32_e32 v4, v2
	v_mov_b32_e32 v5, v2
	;; [unrolled: 1-line block ×4, first 2 shown]
	ds_write_b128 v56, v[4:7] offset:8448
.LBB112_36:                             ;   in Loop: Header=BB112_7 Depth=2
	s_andn2_saveexec_b32 s6, s6
; %bb.37:                               ;   in Loop: Header=BB112_7 Depth=2
	v_mov_b32_e32 v4, v2
	v_mov_b32_e32 v5, v2
	ds_write_b128 v56, v[2:5] offset:8448
; %bb.38:                               ;   in Loop: Header=BB112_7 Depth=2
	s_or_b32 exec_lo, exec_lo, s6
.LBB112_39:                             ;   in Loop: Header=BB112_7 Depth=2
	s_or_b32 exec_lo, exec_lo, s5
	v_add_co_u32 v4, s5, v14, s18
	v_add_co_ci_u32_e64 v5, null, s19, v15, s5
	v_cmp_gt_i64_e64 s5, s[10:11], v[4:5]
	s_and_b32 s6, vcc_lo, s5
	s_xor_b32 s6, s6, -1
	s_and_saveexec_b32 s8, s6
	s_xor_b32 s6, exec_lo, s8
	s_cbranch_execz .LBB112_41
; %bb.40:                               ;   in Loop: Header=BB112_7 Depth=2
	v_mov_b32_e32 v6, v2
	v_mov_b32_e32 v7, v2
	;; [unrolled: 1-line block ×4, first 2 shown]
	ds_write_b128 v57, v[6:9]
.LBB112_41:                             ;   in Loop: Header=BB112_7 Depth=2
	s_or_saveexec_b32 s8, s6
	v_add_co_u32 v6, s6, v34, s16
	v_add_co_ci_u32_e64 v7, null, s17, v35, s6
	s_xor_b32 exec_lo, exec_lo, s8
	s_cbranch_execz .LBB112_43
; %bb.42:                               ;   in Loop: Header=BB112_7 Depth=2
	global_load_dwordx4 v[8:11], v[6:7], off offset:-256
	s_waitcnt vmcnt(0)
	ds_write2_b64 v57, v[8:9], v[10:11] offset1:1
.LBB112_43:                             ;   in Loop: Header=BB112_7 Depth=2
	s_or_b32 exec_lo, exec_lo, s8
	v_cmp_gt_i64_e64 s6, s[34:35], v[4:5]
	s_and_b32 s8, vcc_lo, s6
	s_xor_b32 s8, s8, -1
	s_and_saveexec_b32 s9, s8
	s_xor_b32 s8, exec_lo, s9
	s_cbranch_execz .LBB112_45
; %bb.44:                               ;   in Loop: Header=BB112_7 Depth=2
	v_mov_b32_e32 v4, v2
	v_mov_b32_e32 v5, v2
	;; [unrolled: 1-line block ×4, first 2 shown]
	ds_write_b128 v57, v[4:7] offset:256
                                        ; implicit-def: $vgpr6_vgpr7
.LBB112_45:                             ;   in Loop: Header=BB112_7 Depth=2
	s_andn2_saveexec_b32 s8, s8
	s_cbranch_execz .LBB112_47
; %bb.46:                               ;   in Loop: Header=BB112_7 Depth=2
	global_load_dwordx4 v[4:7], v[6:7], off
	s_waitcnt vmcnt(0)
	ds_write2_b64 v61, v[4:5], v[6:7] offset1:1
.LBB112_47:                             ;   in Loop: Header=BB112_7 Depth=2
	s_or_b32 exec_lo, exec_lo, s8
	s_and_b32 s5, s4, s5
	s_xor_b32 s5, s5, -1
	s_and_saveexec_b32 s8, s5
	s_xor_b32 s5, exec_lo, s8
	s_cbranch_execz .LBB112_49
; %bb.48:                               ;   in Loop: Header=BB112_7 Depth=2
	v_mov_b32_e32 v4, v2
	v_mov_b32_e32 v5, v2
	;; [unrolled: 1-line block ×4, first 2 shown]
	ds_write_b128 v57, v[4:7] offset:8192
.LBB112_49:                             ;   in Loop: Header=BB112_7 Depth=2
	s_or_saveexec_b32 s8, s5
	v_add_co_u32 v4, s5, v36, s16
	v_add_co_ci_u32_e64 v5, null, s17, v37, s5
	s_xor_b32 exec_lo, exec_lo, s8
	s_cbranch_execz .LBB112_51
; %bb.50:                               ;   in Loop: Header=BB112_7 Depth=2
	global_load_dwordx4 v[6:9], v[4:5], off
	s_waitcnt vmcnt(0)
	ds_write2_b64 v62, v[6:7], v[8:9] offset1:1
.LBB112_51:                             ;   in Loop: Header=BB112_7 Depth=2
	s_or_b32 exec_lo, exec_lo, s8
	s_and_b32 s5, s4, s6
	s_xor_b32 s5, s5, -1
	s_and_saveexec_b32 s6, s5
	s_xor_b32 s5, exec_lo, s6
	s_cbranch_execz .LBB112_53
; %bb.52:                               ;   in Loop: Header=BB112_7 Depth=2
	v_mov_b32_e32 v4, v2
	v_mov_b32_e32 v5, v2
	;; [unrolled: 1-line block ×4, first 2 shown]
	ds_write_b128 v57, v[4:7] offset:8448
                                        ; implicit-def: $vgpr4_vgpr5
.LBB112_53:                             ;   in Loop: Header=BB112_7 Depth=2
	s_andn2_saveexec_b32 s5, s5
	s_cbranch_execz .LBB112_6
; %bb.54:                               ;   in Loop: Header=BB112_7 Depth=2
	global_load_dwordx4 v[4:7], v[4:5], off offset:256
	s_waitcnt vmcnt(0)
	ds_write2_b64 v0, v[4:5], v[6:7] offset1:1
	s_branch .LBB112_6
.LBB112_55:                             ;   in Loop: Header=BB112_4 Depth=1
	v_mov_b32_e32 v42, 0
	v_mov_b32_e32 v44, 0
	v_mov_b32_e32 v38, 0
	v_mov_b32_e32 v40, 0
	v_mov_b32_e32 v46, 0
	v_mov_b32_e32 v48, 0
	v_mov_b32_e32 v52, 0
	v_mov_b32_e32 v50, 0
	v_mov_b32_e32 v43, 0
	v_mov_b32_e32 v45, 0
	v_mov_b32_e32 v39, 0
	v_mov_b32_e32 v41, 0
	v_mov_b32_e32 v47, 0
	v_mov_b32_e32 v49, 0
	v_mov_b32_e32 v53, 0
	v_mov_b32_e32 v51, 0
.LBB112_56:                             ;   in Loop: Header=BB112_4 Depth=1
	v_mul_lo_u32 v6, s45, v67
	v_mul_lo_u32 v7, s44, v68
	v_mad_u64_u32 v[4:5], null, s44, v67, 0
	v_cmp_gt_i32_e32 vcc_lo, s30, v67
	v_add3_u32 v5, v5, v7, v6
	v_lshlrev_b64 v[4:5], 4, v[4:5]
	v_add_co_u32 v4, s4, s40, v4
	v_add_co_ci_u32_e64 v5, null, s41, v5, s4
	s_and_b32 s4, s1, vcc_lo
	s_and_saveexec_b32 s5, s4
	s_cbranch_execz .LBB112_58
; %bb.57:                               ;   in Loop: Header=BB112_4 Depth=1
	v_add_co_u32 v10, s4, v4, v26
	v_add_co_ci_u32_e64 v11, null, v5, v27, s4
	v_mul_f64 v[33:34], s[14:15], v[44:45]
	v_mul_f64 v[35:36], s[12:13], v[44:45]
	global_load_dwordx4 v[6:9], v[10:11], off
	v_fma_f64 v[33:34], s[12:13], v[42:43], -v[33:34]
	v_fma_f64 v[35:36], s[14:15], v[42:43], v[35:36]
	s_waitcnt vmcnt(0)
	v_add_f64 v[6:7], v[6:7], v[33:34]
	v_add_f64 v[8:9], v[35:36], v[8:9]
	global_store_dwordx4 v[10:11], v[6:9], off
.LBB112_58:                             ;   in Loop: Header=BB112_4 Depth=1
	s_or_b32 exec_lo, exec_lo, s5
	s_and_b32 s5, s2, vcc_lo
	s_and_saveexec_b32 s4, s5
	s_cbranch_execz .LBB112_60
; %bb.59:                               ;   in Loop: Header=BB112_4 Depth=1
	v_lshlrev_b64 v[6:7], 4, v[16:17]
	v_mul_f64 v[10:11], s[14:15], v[40:41]
	v_mul_f64 v[33:34], s[12:13], v[40:41]
	v_add_co_u32 v8, vcc_lo, v4, v6
	v_add_co_ci_u32_e64 v9, null, v5, v7, vcc_lo
	global_load_dwordx4 v[4:7], v[8:9], off
	v_fma_f64 v[10:11], s[12:13], v[38:39], -v[10:11]
	v_fma_f64 v[33:34], s[14:15], v[38:39], v[33:34]
	s_waitcnt vmcnt(0)
	v_add_f64 v[4:5], v[4:5], v[10:11]
	v_add_f64 v[6:7], v[33:34], v[6:7]
	global_store_dwordx4 v[8:9], v[4:7], off
.LBB112_60:                             ;   in Loop: Header=BB112_4 Depth=1
	s_or_b32 exec_lo, exec_lo, s4
	v_add_nc_u32_e32 v6, 16, v67
	v_ashrrev_i32_e32 v7, 31, v6
	v_mul_lo_u32 v8, s45, v6
	v_mad_u64_u32 v[4:5], null, s44, v6, 0
	v_cmp_gt_i32_e32 vcc_lo, s30, v6
	v_mul_lo_u32 v7, s44, v7
	v_add3_u32 v5, v5, v7, v8
	v_lshlrev_b64 v[4:5], 4, v[4:5]
	v_add_co_u32 v4, s4, s40, v4
	v_add_co_ci_u32_e64 v5, null, s41, v5, s4
	s_and_b32 s4, s1, vcc_lo
	s_and_saveexec_b32 s5, s4
	s_cbranch_execz .LBB112_62
; %bb.61:                               ;   in Loop: Header=BB112_4 Depth=1
	v_add_co_u32 v10, s4, v4, v26
	v_add_co_ci_u32_e64 v11, null, v5, v27, s4
	v_mul_f64 v[33:34], s[14:15], v[48:49]
	v_mul_f64 v[35:36], s[12:13], v[48:49]
	global_load_dwordx4 v[6:9], v[10:11], off
	v_fma_f64 v[33:34], s[12:13], v[46:47], -v[33:34]
	v_fma_f64 v[35:36], s[14:15], v[46:47], v[35:36]
	s_waitcnt vmcnt(0)
	v_add_f64 v[6:7], v[6:7], v[33:34]
	v_add_f64 v[8:9], v[35:36], v[8:9]
	global_store_dwordx4 v[10:11], v[6:9], off
.LBB112_62:                             ;   in Loop: Header=BB112_4 Depth=1
	s_or_b32 exec_lo, exec_lo, s5
	s_and_b32 s5, s2, vcc_lo
	s_and_saveexec_b32 s4, s5
	s_cbranch_execz .LBB112_3
; %bb.63:                               ;   in Loop: Header=BB112_4 Depth=1
	v_lshlrev_b64 v[6:7], 4, v[16:17]
	v_mul_f64 v[10:11], s[14:15], v[50:51]
	v_mul_f64 v[33:34], s[12:13], v[50:51]
	v_add_co_u32 v8, vcc_lo, v4, v6
	v_add_co_ci_u32_e64 v9, null, v5, v7, vcc_lo
	global_load_dwordx4 v[4:7], v[8:9], off
	v_fma_f64 v[10:11], s[12:13], v[52:53], -v[10:11]
	v_fma_f64 v[33:34], s[14:15], v[52:53], v[33:34]
	s_waitcnt vmcnt(0)
	v_add_f64 v[4:5], v[4:5], v[10:11]
	v_add_f64 v[6:7], v[33:34], v[6:7]
	global_store_dwordx4 v[8:9], v[4:7], off
	s_branch .LBB112_3
.LBB112_64:
	s_endpgm
	.section	.rodata,"a",@progbits
	.p2align	6, 0x0
	.amdhsa_kernel _ZL30rocblas_trmm_outofplace_kernelI19rocblas_complex_numIdELi32ELi2ELb1ELb0ELb1ELb0EPKS1_S2_S1_Ev17rocblas_diagonal_iiT6_lPT7_lllS7_lllPT8_llli
		.amdhsa_group_segment_fixed_size 32768
		.amdhsa_private_segment_fixed_size 0
		.amdhsa_kernarg_size 392
		.amdhsa_user_sgpr_count 6
		.amdhsa_user_sgpr_private_segment_buffer 1
		.amdhsa_user_sgpr_dispatch_ptr 0
		.amdhsa_user_sgpr_queue_ptr 0
		.amdhsa_user_sgpr_kernarg_segment_ptr 1
		.amdhsa_user_sgpr_dispatch_id 0
		.amdhsa_user_sgpr_flat_scratch_init 0
		.amdhsa_user_sgpr_private_segment_size 0
		.amdhsa_wavefront_size32 1
		.amdhsa_uses_dynamic_stack 0
		.amdhsa_system_sgpr_private_segment_wavefront_offset 0
		.amdhsa_system_sgpr_workgroup_id_x 1
		.amdhsa_system_sgpr_workgroup_id_y 1
		.amdhsa_system_sgpr_workgroup_id_z 1
		.amdhsa_system_sgpr_workgroup_info 0
		.amdhsa_system_vgpr_workitem_id 1
		.amdhsa_next_free_vgpr 89
		.amdhsa_next_free_sgpr 48
		.amdhsa_reserve_vcc 1
		.amdhsa_reserve_flat_scratch 0
		.amdhsa_float_round_mode_32 0
		.amdhsa_float_round_mode_16_64 0
		.amdhsa_float_denorm_mode_32 3
		.amdhsa_float_denorm_mode_16_64 3
		.amdhsa_dx10_clamp 1
		.amdhsa_ieee_mode 1
		.amdhsa_fp16_overflow 0
		.amdhsa_workgroup_processor_mode 1
		.amdhsa_memory_ordered 1
		.amdhsa_forward_progress 1
		.amdhsa_shared_vgpr_count 0
		.amdhsa_exception_fp_ieee_invalid_op 0
		.amdhsa_exception_fp_denorm_src 0
		.amdhsa_exception_fp_ieee_div_zero 0
		.amdhsa_exception_fp_ieee_overflow 0
		.amdhsa_exception_fp_ieee_underflow 0
		.amdhsa_exception_fp_ieee_inexact 0
		.amdhsa_exception_int_div_zero 0
	.end_amdhsa_kernel
	.section	.text._ZL30rocblas_trmm_outofplace_kernelI19rocblas_complex_numIdELi32ELi2ELb1ELb0ELb1ELb0EPKS1_S2_S1_Ev17rocblas_diagonal_iiT6_lPT7_lllS7_lllPT8_llli,"axG",@progbits,_ZL30rocblas_trmm_outofplace_kernelI19rocblas_complex_numIdELi32ELi2ELb1ELb0ELb1ELb0EPKS1_S2_S1_Ev17rocblas_diagonal_iiT6_lPT7_lllS7_lllPT8_llli,comdat
.Lfunc_end112:
	.size	_ZL30rocblas_trmm_outofplace_kernelI19rocblas_complex_numIdELi32ELi2ELb1ELb0ELb1ELb0EPKS1_S2_S1_Ev17rocblas_diagonal_iiT6_lPT7_lllS7_lllPT8_llli, .Lfunc_end112-_ZL30rocblas_trmm_outofplace_kernelI19rocblas_complex_numIdELi32ELi2ELb1ELb0ELb1ELb0EPKS1_S2_S1_Ev17rocblas_diagonal_iiT6_lPT7_lllS7_lllPT8_llli
                                        ; -- End function
	.set _ZL30rocblas_trmm_outofplace_kernelI19rocblas_complex_numIdELi32ELi2ELb1ELb0ELb1ELb0EPKS1_S2_S1_Ev17rocblas_diagonal_iiT6_lPT7_lllS7_lllPT8_llli.num_vgpr, 89
	.set _ZL30rocblas_trmm_outofplace_kernelI19rocblas_complex_numIdELi32ELi2ELb1ELb0ELb1ELb0EPKS1_S2_S1_Ev17rocblas_diagonal_iiT6_lPT7_lllS7_lllPT8_llli.num_agpr, 0
	.set _ZL30rocblas_trmm_outofplace_kernelI19rocblas_complex_numIdELi32ELi2ELb1ELb0ELb1ELb0EPKS1_S2_S1_Ev17rocblas_diagonal_iiT6_lPT7_lllS7_lllPT8_llli.numbered_sgpr, 48
	.set _ZL30rocblas_trmm_outofplace_kernelI19rocblas_complex_numIdELi32ELi2ELb1ELb0ELb1ELb0EPKS1_S2_S1_Ev17rocblas_diagonal_iiT6_lPT7_lllS7_lllPT8_llli.num_named_barrier, 0
	.set _ZL30rocblas_trmm_outofplace_kernelI19rocblas_complex_numIdELi32ELi2ELb1ELb0ELb1ELb0EPKS1_S2_S1_Ev17rocblas_diagonal_iiT6_lPT7_lllS7_lllPT8_llli.private_seg_size, 0
	.set _ZL30rocblas_trmm_outofplace_kernelI19rocblas_complex_numIdELi32ELi2ELb1ELb0ELb1ELb0EPKS1_S2_S1_Ev17rocblas_diagonal_iiT6_lPT7_lllS7_lllPT8_llli.uses_vcc, 1
	.set _ZL30rocblas_trmm_outofplace_kernelI19rocblas_complex_numIdELi32ELi2ELb1ELb0ELb1ELb0EPKS1_S2_S1_Ev17rocblas_diagonal_iiT6_lPT7_lllS7_lllPT8_llli.uses_flat_scratch, 0
	.set _ZL30rocblas_trmm_outofplace_kernelI19rocblas_complex_numIdELi32ELi2ELb1ELb0ELb1ELb0EPKS1_S2_S1_Ev17rocblas_diagonal_iiT6_lPT7_lllS7_lllPT8_llli.has_dyn_sized_stack, 0
	.set _ZL30rocblas_trmm_outofplace_kernelI19rocblas_complex_numIdELi32ELi2ELb1ELb0ELb1ELb0EPKS1_S2_S1_Ev17rocblas_diagonal_iiT6_lPT7_lllS7_lllPT8_llli.has_recursion, 0
	.set _ZL30rocblas_trmm_outofplace_kernelI19rocblas_complex_numIdELi32ELi2ELb1ELb0ELb1ELb0EPKS1_S2_S1_Ev17rocblas_diagonal_iiT6_lPT7_lllS7_lllPT8_llli.has_indirect_call, 0
	.section	.AMDGPU.csdata,"",@progbits
; Kernel info:
; codeLenInByte = 10244
; TotalNumSgprs: 50
; NumVgprs: 89
; ScratchSize: 0
; MemoryBound: 0
; FloatMode: 240
; IeeeMode: 1
; LDSByteSize: 32768 bytes/workgroup (compile time only)
; SGPRBlocks: 0
; VGPRBlocks: 11
; NumSGPRsForWavesPerEU: 50
; NumVGPRsForWavesPerEU: 89
; Occupancy: 10
; WaveLimiterHint : 0
; COMPUTE_PGM_RSRC2:SCRATCH_EN: 0
; COMPUTE_PGM_RSRC2:USER_SGPR: 6
; COMPUTE_PGM_RSRC2:TRAP_HANDLER: 0
; COMPUTE_PGM_RSRC2:TGID_X_EN: 1
; COMPUTE_PGM_RSRC2:TGID_Y_EN: 1
; COMPUTE_PGM_RSRC2:TGID_Z_EN: 1
; COMPUTE_PGM_RSRC2:TIDIG_COMP_CNT: 1
	.section	.text._ZL30rocblas_trmm_outofplace_kernelI19rocblas_complex_numIdELi32ELi2ELb1ELb0ELb1ELb0ES1_KS1_S1_Ev17rocblas_diagonal_iiT6_lPT7_lllS6_lllPT8_llli,"axG",@progbits,_ZL30rocblas_trmm_outofplace_kernelI19rocblas_complex_numIdELi32ELi2ELb1ELb0ELb1ELb0ES1_KS1_S1_Ev17rocblas_diagonal_iiT6_lPT7_lllS6_lllPT8_llli,comdat
	.globl	_ZL30rocblas_trmm_outofplace_kernelI19rocblas_complex_numIdELi32ELi2ELb1ELb0ELb1ELb0ES1_KS1_S1_Ev17rocblas_diagonal_iiT6_lPT7_lllS6_lllPT8_llli ; -- Begin function _ZL30rocblas_trmm_outofplace_kernelI19rocblas_complex_numIdELi32ELi2ELb1ELb0ELb1ELb0ES1_KS1_S1_Ev17rocblas_diagonal_iiT6_lPT7_lllS6_lllPT8_llli
	.p2align	8
	.type	_ZL30rocblas_trmm_outofplace_kernelI19rocblas_complex_numIdELi32ELi2ELb1ELb0ELb1ELb0ES1_KS1_S1_Ev17rocblas_diagonal_iiT6_lPT7_lllS6_lllPT8_llli,@function
_ZL30rocblas_trmm_outofplace_kernelI19rocblas_complex_numIdELi32ELi2ELb1ELb0ELb1ELb0ES1_KS1_S1_Ev17rocblas_diagonal_iiT6_lPT7_lllS6_lllPT8_llli: ; @_ZL30rocblas_trmm_outofplace_kernelI19rocblas_complex_numIdELi32ELi2ELb1ELb0ELb1ELb0ES1_KS1_S1_Ev17rocblas_diagonal_iiT6_lPT7_lllS6_lllPT8_llli
; %bb.0:
	s_load_dwordx4 s[28:31], s[4:5], 0x10
	s_waitcnt lgkmcnt(0)
	v_cmp_eq_f64_e64 s0, s[28:29], 0
	v_cmp_eq_f64_e64 s1, s[30:31], 0
	s_and_b32 s0, s0, s1
	s_and_b32 vcc_lo, exec_lo, s0
	s_cbranch_vccnz .LBB113_64
; %bb.1:
	s_load_dwordx4 s[44:47], s[4:5], 0x0
	s_waitcnt lgkmcnt(0)
	s_add_i32 s0, s46, -1
	s_ashr_i32 s1, s0, 31
	s_lshr_b32 s1, s1, 27
	s_add_i32 s0, s0, s1
	s_ashr_i32 s33, s0, 5
	s_cmp_gt_i32 s7, s33
	s_cbranch_scc1 .LBB113_64
; %bb.2:
	s_clause 0x1
	s_load_dwordx8 s[36:43], s[4:5], 0x68
	s_load_dwordx16 s[12:27], s[4:5], 0x28
	v_lshlrev_b32_e32 v2, 9, v1
	v_lshlrev_b32_e32 v54, 4, v0
	s_load_dword s47, s[4:5], 0x94
	s_mov_b32 s10, s45
	v_lshl_add_u32 v32, s7, 5, v1
	v_add_nc_u32_e32 v55, 0x4000, v2
	v_add_nc_u32_e32 v56, v54, v2
	;; [unrolled: 1-line block ×8, first 2 shown]
	s_waitcnt lgkmcnt(0)
	s_mul_i32 s1, s43, s8
	s_mul_hi_u32 s2, s42, s8
	s_mul_i32 s0, s42, s8
	s_add_i32 s1, s2, s1
	s_mul_i32 s4, s27, s8
	s_lshl_b64 s[0:1], s[0:1], 4
	s_mul_hi_u32 s5, s26, s8
	s_add_u32 s2, s36, s0
	s_addc_u32 s3, s37, s1
	s_lshl_b64 s[0:1], s[38:39], 4
	s_add_u32 s36, s2, s0
	s_addc_u32 s37, s3, s1
	s_lshl_b32 s0, s6, 5
	v_add_nc_u32_e32 v14, s0, v0
	v_add_nc_u32_e32 v12, s0, v1
	s_sub_i32 s38, s45, s0
	v_add_nc_u32_e32 v0, 0x2100, v57
	s_cmp_gt_i32 s38, 0
	v_ashrrev_i32_e32 v15, 31, v14
	s_cselect_b32 s39, -1, 0
	s_cmpk_eq_i32 s44, 0x84
	v_ashrrev_i32_e32 v13, 31, v12
	v_add_co_u32 v18, vcc_lo, v14, 16
	s_cselect_b32 s42, -1, 0
	s_ashr_i32 s11, s45, 31
	s_ashr_i32 s43, s46, 31
	v_add_co_ci_u32_e64 v19, null, 0, v15, vcc_lo
	s_add_u32 s34, s45, -16
	v_sub_co_u32 v20, vcc_lo, v14, v12
	s_addc_u32 s35, s11, -1
	s_add_i32 s5, s5, s4
	s_mul_i32 s4, s26, s8
	v_sub_co_ci_u32_e64 v21, null, v15, v13, vcc_lo
	s_lshl_b64 s[4:5], s[4:5], 4
	s_lshl_b64 s[22:23], s[22:23], 4
	v_lshlrev_b64 v[26:27], 4, v[14:15]
	v_mul_lo_u32 v4, s16, v15
	v_mul_lo_u32 v5, s17, v14
	v_mad_u64_u32 v[2:3], null, s16, v14, 0
	v_add_co_u32 v22, vcc_lo, v20, 16
	s_add_u32 s4, s4, s22
	s_addc_u32 s5, s5, s23
	v_add_co_ci_u32_e64 v23, null, 0, v21, vcc_lo
	v_add_co_u32 v24, vcc_lo, v20, -16
	s_add_u32 s4, s20, s4
	v_add_co_ci_u32_e64 v25, null, -1, v21, vcc_lo
	s_addc_u32 s5, s21, s5
	v_add_co_u32 v28, vcc_lo, s4, v26
	v_add_co_ci_u32_e64 v29, null, s5, v27, vcc_lo
	v_add3_u32 v3, v3, v4, v5
	v_add_co_u32 v30, vcc_lo, 0x100, v28
	s_mul_i32 s4, s19, s8
	s_mul_hi_u32 s5, s18, s8
	v_add_co_ci_u32_e64 v31, null, 0, v29, vcc_lo
	s_add_i32 s5, s5, s4
	s_mul_i32 s4, s18, s8
	v_lshlrev_b64 v[2:3], 4, v[2:3]
	v_add_co_u32 v8, vcc_lo, 0x100, v26
	s_lshl_b64 s[4:5], s[4:5], 4
	s_lshl_b64 s[8:9], s[14:15], 4
	v_add_co_ci_u32_e64 v9, null, 0, v27, vcc_lo
	s_lshl_b64 s[20:21], s[24:25], 4
	s_lshl_b32 s18, s47, 5
	s_add_u32 s4, s8, s4
	s_addc_u32 s5, s9, s5
	v_lshlrev_b64 v[4:5], 4, v[12:13]
	v_add_co_u32 v2, vcc_lo, s4, v2
	v_mad_u64_u32 v[6:7], null, s16, v8, s[4:5]
	v_mul_lo_u32 v9, s16, v9
	v_mul_lo_u32 v8, s17, v8
	v_add_co_ci_u32_e64 v3, null, s5, v3, vcc_lo
	v_add_co_u32 v2, vcc_lo, v2, v4
	v_add_nc_u32_e32 v16, 16, v14
	v_add_co_ci_u32_e64 v3, null, v3, v5, vcc_lo
	v_add3_u32 v7, v8, v7, v9
	v_add_co_u32 v2, vcc_lo, s12, v2
	v_add_co_ci_u32_e64 v3, null, s13, v3, vcc_lo
	v_add_co_u32 v4, vcc_lo, v6, v4
	v_add_co_ci_u32_e64 v5, null, v7, v5, vcc_lo
	;; [unrolled: 2-line block ×3, first 2 shown]
	v_add_co_u32 v65, vcc_lo, s12, v4
	v_cmp_le_i64_e64 s3, s[10:11], v[18:19]
	v_cmp_le_i32_e64 s0, s45, v14
	v_cmp_gt_i32_e64 s1, s45, v14
	v_cmp_gt_i32_e64 s2, s45, v16
	v_ashrrev_i32_e32 v17, 31, v16
	v_add_co_ci_u32_e64 v66, null, s13, v5, vcc_lo
	v_mov_b32_e32 v2, 0
	v_mov_b32_e32 v3, 0x3ff00000
	s_branch .LBB113_4
.LBB113_3:                              ;   in Loop: Header=BB113_4 Depth=1
	s_or_b32 exec_lo, exec_lo, s4
	v_add_nc_u32_e32 v32, s18, v32
	s_add_i32 s7, s47, s7
	s_cmp_le_i32 s7, s33
	s_cbranch_scc0 .LBB113_64
.LBB113_4:                              ; =>This Loop Header: Depth=1
                                        ;     Child Loop BB113_7 Depth 2
	v_lshl_add_u32 v67, s7, 5, v1
	s_andn2_b32 vcc_lo, exec_lo, s39
	v_ashrrev_i32_e32 v68, 31, v67
	s_cbranch_vccnz .LBB113_55
; %bb.5:                                ;   in Loop: Header=BB113_4 Depth=1
	v_ashrrev_i32_e32 v33, 31, v32
	v_mad_u64_u32 v[34:35], null, s20, v32, v[30:31]
	v_mul_lo_u32 v6, s21, v32
	v_mov_b32_e32 v50, 0
	v_lshlrev_b64 v[4:5], 4, v[32:33]
	v_mul_lo_u32 v7, s20, v33
	v_mov_b32_e32 v52, 0
	v_mov_b32_e32 v48, 0
	;; [unrolled: 1-line block ×4, first 2 shown]
	v_add_co_u32 v8, vcc_lo, 0x100, v4
	v_add_co_ci_u32_e64 v9, null, 0, v5, vcc_lo
	v_sub_co_u32 v4, vcc_lo, s46, v67
	v_add3_u32 v35, v6, v35, v7
	v_mul_lo_u32 v6, s24, v9
	v_mul_lo_u32 v7, s25, v8
	v_mad_u64_u32 v[36:37], null, s24, v8, v[28:29]
	v_sub_co_ci_u32_e64 v5, null, s43, v68, vcc_lo
	v_mov_b32_e32 v38, 0
	v_mov_b32_e32 v44, 0
	;; [unrolled: 1-line block ×3, first 2 shown]
	v_cmp_lt_i64_e64 s4, 16, v[4:5]
	v_mov_b32_e32 v51, 0
	v_mov_b32_e32 v53, 0
	;; [unrolled: 1-line block ×8, first 2 shown]
	v_add3_u32 v37, v7, v37, v6
	s_mov_b64 s[12:13], 0
	s_mov_b64 s[14:15], 0
	v_cmp_lt_i64_e32 vcc_lo, 0, v[4:5]
	s_branch .LBB113_7
.LBB113_6:                              ;   in Loop: Header=BB113_7 Depth=2
	s_or_b32 exec_lo, exec_lo, s5
	s_waitcnt lgkmcnt(0)
	s_barrier
	buffer_gl0_inv
	ds_read_b128 v[69:72], v55
	ds_read_b128 v[73:76], v55 offset:16
	ds_read_b128 v[8:11], v55 offset:32
	;; [unrolled: 1-line block ×3, first 2 shown]
	ds_read_b128 v[77:80], v54
	s_add_u32 s14, s14, 32
	s_addc_u32 s15, s15, 0
	s_add_u32 s12, s12, 0x200
	s_addc_u32 s13, s13, 0
	s_cmp_ge_i32 s14, s38
	s_waitcnt lgkmcnt(0)
	v_mul_f64 v[81:82], v[71:72], v[79:80]
	v_mul_f64 v[83:84], v[69:70], v[79:80]
	v_fma_f64 v[81:82], v[69:70], v[77:78], -v[81:82]
	v_fma_f64 v[83:84], v[71:72], v[77:78], v[83:84]
	v_add_f64 v[81:82], v[42:43], v[81:82]
	v_add_f64 v[83:84], v[83:84], v[44:45]
	ds_read_b128 v[42:45], v54 offset:256
	s_waitcnt lgkmcnt(0)
	v_mul_f64 v[85:86], v[71:72], v[44:45]
	v_fma_f64 v[85:86], v[69:70], v[42:43], -v[85:86]
	v_mul_f64 v[69:70], v[69:70], v[44:45]
	v_fma_f64 v[69:70], v[71:72], v[42:43], v[69:70]
	v_add_f64 v[71:72], v[38:39], v[85:86]
	v_add_f64 v[69:70], v[69:70], v[40:41]
	ds_read_b128 v[38:41], v55 offset:8192
	s_waitcnt lgkmcnt(0)
	v_mul_f64 v[85:86], v[40:41], v[79:80]
	v_mul_f64 v[79:80], v[38:39], v[79:80]
	v_fma_f64 v[85:86], v[38:39], v[77:78], -v[85:86]
	v_fma_f64 v[77:78], v[40:41], v[77:78], v[79:80]
	v_add_f64 v[79:80], v[46:47], v[85:86]
	v_mul_f64 v[46:47], v[40:41], v[44:45]
	v_add_f64 v[77:78], v[77:78], v[48:49]
	v_fma_f64 v[46:47], v[38:39], v[42:43], -v[46:47]
	v_mul_f64 v[38:39], v[38:39], v[44:45]
	v_add_f64 v[85:86], v[52:53], v[46:47]
	v_fma_f64 v[38:39], v[40:41], v[42:43], v[38:39]
	ds_read_b128 v[42:45], v54 offset:512
	ds_read_b128 v[46:49], v54 offset:768
	s_waitcnt lgkmcnt(1)
	v_mul_f64 v[40:41], v[73:74], v[44:45]
	v_add_f64 v[87:88], v[38:39], v[50:51]
	v_mul_f64 v[38:39], v[75:76], v[44:45]
	ds_read_b128 v[50:53], v55 offset:8208
	v_fma_f64 v[40:41], v[75:76], v[42:43], v[40:41]
	v_fma_f64 v[38:39], v[73:74], v[42:43], -v[38:39]
	v_add_f64 v[83:84], v[40:41], v[83:84]
	s_waitcnt lgkmcnt(1)
	v_mul_f64 v[40:41], v[73:74], v[48:49]
	v_add_f64 v[81:82], v[81:82], v[38:39]
	v_mul_f64 v[38:39], v[75:76], v[48:49]
	v_fma_f64 v[40:41], v[75:76], v[46:47], v[40:41]
	v_fma_f64 v[38:39], v[73:74], v[46:47], -v[38:39]
	v_add_f64 v[40:41], v[40:41], v[69:70]
	s_waitcnt lgkmcnt(0)
	v_mul_f64 v[69:70], v[52:53], v[44:45]
	v_mul_f64 v[44:45], v[50:51], v[44:45]
	v_add_f64 v[38:39], v[71:72], v[38:39]
	v_fma_f64 v[69:70], v[50:51], v[42:43], -v[69:70]
	v_fma_f64 v[42:43], v[52:53], v[42:43], v[44:45]
	v_mul_f64 v[44:45], v[50:51], v[48:49]
	v_add_f64 v[69:70], v[79:80], v[69:70]
	v_add_f64 v[71:72], v[42:43], v[77:78]
	v_mul_f64 v[42:43], v[52:53], v[48:49]
	v_fma_f64 v[44:45], v[52:53], v[46:47], v[44:45]
	v_fma_f64 v[42:43], v[50:51], v[46:47], -v[42:43]
	v_add_f64 v[52:53], v[44:45], v[87:88]
	v_add_f64 v[50:51], v[85:86], v[42:43]
	ds_read_b128 v[42:45], v54 offset:1024
	s_waitcnt lgkmcnt(0)
	v_mul_f64 v[46:47], v[10:11], v[44:45]
	v_mul_f64 v[48:49], v[8:9], v[44:45]
	v_fma_f64 v[46:47], v[8:9], v[42:43], -v[46:47]
	v_fma_f64 v[48:49], v[10:11], v[42:43], v[48:49]
	v_add_f64 v[73:74], v[81:82], v[46:47]
	v_add_f64 v[75:76], v[48:49], v[83:84]
	ds_read_b128 v[46:49], v54 offset:1280
	s_waitcnt lgkmcnt(0)
	v_mul_f64 v[77:78], v[10:11], v[48:49]
	v_fma_f64 v[77:78], v[8:9], v[46:47], -v[77:78]
	v_mul_f64 v[8:9], v[8:9], v[48:49]
	v_add_f64 v[77:78], v[38:39], v[77:78]
	v_fma_f64 v[8:9], v[10:11], v[46:47], v[8:9]
	v_add_f64 v[79:80], v[8:9], v[40:41]
	ds_read_b128 v[8:11], v55 offset:8224
	s_waitcnt lgkmcnt(0)
	v_mul_f64 v[38:39], v[10:11], v[44:45]
	v_mul_f64 v[40:41], v[8:9], v[44:45]
	v_fma_f64 v[38:39], v[8:9], v[42:43], -v[38:39]
	v_fma_f64 v[40:41], v[10:11], v[42:43], v[40:41]
	v_add_f64 v[42:43], v[69:70], v[38:39]
	v_mul_f64 v[38:39], v[10:11], v[48:49]
	v_add_f64 v[44:45], v[40:41], v[71:72]
	v_fma_f64 v[38:39], v[8:9], v[46:47], -v[38:39]
	v_mul_f64 v[8:9], v[8:9], v[48:49]
	v_fma_f64 v[8:9], v[10:11], v[46:47], v[8:9]
	v_add_f64 v[46:47], v[50:51], v[38:39]
	v_add_f64 v[48:49], v[8:9], v[52:53]
	ds_read_b128 v[8:11], v54 offset:1536
	s_waitcnt lgkmcnt(0)
	v_mul_f64 v[38:39], v[6:7], v[10:11]
	v_mul_f64 v[40:41], v[4:5], v[10:11]
	v_fma_f64 v[38:39], v[4:5], v[8:9], -v[38:39]
	v_fma_f64 v[40:41], v[6:7], v[8:9], v[40:41]
	v_add_f64 v[50:51], v[73:74], v[38:39]
	v_add_f64 v[52:53], v[40:41], v[75:76]
	ds_read_b128 v[38:41], v54 offset:1792
	s_waitcnt lgkmcnt(0)
	v_mul_f64 v[69:70], v[6:7], v[40:41]
	v_fma_f64 v[69:70], v[4:5], v[38:39], -v[69:70]
	v_mul_f64 v[4:5], v[4:5], v[40:41]
	v_add_f64 v[69:70], v[77:78], v[69:70]
	v_fma_f64 v[4:5], v[6:7], v[38:39], v[4:5]
	v_add_f64 v[71:72], v[4:5], v[79:80]
	ds_read_b128 v[4:7], v55 offset:8240
	s_waitcnt lgkmcnt(0)
	v_mul_f64 v[73:74], v[6:7], v[10:11]
	v_mul_f64 v[10:11], v[4:5], v[10:11]
	v_fma_f64 v[73:74], v[4:5], v[8:9], -v[73:74]
	v_fma_f64 v[8:9], v[6:7], v[8:9], v[10:11]
	v_add_f64 v[42:43], v[42:43], v[73:74]
	v_add_f64 v[44:45], v[8:9], v[44:45]
	v_mul_f64 v[8:9], v[6:7], v[40:41]
	v_fma_f64 v[8:9], v[4:5], v[38:39], -v[8:9]
	v_mul_f64 v[4:5], v[4:5], v[40:41]
	v_add_f64 v[46:47], v[46:47], v[8:9]
	v_fma_f64 v[4:5], v[6:7], v[38:39], v[4:5]
	v_add_f64 v[48:49], v[4:5], v[48:49]
	ds_read_b128 v[4:7], v55 offset:64
	ds_read_b128 v[8:11], v54 offset:2048
	s_waitcnt lgkmcnt(0)
	v_mul_f64 v[38:39], v[6:7], v[10:11]
	v_mul_f64 v[40:41], v[4:5], v[10:11]
	v_fma_f64 v[38:39], v[4:5], v[8:9], -v[38:39]
	v_fma_f64 v[40:41], v[6:7], v[8:9], v[40:41]
	v_add_f64 v[50:51], v[50:51], v[38:39]
	v_add_f64 v[52:53], v[40:41], v[52:53]
	ds_read_b128 v[38:41], v54 offset:2304
	s_waitcnt lgkmcnt(0)
	v_mul_f64 v[73:74], v[6:7], v[40:41]
	v_fma_f64 v[73:74], v[4:5], v[38:39], -v[73:74]
	v_mul_f64 v[4:5], v[4:5], v[40:41]
	v_add_f64 v[69:70], v[69:70], v[73:74]
	v_fma_f64 v[4:5], v[6:7], v[38:39], v[4:5]
	v_add_f64 v[71:72], v[4:5], v[71:72]
	ds_read_b128 v[4:7], v55 offset:8256
	s_waitcnt lgkmcnt(0)
	v_mul_f64 v[73:74], v[6:7], v[10:11]
	v_mul_f64 v[10:11], v[4:5], v[10:11]
	v_fma_f64 v[73:74], v[4:5], v[8:9], -v[73:74]
	v_fma_f64 v[8:9], v[6:7], v[8:9], v[10:11]
	v_add_f64 v[42:43], v[42:43], v[73:74]
	v_add_f64 v[44:45], v[8:9], v[44:45]
	v_mul_f64 v[8:9], v[6:7], v[40:41]
	v_fma_f64 v[8:9], v[4:5], v[38:39], -v[8:9]
	v_mul_f64 v[4:5], v[4:5], v[40:41]
	v_add_f64 v[46:47], v[46:47], v[8:9]
	v_fma_f64 v[4:5], v[6:7], v[38:39], v[4:5]
	v_add_f64 v[48:49], v[4:5], v[48:49]
	ds_read_b128 v[4:7], v55 offset:80
	;; [unrolled: 31-line block ×17, first 2 shown]
	ds_read_b128 v[8:11], v54 offset:10240
	s_waitcnt lgkmcnt(0)
	v_mul_f64 v[38:39], v[6:7], v[10:11]
	v_mul_f64 v[40:41], v[4:5], v[10:11]
	v_fma_f64 v[38:39], v[4:5], v[8:9], -v[38:39]
	v_fma_f64 v[40:41], v[6:7], v[8:9], v[40:41]
	v_add_f64 v[50:51], v[50:51], v[38:39]
	v_add_f64 v[52:53], v[40:41], v[52:53]
	ds_read_b128 v[38:41], v54 offset:10496
	s_waitcnt lgkmcnt(0)
	v_mul_f64 v[73:74], v[6:7], v[40:41]
	v_fma_f64 v[73:74], v[4:5], v[38:39], -v[73:74]
	v_mul_f64 v[4:5], v[4:5], v[40:41]
	v_add_f64 v[69:70], v[69:70], v[73:74]
	v_fma_f64 v[4:5], v[6:7], v[38:39], v[4:5]
	v_add_f64 v[71:72], v[4:5], v[71:72]
	ds_read_b128 v[4:7], v55 offset:8512
	s_waitcnt lgkmcnt(0)
	v_mul_f64 v[73:74], v[6:7], v[10:11]
	v_mul_f64 v[10:11], v[4:5], v[10:11]
	v_fma_f64 v[73:74], v[4:5], v[8:9], -v[73:74]
	v_fma_f64 v[10:11], v[6:7], v[8:9], v[10:11]
	v_add_f64 v[8:9], v[42:43], v[73:74]
	v_mul_f64 v[42:43], v[6:7], v[40:41]
	v_add_f64 v[10:11], v[10:11], v[44:45]
	v_fma_f64 v[42:43], v[4:5], v[38:39], -v[42:43]
	v_mul_f64 v[4:5], v[4:5], v[40:41]
	v_fma_f64 v[6:7], v[6:7], v[38:39], v[4:5]
	v_add_f64 v[4:5], v[46:47], v[42:43]
	ds_read_b128 v[38:41], v55 offset:336
	ds_read_b128 v[42:45], v54 offset:10752
	v_add_f64 v[6:7], v[6:7], v[48:49]
	s_waitcnt lgkmcnt(0)
	v_mul_f64 v[46:47], v[40:41], v[44:45]
	v_mul_f64 v[48:49], v[38:39], v[44:45]
	v_fma_f64 v[46:47], v[38:39], v[42:43], -v[46:47]
	v_fma_f64 v[48:49], v[40:41], v[42:43], v[48:49]
	v_add_f64 v[50:51], v[50:51], v[46:47]
	v_add_f64 v[52:53], v[48:49], v[52:53]
	ds_read_b128 v[46:49], v54 offset:11008
	s_waitcnt lgkmcnt(0)
	v_mul_f64 v[73:74], v[40:41], v[48:49]
	v_fma_f64 v[73:74], v[38:39], v[46:47], -v[73:74]
	v_mul_f64 v[38:39], v[38:39], v[48:49]
	v_add_f64 v[69:70], v[69:70], v[73:74]
	v_fma_f64 v[38:39], v[40:41], v[46:47], v[38:39]
	v_add_f64 v[71:72], v[38:39], v[71:72]
	ds_read_b128 v[38:41], v55 offset:8528
	s_waitcnt lgkmcnt(0)
	v_mul_f64 v[73:74], v[40:41], v[44:45]
	v_mul_f64 v[44:45], v[38:39], v[44:45]
	v_fma_f64 v[73:74], v[38:39], v[42:43], -v[73:74]
	v_fma_f64 v[42:43], v[40:41], v[42:43], v[44:45]
	v_add_f64 v[44:45], v[8:9], v[73:74]
	v_add_f64 v[42:43], v[42:43], v[10:11]
	v_mul_f64 v[8:9], v[40:41], v[48:49]
	v_mul_f64 v[10:11], v[38:39], v[48:49]
	v_fma_f64 v[8:9], v[38:39], v[46:47], -v[8:9]
	v_fma_f64 v[10:11], v[40:41], v[46:47], v[10:11]
	v_add_f64 v[46:47], v[4:5], v[8:9]
	v_add_f64 v[48:49], v[10:11], v[6:7]
	ds_read_b128 v[4:7], v55 offset:352
	ds_read_b128 v[8:11], v54 offset:11264
	s_waitcnt lgkmcnt(0)
	v_mul_f64 v[38:39], v[6:7], v[10:11]
	v_mul_f64 v[40:41], v[4:5], v[10:11]
	v_fma_f64 v[38:39], v[4:5], v[8:9], -v[38:39]
	v_fma_f64 v[40:41], v[6:7], v[8:9], v[40:41]
	v_add_f64 v[50:51], v[50:51], v[38:39]
	v_add_f64 v[52:53], v[40:41], v[52:53]
	ds_read_b128 v[38:41], v54 offset:11520
	s_waitcnt lgkmcnt(0)
	v_mul_f64 v[73:74], v[6:7], v[40:41]
	v_fma_f64 v[73:74], v[4:5], v[38:39], -v[73:74]
	v_mul_f64 v[4:5], v[4:5], v[40:41]
	v_add_f64 v[69:70], v[69:70], v[73:74]
	v_fma_f64 v[4:5], v[6:7], v[38:39], v[4:5]
	v_add_f64 v[71:72], v[4:5], v[71:72]
	ds_read_b128 v[4:7], v55 offset:8544
	s_waitcnt lgkmcnt(0)
	v_mul_f64 v[73:74], v[6:7], v[10:11]
	v_mul_f64 v[10:11], v[4:5], v[10:11]
	v_fma_f64 v[73:74], v[4:5], v[8:9], -v[73:74]
	v_fma_f64 v[8:9], v[6:7], v[8:9], v[10:11]
	v_add_f64 v[44:45], v[44:45], v[73:74]
	v_add_f64 v[42:43], v[8:9], v[42:43]
	v_mul_f64 v[8:9], v[6:7], v[40:41]
	v_fma_f64 v[8:9], v[4:5], v[38:39], -v[8:9]
	v_mul_f64 v[4:5], v[4:5], v[40:41]
	v_add_f64 v[46:47], v[46:47], v[8:9]
	v_fma_f64 v[4:5], v[6:7], v[38:39], v[4:5]
	v_add_f64 v[48:49], v[4:5], v[48:49]
	ds_read_b128 v[4:7], v55 offset:368
	ds_read_b128 v[8:11], v54 offset:11776
	s_waitcnt lgkmcnt(0)
	v_mul_f64 v[38:39], v[6:7], v[10:11]
	v_mul_f64 v[40:41], v[4:5], v[10:11]
	v_fma_f64 v[38:39], v[4:5], v[8:9], -v[38:39]
	v_fma_f64 v[40:41], v[6:7], v[8:9], v[40:41]
	v_add_f64 v[50:51], v[50:51], v[38:39]
	v_add_f64 v[52:53], v[40:41], v[52:53]
	ds_read_b128 v[38:41], v54 offset:12032
	s_waitcnt lgkmcnt(0)
	v_mul_f64 v[73:74], v[6:7], v[40:41]
	v_fma_f64 v[73:74], v[4:5], v[38:39], -v[73:74]
	v_mul_f64 v[4:5], v[4:5], v[40:41]
	v_add_f64 v[69:70], v[69:70], v[73:74]
	v_fma_f64 v[4:5], v[6:7], v[38:39], v[4:5]
	v_add_f64 v[71:72], v[4:5], v[71:72]
	ds_read_b128 v[4:7], v55 offset:8560
	s_waitcnt lgkmcnt(0)
	v_mul_f64 v[73:74], v[6:7], v[10:11]
	v_mul_f64 v[10:11], v[4:5], v[10:11]
	v_fma_f64 v[73:74], v[4:5], v[8:9], -v[73:74]
	v_fma_f64 v[8:9], v[6:7], v[8:9], v[10:11]
	v_add_f64 v[44:45], v[44:45], v[73:74]
	v_add_f64 v[42:43], v[8:9], v[42:43]
	v_mul_f64 v[8:9], v[6:7], v[40:41]
	v_fma_f64 v[8:9], v[4:5], v[38:39], -v[8:9]
	v_mul_f64 v[4:5], v[4:5], v[40:41]
	v_add_f64 v[46:47], v[46:47], v[8:9]
	v_fma_f64 v[4:5], v[6:7], v[38:39], v[4:5]
	;; [unrolled: 31-line block ×6, first 2 shown]
	v_add_f64 v[48:49], v[4:5], v[48:49]
	ds_read_b128 v[4:7], v55 offset:448
	ds_read_b128 v[8:11], v54 offset:14336
	s_waitcnt lgkmcnt(0)
	v_mul_f64 v[38:39], v[6:7], v[10:11]
	v_mul_f64 v[40:41], v[4:5], v[10:11]
	v_fma_f64 v[38:39], v[4:5], v[8:9], -v[38:39]
	v_fma_f64 v[40:41], v[6:7], v[8:9], v[40:41]
	v_add_f64 v[50:51], v[50:51], v[38:39]
	v_add_f64 v[52:53], v[40:41], v[52:53]
	ds_read_b128 v[38:41], v54 offset:14592
	s_waitcnt lgkmcnt(0)
	v_mul_f64 v[73:74], v[6:7], v[40:41]
	v_fma_f64 v[73:74], v[4:5], v[38:39], -v[73:74]
	v_mul_f64 v[4:5], v[4:5], v[40:41]
	v_add_f64 v[69:70], v[69:70], v[73:74]
	v_fma_f64 v[4:5], v[6:7], v[38:39], v[4:5]
	v_add_f64 v[71:72], v[4:5], v[71:72]
	ds_read_b128 v[4:7], v55 offset:8640
	s_waitcnt lgkmcnt(0)
	v_mul_f64 v[73:74], v[6:7], v[10:11]
	v_mul_f64 v[10:11], v[4:5], v[10:11]
	v_fma_f64 v[73:74], v[4:5], v[8:9], -v[73:74]
	v_fma_f64 v[8:9], v[6:7], v[8:9], v[10:11]
	v_add_f64 v[73:74], v[44:45], v[73:74]
	v_add_f64 v[75:76], v[8:9], v[42:43]
	v_mul_f64 v[8:9], v[6:7], v[40:41]
	v_fma_f64 v[8:9], v[4:5], v[38:39], -v[8:9]
	v_mul_f64 v[4:5], v[4:5], v[40:41]
	v_fma_f64 v[6:7], v[6:7], v[38:39], v[4:5]
	v_add_f64 v[4:5], v[46:47], v[8:9]
	ds_read_b128 v[8:11], v55 offset:464
	ds_read_b128 v[38:41], v54 offset:14848
	s_waitcnt lgkmcnt(0)
	v_mul_f64 v[42:43], v[10:11], v[40:41]
	v_mul_f64 v[44:45], v[8:9], v[40:41]
	v_add_f64 v[6:7], v[6:7], v[48:49]
	v_fma_f64 v[42:43], v[8:9], v[38:39], -v[42:43]
	v_fma_f64 v[44:45], v[10:11], v[38:39], v[44:45]
	v_add_f64 v[46:47], v[50:51], v[42:43]
	v_add_f64 v[48:49], v[44:45], v[52:53]
	ds_read_b128 v[42:45], v54 offset:15104
	s_waitcnt lgkmcnt(0)
	v_mul_f64 v[50:51], v[10:11], v[44:45]
	v_fma_f64 v[50:51], v[8:9], v[42:43], -v[50:51]
	v_mul_f64 v[8:9], v[8:9], v[44:45]
	v_add_f64 v[50:51], v[69:70], v[50:51]
	v_fma_f64 v[8:9], v[10:11], v[42:43], v[8:9]
	v_add_f64 v[52:53], v[8:9], v[71:72]
	ds_read_b128 v[8:11], v55 offset:8656
	s_waitcnt lgkmcnt(0)
	v_mul_f64 v[69:70], v[10:11], v[40:41]
	v_mul_f64 v[40:41], v[8:9], v[40:41]
	v_fma_f64 v[69:70], v[8:9], v[38:39], -v[69:70]
	v_fma_f64 v[38:39], v[10:11], v[38:39], v[40:41]
	v_add_f64 v[69:70], v[73:74], v[69:70]
	v_add_f64 v[71:72], v[38:39], v[75:76]
	v_mul_f64 v[38:39], v[10:11], v[44:45]
	v_fma_f64 v[38:39], v[8:9], v[42:43], -v[38:39]
	v_mul_f64 v[8:9], v[8:9], v[44:45]
	v_fma_f64 v[8:9], v[10:11], v[42:43], v[8:9]
	v_add_f64 v[42:43], v[4:5], v[38:39]
	v_add_f64 v[44:45], v[8:9], v[6:7]
	ds_read_b128 v[4:7], v55 offset:480
	ds_read_b128 v[8:11], v54 offset:15360
	s_waitcnt lgkmcnt(0)
	v_mul_f64 v[38:39], v[6:7], v[10:11]
	v_mul_f64 v[40:41], v[4:5], v[10:11]
	v_fma_f64 v[38:39], v[4:5], v[8:9], -v[38:39]
	v_fma_f64 v[40:41], v[6:7], v[8:9], v[40:41]
	v_add_f64 v[73:74], v[46:47], v[38:39]
	v_add_f64 v[75:76], v[40:41], v[48:49]
	ds_read_b128 v[38:41], v54 offset:15616
	s_waitcnt lgkmcnt(0)
	v_mul_f64 v[46:47], v[6:7], v[40:41]
	v_fma_f64 v[46:47], v[4:5], v[38:39], -v[46:47]
	v_mul_f64 v[4:5], v[4:5], v[40:41]
	v_add_f64 v[77:78], v[50:51], v[46:47]
	v_fma_f64 v[4:5], v[6:7], v[38:39], v[4:5]
	v_add_f64 v[79:80], v[4:5], v[52:53]
	ds_read_b128 v[4:7], v55 offset:8672
	s_waitcnt lgkmcnt(0)
	v_mul_f64 v[46:47], v[6:7], v[10:11]
	v_mul_f64 v[10:11], v[4:5], v[10:11]
	v_fma_f64 v[46:47], v[4:5], v[8:9], -v[46:47]
	v_fma_f64 v[8:9], v[6:7], v[8:9], v[10:11]
	v_add_f64 v[81:82], v[69:70], v[46:47]
	v_add_f64 v[83:84], v[8:9], v[71:72]
	v_mul_f64 v[8:9], v[6:7], v[40:41]
	v_fma_f64 v[8:9], v[4:5], v[38:39], -v[8:9]
	v_mul_f64 v[4:5], v[4:5], v[40:41]
	v_fma_f64 v[6:7], v[6:7], v[38:39], v[4:5]
	v_add_f64 v[4:5], v[42:43], v[8:9]
	ds_read_b128 v[8:11], v55 offset:496
	ds_read_b128 v[46:49], v54 offset:15872
	ds_read_b128 v[50:53], v54 offset:16128
	ds_read_b128 v[69:72], v55 offset:8688
	s_waitcnt lgkmcnt(0)
	s_barrier
	buffer_gl0_inv
	v_mul_f64 v[38:39], v[10:11], v[48:49]
	v_mul_f64 v[40:41], v[8:9], v[48:49]
	v_add_f64 v[6:7], v[6:7], v[44:45]
	v_fma_f64 v[38:39], v[8:9], v[46:47], -v[38:39]
	v_fma_f64 v[40:41], v[10:11], v[46:47], v[40:41]
	v_add_f64 v[42:43], v[73:74], v[38:39]
	v_mul_f64 v[38:39], v[10:11], v[52:53]
	v_add_f64 v[44:45], v[40:41], v[75:76]
	v_fma_f64 v[38:39], v[8:9], v[50:51], -v[38:39]
	v_mul_f64 v[8:9], v[8:9], v[52:53]
	v_add_f64 v[38:39], v[77:78], v[38:39]
	v_fma_f64 v[8:9], v[10:11], v[50:51], v[8:9]
	v_mul_f64 v[10:11], v[69:70], v[48:49]
	v_add_f64 v[40:41], v[8:9], v[79:80]
	v_mul_f64 v[8:9], v[71:72], v[48:49]
	v_fma_f64 v[10:11], v[71:72], v[46:47], v[10:11]
	v_fma_f64 v[8:9], v[69:70], v[46:47], -v[8:9]
	v_add_f64 v[48:49], v[10:11], v[83:84]
	v_mul_f64 v[10:11], v[69:70], v[52:53]
	v_add_f64 v[46:47], v[81:82], v[8:9]
	v_mul_f64 v[8:9], v[71:72], v[52:53]
	v_fma_f64 v[10:11], v[71:72], v[50:51], v[10:11]
	v_fma_f64 v[8:9], v[69:70], v[50:51], -v[8:9]
	v_add_f64 v[50:51], v[10:11], v[6:7]
	v_add_f64 v[52:53], v[4:5], v[8:9]
	s_cbranch_scc1 .LBB113_56
.LBB113_7:                              ;   Parent Loop BB113_4 Depth=1
                                        ; =>  This Inner Loop Header: Depth=2
	v_add_co_u32 v8, s5, v12, s14
	v_add_co_ci_u32_e64 v9, null, s15, v13, s5
	v_cmp_eq_u64_e64 s8, s[14:15], v[20:21]
	v_cmp_le_i64_e64 s6, s[10:11], v[8:9]
	v_cmp_lt_i64_e64 s5, v[8:9], v[14:15]
	s_and_b32 s17, s42, s8
	v_add_co_u32 v6, s8, v63, s12
	v_add_co_ci_u32_e64 v7, null, s13, v64, s8
	s_or_b32 s9, s6, s5
	s_or_b32 s8, s9, s17
	s_nor_b32 s8, s0, s8
	s_and_saveexec_b32 s9, s8
	s_xor_b32 s8, exec_lo, s9
	s_cbranch_execz .LBB113_9
; %bb.8:                                ;   in Loop: Header=BB113_7 Depth=2
	global_load_dwordx4 v[69:72], v[6:7], off offset:-256
	s_waitcnt vmcnt(0)
	ds_write2_b64 v56, v[69:70], v[71:72] offset1:1
.LBB113_9:                              ;   in Loop: Header=BB113_7 Depth=2
	s_or_saveexec_b32 s8, s8
	s_xor_b32 s16, s17, -1
	s_xor_b32 exec_lo, exec_lo, s8
	s_cbranch_execz .LBB113_15
; %bb.10:                               ;   in Loop: Header=BB113_7 Depth=2
	s_and_saveexec_b32 s9, s16
	s_xor_b32 s9, exec_lo, s9
	s_cbranch_execz .LBB113_12
; %bb.11:                               ;   in Loop: Header=BB113_7 Depth=2
	v_mov_b32_e32 v69, v2
	v_mov_b32_e32 v70, v2
	;; [unrolled: 1-line block ×4, first 2 shown]
	ds_write_b128 v56, v[69:72]
.LBB113_12:                             ;   in Loop: Header=BB113_7 Depth=2
	s_andn2_saveexec_b32 s9, s9
; %bb.13:                               ;   in Loop: Header=BB113_7 Depth=2
	v_mov_b32_e32 v4, v2
	v_mov_b32_e32 v5, v2
	ds_write_b128 v56, v[2:5]
; %bb.14:                               ;   in Loop: Header=BB113_7 Depth=2
	s_or_b32 exec_lo, exec_lo, s9
.LBB113_15:                             ;   in Loop: Header=BB113_7 Depth=2
	s_or_b32 exec_lo, exec_lo, s8
	v_cmp_eq_u64_e64 s8, s[14:15], v[22:23]
	v_cmp_gt_i64_e64 s9, v[18:19], v[8:9]
	s_and_b32 s8, s42, s8
	s_or_b32 s6, s6, s9
	s_or_b32 s6, s6, s8
	s_nor_b32 s6, s3, s6
	s_and_saveexec_b32 s9, s6
	s_xor_b32 s9, exec_lo, s9
	s_cbranch_execz .LBB113_17
; %bb.16:                               ;   in Loop: Header=BB113_7 Depth=2
	v_add_co_u32 v4, s6, v65, s12
	v_add_co_ci_u32_e64 v5, null, s13, v66, s6
	global_load_dwordx4 v[69:72], v[4:5], off
	s_waitcnt vmcnt(0)
	ds_write2_b64 v58, v[69:70], v[71:72] offset1:1
.LBB113_17:                             ;   in Loop: Header=BB113_7 Depth=2
	s_andn2_saveexec_b32 s6, s9
	s_cbranch_execz .LBB113_23
; %bb.18:                               ;   in Loop: Header=BB113_7 Depth=2
	s_xor_b32 s8, s8, -1
	s_and_saveexec_b32 s9, s8
	s_xor_b32 s8, exec_lo, s9
	s_cbranch_execz .LBB113_20
; %bb.19:                               ;   in Loop: Header=BB113_7 Depth=2
	v_mov_b32_e32 v69, v2
	v_mov_b32_e32 v70, v2
	;; [unrolled: 1-line block ×4, first 2 shown]
	ds_write_b128 v56, v[69:72] offset:256
.LBB113_20:                             ;   in Loop: Header=BB113_7 Depth=2
	s_andn2_saveexec_b32 s8, s8
; %bb.21:                               ;   in Loop: Header=BB113_7 Depth=2
	v_mov_b32_e32 v4, v2
	v_mov_b32_e32 v5, v2
	ds_write_b128 v56, v[2:5] offset:256
; %bb.22:                               ;   in Loop: Header=BB113_7 Depth=2
	s_or_b32 exec_lo, exec_lo, s8
.LBB113_23:                             ;   in Loop: Header=BB113_7 Depth=2
	s_or_b32 exec_lo, exec_lo, s6
	v_add_co_u32 v4, s6, v8, 16
	v_add_co_ci_u32_e64 v5, null, 0, v9, s6
	v_cmp_eq_u64_e64 s8, s[14:15], v[24:25]
	v_cmp_le_i64_e64 s6, s[10:11], v[4:5]
	v_cmp_lt_i64_e64 s9, v[4:5], v[14:15]
	s_and_b32 s19, s42, s8
	s_or_b32 s8, s6, s9
	s_or_b32 s8, s8, s19
	s_nor_b32 s8, s0, s8
	s_and_saveexec_b32 s9, s8
	s_xor_b32 s8, exec_lo, s9
	s_cbranch_execz .LBB113_25
; %bb.24:                               ;   in Loop: Header=BB113_7 Depth=2
	global_load_dwordx4 v[4:7], v[6:7], off
	s_waitcnt vmcnt(0)
	ds_write2_b64 v59, v[4:5], v[6:7] offset1:1
.LBB113_25:                             ;   in Loop: Header=BB113_7 Depth=2
	s_andn2_saveexec_b32 s8, s8
	s_cbranch_execz .LBB113_31
; %bb.26:                               ;   in Loop: Header=BB113_7 Depth=2
	s_xor_b32 s9, s19, -1
	s_and_saveexec_b32 s19, s9
	s_xor_b32 s9, exec_lo, s19
	s_cbranch_execz .LBB113_28
; %bb.27:                               ;   in Loop: Header=BB113_7 Depth=2
	v_mov_b32_e32 v4, v2
	v_mov_b32_e32 v5, v2
	;; [unrolled: 1-line block ×4, first 2 shown]
	ds_write_b128 v56, v[4:7] offset:8192
.LBB113_28:                             ;   in Loop: Header=BB113_7 Depth=2
	s_andn2_saveexec_b32 s9, s9
; %bb.29:                               ;   in Loop: Header=BB113_7 Depth=2
	v_mov_b32_e32 v4, v2
	v_mov_b32_e32 v5, v2
	ds_write_b128 v56, v[2:5] offset:8192
; %bb.30:                               ;   in Loop: Header=BB113_7 Depth=2
	s_or_b32 exec_lo, exec_lo, s9
.LBB113_31:                             ;   in Loop: Header=BB113_7 Depth=2
	s_or_b32 exec_lo, exec_lo, s8
	s_or_b32 s5, s6, s5
	s_or_b32 s5, s5, s17
	s_nor_b32 s5, s3, s5
	s_and_saveexec_b32 s6, s5
	s_xor_b32 s6, exec_lo, s6
	s_cbranch_execz .LBB113_33
; %bb.32:                               ;   in Loop: Header=BB113_7 Depth=2
	v_add_co_u32 v4, s5, v65, s12
	v_add_co_ci_u32_e64 v5, null, s13, v66, s5
	global_load_dwordx4 v[4:7], v[4:5], off offset:256
	s_waitcnt vmcnt(0)
	ds_write2_b64 v60, v[4:5], v[6:7] offset1:1
.LBB113_33:                             ;   in Loop: Header=BB113_7 Depth=2
	s_andn2_saveexec_b32 s5, s6
	s_cbranch_execz .LBB113_39
; %bb.34:                               ;   in Loop: Header=BB113_7 Depth=2
	s_and_saveexec_b32 s6, s16
	s_xor_b32 s6, exec_lo, s6
	s_cbranch_execz .LBB113_36
; %bb.35:                               ;   in Loop: Header=BB113_7 Depth=2
	v_mov_b32_e32 v4, v2
	v_mov_b32_e32 v5, v2
	;; [unrolled: 1-line block ×4, first 2 shown]
	ds_write_b128 v56, v[4:7] offset:8448
.LBB113_36:                             ;   in Loop: Header=BB113_7 Depth=2
	s_andn2_saveexec_b32 s6, s6
; %bb.37:                               ;   in Loop: Header=BB113_7 Depth=2
	v_mov_b32_e32 v4, v2
	v_mov_b32_e32 v5, v2
	ds_write_b128 v56, v[2:5] offset:8448
; %bb.38:                               ;   in Loop: Header=BB113_7 Depth=2
	s_or_b32 exec_lo, exec_lo, s6
.LBB113_39:                             ;   in Loop: Header=BB113_7 Depth=2
	s_or_b32 exec_lo, exec_lo, s5
	v_add_co_u32 v4, s5, v14, s14
	v_add_co_ci_u32_e64 v5, null, s15, v15, s5
	v_cmp_gt_i64_e64 s5, s[10:11], v[4:5]
	s_and_b32 s6, vcc_lo, s5
	s_xor_b32 s6, s6, -1
	s_and_saveexec_b32 s8, s6
	s_xor_b32 s6, exec_lo, s8
	s_cbranch_execz .LBB113_41
; %bb.40:                               ;   in Loop: Header=BB113_7 Depth=2
	v_mov_b32_e32 v6, v2
	v_mov_b32_e32 v7, v2
	;; [unrolled: 1-line block ×4, first 2 shown]
	ds_write_b128 v57, v[6:9]
.LBB113_41:                             ;   in Loop: Header=BB113_7 Depth=2
	s_or_saveexec_b32 s8, s6
	v_add_co_u32 v6, s6, v34, s12
	v_add_co_ci_u32_e64 v7, null, s13, v35, s6
	s_xor_b32 exec_lo, exec_lo, s8
	s_cbranch_execz .LBB113_43
; %bb.42:                               ;   in Loop: Header=BB113_7 Depth=2
	global_load_dwordx4 v[8:11], v[6:7], off offset:-256
	s_waitcnt vmcnt(0)
	ds_write2_b64 v57, v[8:9], v[10:11] offset1:1
.LBB113_43:                             ;   in Loop: Header=BB113_7 Depth=2
	s_or_b32 exec_lo, exec_lo, s8
	v_cmp_gt_i64_e64 s6, s[34:35], v[4:5]
	s_and_b32 s8, vcc_lo, s6
	s_xor_b32 s8, s8, -1
	s_and_saveexec_b32 s9, s8
	s_xor_b32 s8, exec_lo, s9
	s_cbranch_execz .LBB113_45
; %bb.44:                               ;   in Loop: Header=BB113_7 Depth=2
	v_mov_b32_e32 v4, v2
	v_mov_b32_e32 v5, v2
	;; [unrolled: 1-line block ×4, first 2 shown]
	ds_write_b128 v57, v[4:7] offset:256
                                        ; implicit-def: $vgpr6_vgpr7
.LBB113_45:                             ;   in Loop: Header=BB113_7 Depth=2
	s_andn2_saveexec_b32 s8, s8
	s_cbranch_execz .LBB113_47
; %bb.46:                               ;   in Loop: Header=BB113_7 Depth=2
	global_load_dwordx4 v[4:7], v[6:7], off
	s_waitcnt vmcnt(0)
	ds_write2_b64 v61, v[4:5], v[6:7] offset1:1
.LBB113_47:                             ;   in Loop: Header=BB113_7 Depth=2
	s_or_b32 exec_lo, exec_lo, s8
	s_and_b32 s5, s4, s5
	s_xor_b32 s5, s5, -1
	s_and_saveexec_b32 s8, s5
	s_xor_b32 s5, exec_lo, s8
	s_cbranch_execz .LBB113_49
; %bb.48:                               ;   in Loop: Header=BB113_7 Depth=2
	v_mov_b32_e32 v4, v2
	v_mov_b32_e32 v5, v2
	;; [unrolled: 1-line block ×4, first 2 shown]
	ds_write_b128 v57, v[4:7] offset:8192
.LBB113_49:                             ;   in Loop: Header=BB113_7 Depth=2
	s_or_saveexec_b32 s8, s5
	v_add_co_u32 v4, s5, v36, s12
	v_add_co_ci_u32_e64 v5, null, s13, v37, s5
	s_xor_b32 exec_lo, exec_lo, s8
	s_cbranch_execz .LBB113_51
; %bb.50:                               ;   in Loop: Header=BB113_7 Depth=2
	global_load_dwordx4 v[6:9], v[4:5], off
	s_waitcnt vmcnt(0)
	ds_write2_b64 v62, v[6:7], v[8:9] offset1:1
.LBB113_51:                             ;   in Loop: Header=BB113_7 Depth=2
	s_or_b32 exec_lo, exec_lo, s8
	s_and_b32 s5, s4, s6
	s_xor_b32 s5, s5, -1
	s_and_saveexec_b32 s6, s5
	s_xor_b32 s5, exec_lo, s6
	s_cbranch_execz .LBB113_53
; %bb.52:                               ;   in Loop: Header=BB113_7 Depth=2
	v_mov_b32_e32 v4, v2
	v_mov_b32_e32 v5, v2
	;; [unrolled: 1-line block ×4, first 2 shown]
	ds_write_b128 v57, v[4:7] offset:8448
                                        ; implicit-def: $vgpr4_vgpr5
.LBB113_53:                             ;   in Loop: Header=BB113_7 Depth=2
	s_andn2_saveexec_b32 s5, s5
	s_cbranch_execz .LBB113_6
; %bb.54:                               ;   in Loop: Header=BB113_7 Depth=2
	global_load_dwordx4 v[4:7], v[4:5], off offset:256
	s_waitcnt vmcnt(0)
	ds_write2_b64 v0, v[4:5], v[6:7] offset1:1
	s_branch .LBB113_6
.LBB113_55:                             ;   in Loop: Header=BB113_4 Depth=1
	v_mov_b32_e32 v42, 0
	v_mov_b32_e32 v44, 0
	;; [unrolled: 1-line block ×16, first 2 shown]
.LBB113_56:                             ;   in Loop: Header=BB113_4 Depth=1
	v_mul_lo_u32 v6, s41, v67
	v_mul_lo_u32 v7, s40, v68
	v_mad_u64_u32 v[4:5], null, s40, v67, 0
	v_cmp_gt_i32_e32 vcc_lo, s46, v67
	v_add3_u32 v5, v5, v7, v6
	v_lshlrev_b64 v[4:5], 4, v[4:5]
	v_add_co_u32 v4, s4, s36, v4
	v_add_co_ci_u32_e64 v5, null, s37, v5, s4
	s_and_b32 s4, s1, vcc_lo
	s_and_saveexec_b32 s5, s4
	s_cbranch_execz .LBB113_58
; %bb.57:                               ;   in Loop: Header=BB113_4 Depth=1
	v_add_co_u32 v10, s4, v4, v26
	v_add_co_ci_u32_e64 v11, null, v5, v27, s4
	v_mul_f64 v[33:34], s[30:31], v[44:45]
	v_mul_f64 v[35:36], s[28:29], v[44:45]
	global_load_dwordx4 v[6:9], v[10:11], off
	v_fma_f64 v[33:34], s[28:29], v[42:43], -v[33:34]
	v_fma_f64 v[35:36], s[30:31], v[42:43], v[35:36]
	s_waitcnt vmcnt(0)
	v_add_f64 v[6:7], v[6:7], v[33:34]
	v_add_f64 v[8:9], v[35:36], v[8:9]
	global_store_dwordx4 v[10:11], v[6:9], off
.LBB113_58:                             ;   in Loop: Header=BB113_4 Depth=1
	s_or_b32 exec_lo, exec_lo, s5
	s_and_b32 s5, s2, vcc_lo
	s_and_saveexec_b32 s4, s5
	s_cbranch_execz .LBB113_60
; %bb.59:                               ;   in Loop: Header=BB113_4 Depth=1
	v_lshlrev_b64 v[6:7], 4, v[16:17]
	v_mul_f64 v[10:11], s[30:31], v[40:41]
	v_mul_f64 v[33:34], s[28:29], v[40:41]
	v_add_co_u32 v8, vcc_lo, v4, v6
	v_add_co_ci_u32_e64 v9, null, v5, v7, vcc_lo
	global_load_dwordx4 v[4:7], v[8:9], off
	v_fma_f64 v[10:11], s[28:29], v[38:39], -v[10:11]
	v_fma_f64 v[33:34], s[30:31], v[38:39], v[33:34]
	s_waitcnt vmcnt(0)
	v_add_f64 v[4:5], v[4:5], v[10:11]
	v_add_f64 v[6:7], v[33:34], v[6:7]
	global_store_dwordx4 v[8:9], v[4:7], off
.LBB113_60:                             ;   in Loop: Header=BB113_4 Depth=1
	s_or_b32 exec_lo, exec_lo, s4
	v_add_nc_u32_e32 v6, 16, v67
	v_ashrrev_i32_e32 v7, 31, v6
	v_mul_lo_u32 v8, s41, v6
	v_mad_u64_u32 v[4:5], null, s40, v6, 0
	v_cmp_gt_i32_e32 vcc_lo, s46, v6
	v_mul_lo_u32 v7, s40, v7
	v_add3_u32 v5, v5, v7, v8
	v_lshlrev_b64 v[4:5], 4, v[4:5]
	v_add_co_u32 v4, s4, s36, v4
	v_add_co_ci_u32_e64 v5, null, s37, v5, s4
	s_and_b32 s4, s1, vcc_lo
	s_and_saveexec_b32 s5, s4
	s_cbranch_execz .LBB113_62
; %bb.61:                               ;   in Loop: Header=BB113_4 Depth=1
	v_add_co_u32 v10, s4, v4, v26
	v_add_co_ci_u32_e64 v11, null, v5, v27, s4
	v_mul_f64 v[33:34], s[30:31], v[48:49]
	v_mul_f64 v[35:36], s[28:29], v[48:49]
	global_load_dwordx4 v[6:9], v[10:11], off
	v_fma_f64 v[33:34], s[28:29], v[46:47], -v[33:34]
	v_fma_f64 v[35:36], s[30:31], v[46:47], v[35:36]
	s_waitcnt vmcnt(0)
	v_add_f64 v[6:7], v[6:7], v[33:34]
	v_add_f64 v[8:9], v[35:36], v[8:9]
	global_store_dwordx4 v[10:11], v[6:9], off
.LBB113_62:                             ;   in Loop: Header=BB113_4 Depth=1
	s_or_b32 exec_lo, exec_lo, s5
	s_and_b32 s5, s2, vcc_lo
	s_and_saveexec_b32 s4, s5
	s_cbranch_execz .LBB113_3
; %bb.63:                               ;   in Loop: Header=BB113_4 Depth=1
	v_lshlrev_b64 v[6:7], 4, v[16:17]
	v_mul_f64 v[10:11], s[30:31], v[50:51]
	v_mul_f64 v[33:34], s[28:29], v[50:51]
	v_add_co_u32 v8, vcc_lo, v4, v6
	v_add_co_ci_u32_e64 v9, null, v5, v7, vcc_lo
	global_load_dwordx4 v[4:7], v[8:9], off
	v_fma_f64 v[10:11], s[28:29], v[52:53], -v[10:11]
	v_fma_f64 v[33:34], s[30:31], v[52:53], v[33:34]
	s_waitcnt vmcnt(0)
	v_add_f64 v[4:5], v[4:5], v[10:11]
	v_add_f64 v[6:7], v[33:34], v[6:7]
	global_store_dwordx4 v[8:9], v[4:7], off
	s_branch .LBB113_3
.LBB113_64:
	s_endpgm
	.section	.rodata,"a",@progbits
	.p2align	6, 0x0
	.amdhsa_kernel _ZL30rocblas_trmm_outofplace_kernelI19rocblas_complex_numIdELi32ELi2ELb1ELb0ELb1ELb0ES1_KS1_S1_Ev17rocblas_diagonal_iiT6_lPT7_lllS6_lllPT8_llli
		.amdhsa_group_segment_fixed_size 32768
		.amdhsa_private_segment_fixed_size 0
		.amdhsa_kernarg_size 400
		.amdhsa_user_sgpr_count 6
		.amdhsa_user_sgpr_private_segment_buffer 1
		.amdhsa_user_sgpr_dispatch_ptr 0
		.amdhsa_user_sgpr_queue_ptr 0
		.amdhsa_user_sgpr_kernarg_segment_ptr 1
		.amdhsa_user_sgpr_dispatch_id 0
		.amdhsa_user_sgpr_flat_scratch_init 0
		.amdhsa_user_sgpr_private_segment_size 0
		.amdhsa_wavefront_size32 1
		.amdhsa_uses_dynamic_stack 0
		.amdhsa_system_sgpr_private_segment_wavefront_offset 0
		.amdhsa_system_sgpr_workgroup_id_x 1
		.amdhsa_system_sgpr_workgroup_id_y 1
		.amdhsa_system_sgpr_workgroup_id_z 1
		.amdhsa_system_sgpr_workgroup_info 0
		.amdhsa_system_vgpr_workitem_id 1
		.amdhsa_next_free_vgpr 89
		.amdhsa_next_free_sgpr 48
		.amdhsa_reserve_vcc 1
		.amdhsa_reserve_flat_scratch 0
		.amdhsa_float_round_mode_32 0
		.amdhsa_float_round_mode_16_64 0
		.amdhsa_float_denorm_mode_32 3
		.amdhsa_float_denorm_mode_16_64 3
		.amdhsa_dx10_clamp 1
		.amdhsa_ieee_mode 1
		.amdhsa_fp16_overflow 0
		.amdhsa_workgroup_processor_mode 1
		.amdhsa_memory_ordered 1
		.amdhsa_forward_progress 1
		.amdhsa_shared_vgpr_count 0
		.amdhsa_exception_fp_ieee_invalid_op 0
		.amdhsa_exception_fp_denorm_src 0
		.amdhsa_exception_fp_ieee_div_zero 0
		.amdhsa_exception_fp_ieee_overflow 0
		.amdhsa_exception_fp_ieee_underflow 0
		.amdhsa_exception_fp_ieee_inexact 0
		.amdhsa_exception_int_div_zero 0
	.end_amdhsa_kernel
	.section	.text._ZL30rocblas_trmm_outofplace_kernelI19rocblas_complex_numIdELi32ELi2ELb1ELb0ELb1ELb0ES1_KS1_S1_Ev17rocblas_diagonal_iiT6_lPT7_lllS6_lllPT8_llli,"axG",@progbits,_ZL30rocblas_trmm_outofplace_kernelI19rocblas_complex_numIdELi32ELi2ELb1ELb0ELb1ELb0ES1_KS1_S1_Ev17rocblas_diagonal_iiT6_lPT7_lllS6_lllPT8_llli,comdat
.Lfunc_end113:
	.size	_ZL30rocblas_trmm_outofplace_kernelI19rocblas_complex_numIdELi32ELi2ELb1ELb0ELb1ELb0ES1_KS1_S1_Ev17rocblas_diagonal_iiT6_lPT7_lllS6_lllPT8_llli, .Lfunc_end113-_ZL30rocblas_trmm_outofplace_kernelI19rocblas_complex_numIdELi32ELi2ELb1ELb0ELb1ELb0ES1_KS1_S1_Ev17rocblas_diagonal_iiT6_lPT7_lllS6_lllPT8_llli
                                        ; -- End function
	.set _ZL30rocblas_trmm_outofplace_kernelI19rocblas_complex_numIdELi32ELi2ELb1ELb0ELb1ELb0ES1_KS1_S1_Ev17rocblas_diagonal_iiT6_lPT7_lllS6_lllPT8_llli.num_vgpr, 89
	.set _ZL30rocblas_trmm_outofplace_kernelI19rocblas_complex_numIdELi32ELi2ELb1ELb0ELb1ELb0ES1_KS1_S1_Ev17rocblas_diagonal_iiT6_lPT7_lllS6_lllPT8_llli.num_agpr, 0
	.set _ZL30rocblas_trmm_outofplace_kernelI19rocblas_complex_numIdELi32ELi2ELb1ELb0ELb1ELb0ES1_KS1_S1_Ev17rocblas_diagonal_iiT6_lPT7_lllS6_lllPT8_llli.numbered_sgpr, 48
	.set _ZL30rocblas_trmm_outofplace_kernelI19rocblas_complex_numIdELi32ELi2ELb1ELb0ELb1ELb0ES1_KS1_S1_Ev17rocblas_diagonal_iiT6_lPT7_lllS6_lllPT8_llli.num_named_barrier, 0
	.set _ZL30rocblas_trmm_outofplace_kernelI19rocblas_complex_numIdELi32ELi2ELb1ELb0ELb1ELb0ES1_KS1_S1_Ev17rocblas_diagonal_iiT6_lPT7_lllS6_lllPT8_llli.private_seg_size, 0
	.set _ZL30rocblas_trmm_outofplace_kernelI19rocblas_complex_numIdELi32ELi2ELb1ELb0ELb1ELb0ES1_KS1_S1_Ev17rocblas_diagonal_iiT6_lPT7_lllS6_lllPT8_llli.uses_vcc, 1
	.set _ZL30rocblas_trmm_outofplace_kernelI19rocblas_complex_numIdELi32ELi2ELb1ELb0ELb1ELb0ES1_KS1_S1_Ev17rocblas_diagonal_iiT6_lPT7_lllS6_lllPT8_llli.uses_flat_scratch, 0
	.set _ZL30rocblas_trmm_outofplace_kernelI19rocblas_complex_numIdELi32ELi2ELb1ELb0ELb1ELb0ES1_KS1_S1_Ev17rocblas_diagonal_iiT6_lPT7_lllS6_lllPT8_llli.has_dyn_sized_stack, 0
	.set _ZL30rocblas_trmm_outofplace_kernelI19rocblas_complex_numIdELi32ELi2ELb1ELb0ELb1ELb0ES1_KS1_S1_Ev17rocblas_diagonal_iiT6_lPT7_lllS6_lllPT8_llli.has_recursion, 0
	.set _ZL30rocblas_trmm_outofplace_kernelI19rocblas_complex_numIdELi32ELi2ELb1ELb0ELb1ELb0ES1_KS1_S1_Ev17rocblas_diagonal_iiT6_lPT7_lllS6_lllPT8_llli.has_indirect_call, 0
	.section	.AMDGPU.csdata,"",@progbits
; Kernel info:
; codeLenInByte = 10204
; TotalNumSgprs: 50
; NumVgprs: 89
; ScratchSize: 0
; MemoryBound: 0
; FloatMode: 240
; IeeeMode: 1
; LDSByteSize: 32768 bytes/workgroup (compile time only)
; SGPRBlocks: 0
; VGPRBlocks: 11
; NumSGPRsForWavesPerEU: 50
; NumVGPRsForWavesPerEU: 89
; Occupancy: 10
; WaveLimiterHint : 0
; COMPUTE_PGM_RSRC2:SCRATCH_EN: 0
; COMPUTE_PGM_RSRC2:USER_SGPR: 6
; COMPUTE_PGM_RSRC2:TRAP_HANDLER: 0
; COMPUTE_PGM_RSRC2:TGID_X_EN: 1
; COMPUTE_PGM_RSRC2:TGID_Y_EN: 1
; COMPUTE_PGM_RSRC2:TGID_Z_EN: 1
; COMPUTE_PGM_RSRC2:TIDIG_COMP_CNT: 1
	.section	.text._ZL30rocblas_trmm_outofplace_kernelI19rocblas_complex_numIdELi32ELi2ELb1ELb1ELb1ELb0EPKS1_S2_S1_Ev17rocblas_diagonal_iiT6_lPT7_lllS7_lllPT8_llli,"axG",@progbits,_ZL30rocblas_trmm_outofplace_kernelI19rocblas_complex_numIdELi32ELi2ELb1ELb1ELb1ELb0EPKS1_S2_S1_Ev17rocblas_diagonal_iiT6_lPT7_lllS7_lllPT8_llli,comdat
	.globl	_ZL30rocblas_trmm_outofplace_kernelI19rocblas_complex_numIdELi32ELi2ELb1ELb1ELb1ELb0EPKS1_S2_S1_Ev17rocblas_diagonal_iiT6_lPT7_lllS7_lllPT8_llli ; -- Begin function _ZL30rocblas_trmm_outofplace_kernelI19rocblas_complex_numIdELi32ELi2ELb1ELb1ELb1ELb0EPKS1_S2_S1_Ev17rocblas_diagonal_iiT6_lPT7_lllS7_lllPT8_llli
	.p2align	8
	.type	_ZL30rocblas_trmm_outofplace_kernelI19rocblas_complex_numIdELi32ELi2ELb1ELb1ELb1ELb0EPKS1_S2_S1_Ev17rocblas_diagonal_iiT6_lPT7_lllS7_lllPT8_llli,@function
_ZL30rocblas_trmm_outofplace_kernelI19rocblas_complex_numIdELi32ELi2ELb1ELb1ELb1ELb0EPKS1_S2_S1_Ev17rocblas_diagonal_iiT6_lPT7_lllS7_lllPT8_llli: ; @_ZL30rocblas_trmm_outofplace_kernelI19rocblas_complex_numIdELi32ELi2ELb1ELb1ELb1ELb0EPKS1_S2_S1_Ev17rocblas_diagonal_iiT6_lPT7_lllS7_lllPT8_llli
; %bb.0:
	s_load_dwordx16 s[12:27], s[4:5], 0x10
	s_waitcnt lgkmcnt(0)
	s_mul_i32 s1, s15, s8
	s_mul_hi_u32 s2, s14, s8
	s_mul_i32 s0, s14, s8
	s_add_i32 s1, s2, s1
	s_lshl_b64 s[0:1], s[0:1], 4
	s_add_u32 s0, s12, s0
	s_addc_u32 s1, s13, s1
	s_load_dwordx4 s[12:15], s[0:1], 0x0
	s_waitcnt lgkmcnt(0)
	v_cmp_eq_f64_e64 s0, s[12:13], 0
	v_cmp_eq_f64_e64 s1, s[14:15], 0
	s_and_b32 s0, s0, s1
	s_and_b32 vcc_lo, exec_lo, s0
	s_cbranch_vccnz .LBB114_63
; %bb.1:
	s_load_dwordx4 s[28:31], s[4:5], 0x0
	s_waitcnt lgkmcnt(0)
	s_add_i32 s0, s30, -1
	s_ashr_i32 s1, s0, 31
	s_lshr_b32 s1, s1, 27
	s_add_i32 s0, s0, s1
	s_ashr_i32 s31, s0, 5
	s_cmp_gt_i32 s7, s31
	s_cbranch_scc1 .LBB114_63
; %bb.2:
	s_clause 0x2
	s_load_dwordx4 s[44:47], s[4:5], 0x70
	s_load_dwordx8 s[36:43], s[4:5], 0x50
	s_load_dword s33, s[4:5], 0x8c
	v_lshlrev_b32_e32 v52, 4, v0
	v_lshlrev_b32_e32 v11, 4, v1
	;; [unrolled: 1-line block ×3, first 2 shown]
	s_mov_b32 s10, s29
	v_lshl_add_u32 v28, s7, 5, v1
	v_add_nc_u32_e32 v53, 0x4000, v2
	v_add_nc_u32_e32 v54, v52, v2
	v_mov_b32_e32 v2, 0
	v_add_nc_u32_e32 v55, v53, v52
	v_add_nc_u32_e32 v56, 0x100, v54
	;; [unrolled: 1-line block ×5, first 2 shown]
	s_waitcnt lgkmcnt(0)
	s_mul_i32 s1, s47, s8
	s_mul_hi_u32 s2, s46, s8
	s_mul_i32 s0, s46, s8
	s_add_i32 s1, s2, s1
	s_mul_i32 s4, s39, s8
	s_lshl_b64 s[0:1], s[0:1], 4
	s_mul_hi_u32 s5, s38, s8
	s_add_u32 s2, s40, s0
	s_addc_u32 s3, s41, s1
	s_lshl_b64 s[0:1], s[42:43], 4
	v_add_nc_u32_e32 v60, 0x2000, v55
	s_add_u32 s40, s2, s0
	s_addc_u32 s41, s3, s1
	s_lshl_b32 s42, s6, 5
	s_cmp_gt_i32 s6, -1
	v_add_nc_u32_e32 v12, s42, v0
	s_cselect_b32 s39, -1, 0
	s_cmpk_eq_i32 s28, 0x84
	v_add_nc_u32_e32 v61, 0x2100, v55
	s_cselect_b32 s28, -1, 0
	v_ashrrev_i32_e32 v13, 31, v12
	s_ashr_i32 s11, s29, 31
	s_ashr_i32 s43, s30, 31
	s_add_u32 s34, s29, -16
	s_addc_u32 s35, s11, -1
	s_add_i32 s5, s5, s4
	s_mul_i32 s4, s38, s8
	v_add_co_u32 v14, vcc_lo, v12, 16
	s_lshl_b64 s[4:5], s[4:5], 4
	s_lshl_b64 s[26:27], s[26:27], 4
	v_mul_lo_u32 v7, s20, v13
	v_mul_lo_u32 v8, s21, v12
	v_mad_u64_u32 v[5:6], null, s20, v12, 0
	v_add_co_ci_u32_e64 v15, null, 0, v13, vcc_lo
	v_sub_co_u32 v16, vcc_lo, v12, v1
	s_add_u32 s4, s4, s26
	s_addc_u32 s5, s5, s27
	v_subrev_co_ci_u32_e64 v17, null, 0, v13, vcc_lo
	s_add_u32 s4, s24, s4
	s_addc_u32 s5, s25, s5
	v_add_co_u32 v22, s4, s4, v52
	v_add_co_u32 v18, vcc_lo, v16, 16
	v_lshlrev_b64 v[26:27], 4, v[12:13]
	v_add_co_ci_u32_e64 v23, null, s5, 0, s4
	v_add3_u32 v6, v6, v7, v8
	v_add_co_ci_u32_e64 v19, null, 0, v17, vcc_lo
	v_add_co_u32 v20, vcc_lo, v16, -16
	v_add_co_ci_u32_e64 v21, null, -1, v17, vcc_lo
	v_add_co_u32 v24, vcc_lo, 0x100, v22
	s_mul_i32 s4, s23, s8
	s_mul_hi_u32 s5, s22, s8
	v_add_co_ci_u32_e64 v25, null, 0, v23, vcc_lo
	s_add_i32 s5, s5, s4
	s_mul_i32 s4, s22, s8
	v_lshlrev_b64 v[5:6], 4, v[5:6]
	v_add_co_u32 v9, vcc_lo, 0x100, v26
	s_lshl_b64 s[4:5], s[4:5], 4
	s_lshl_b64 s[8:9], s[18:19], 4
	v_add_co_ci_u32_e64 v10, null, 0, v27, vcc_lo
	s_lshl_b64 s[24:25], s[36:37], 4
	s_lshl_b32 s26, s33, 5
	s_add_u32 s4, s8, s4
	s_addc_u32 s5, s9, s5
	v_add_co_u32 v5, vcc_lo, s4, v5
	v_mad_u64_u32 v[7:8], null, s20, v9, s[4:5]
	v_mul_lo_u32 v10, s20, v10
	v_mul_lo_u32 v9, s21, v9
	v_add_co_ci_u32_e64 v6, null, s5, v6, vcc_lo
	v_add_co_u32 v5, vcc_lo, v5, v11
	v_add_nc_u32_e32 v3, 16, v12
	v_add_co_ci_u32_e64 v6, null, 0, v6, vcc_lo
	v_add3_u32 v8, v9, v8, v10
	v_add_co_u32 v5, vcc_lo, s16, v5
	v_add_co_ci_u32_e64 v6, null, s17, v6, vcc_lo
	v_add_co_u32 v7, vcc_lo, v7, v11
	v_ashrrev_i32_e32 v4, 31, v3
	v_add_co_ci_u32_e64 v8, null, 0, v8, vcc_lo
	v_add_co_u32 v62, vcc_lo, 0x100, v5
	v_add_co_ci_u32_e64 v63, null, 0, v6, vcc_lo
	v_add_co_u32 v64, vcc_lo, s16, v7
	v_cmp_le_i64_e64 s3, s[10:11], v[14:15]
	v_lshlrev_b64 v[30:31], 4, v[3:4]
	v_cmp_le_i32_e64 s0, s29, v12
	v_cmp_gt_i32_e64 s1, s29, v12
	v_cmp_gt_i32_e64 s2, s29, v3
	v_add_co_ci_u32_e64 v65, null, s17, v8, vcc_lo
	v_mov_b32_e32 v3, 0x3ff00000
	s_branch .LBB114_4
.LBB114_3:                              ;   in Loop: Header=BB114_4 Depth=1
	s_or_b32 exec_lo, exec_lo, s4
	v_add_nc_u32_e32 v28, s26, v28
	s_add_i32 s7, s33, s7
	s_cmp_le_i32 s7, s31
	s_cbranch_scc0 .LBB114_63
.LBB114_4:                              ; =>This Loop Header: Depth=1
                                        ;     Child Loop BB114_7 Depth 2
	v_lshl_add_u32 v66, s7, 5, v1
	v_mov_b32_e32 v40, 0
	v_mov_b32_e32 v42, 0
	;; [unrolled: 1-line block ×16, first 2 shown]
	v_ashrrev_i32_e32 v67, 31, v66
	s_andn2_b32 vcc_lo, exec_lo, s39
	s_cbranch_vccnz .LBB114_55
; %bb.5:                                ;   in Loop: Header=BB114_4 Depth=1
	v_ashrrev_i32_e32 v29, 31, v28
	v_mad_u64_u32 v[32:33], null, s24, v28, v[24:25]
	v_mul_lo_u32 v6, s25, v28
	v_mov_b32_e32 v48, 0
	v_lshlrev_b64 v[4:5], 4, v[28:29]
	v_mul_lo_u32 v7, s24, v29
	v_mov_b32_e32 v50, 0
	v_mov_b32_e32 v46, 0
	;; [unrolled: 1-line block ×4, first 2 shown]
	v_add_co_u32 v8, vcc_lo, 0x100, v4
	v_add_co_ci_u32_e64 v9, null, 0, v5, vcc_lo
	v_sub_co_u32 v4, vcc_lo, s30, v66
	v_add3_u32 v33, v6, v33, v7
	v_mul_lo_u32 v6, s36, v9
	v_mul_lo_u32 v7, s37, v8
	v_mad_u64_u32 v[34:35], null, s36, v8, v[22:23]
	v_sub_co_ci_u32_e64 v5, null, s43, v67, vcc_lo
	v_mov_b32_e32 v36, 0
	v_mov_b32_e32 v42, 0
	;; [unrolled: 1-line block ×3, first 2 shown]
	v_cmp_lt_i64_e64 s4, 16, v[4:5]
	v_mov_b32_e32 v49, 0
	v_mov_b32_e32 v51, 0
	;; [unrolled: 1-line block ×8, first 2 shown]
	v_add3_u32 v35, v7, v35, v6
	s_mov_b64 s[16:17], 0
	s_mov_b64 s[18:19], 0
	v_cmp_lt_i64_e32 vcc_lo, 0, v[4:5]
	s_branch .LBB114_7
.LBB114_6:                              ;   in Loop: Header=BB114_7 Depth=2
	s_or_b32 exec_lo, exec_lo, s5
	s_waitcnt lgkmcnt(0)
	s_barrier
	buffer_gl0_inv
	ds_read_b128 v[68:71], v53
	ds_read_b128 v[72:75], v53 offset:16
	ds_read_b128 v[8:11], v53 offset:32
	;; [unrolled: 1-line block ×3, first 2 shown]
	ds_read_b128 v[76:79], v52
	s_add_u32 s18, s18, 32
	s_addc_u32 s19, s19, 0
	s_sub_i32 s5, s18, 32
	s_add_u32 s16, s16, 0x200
	s_addc_u32 s17, s17, 0
	s_cmp_ge_i32 s5, s42
	s_waitcnt lgkmcnt(0)
	v_mul_f64 v[80:81], v[70:71], v[78:79]
	v_mul_f64 v[82:83], v[68:69], v[78:79]
	v_fma_f64 v[80:81], v[68:69], v[76:77], -v[80:81]
	v_fma_f64 v[82:83], v[70:71], v[76:77], v[82:83]
	v_add_f64 v[80:81], v[40:41], v[80:81]
	v_add_f64 v[82:83], v[82:83], v[42:43]
	ds_read_b128 v[40:43], v52 offset:256
	s_waitcnt lgkmcnt(0)
	v_mul_f64 v[84:85], v[70:71], v[42:43]
	v_fma_f64 v[84:85], v[68:69], v[40:41], -v[84:85]
	v_mul_f64 v[68:69], v[68:69], v[42:43]
	v_fma_f64 v[68:69], v[70:71], v[40:41], v[68:69]
	v_add_f64 v[70:71], v[36:37], v[84:85]
	v_add_f64 v[68:69], v[68:69], v[38:39]
	ds_read_b128 v[36:39], v53 offset:8192
	s_waitcnt lgkmcnt(0)
	v_mul_f64 v[84:85], v[38:39], v[78:79]
	v_mul_f64 v[78:79], v[36:37], v[78:79]
	v_fma_f64 v[84:85], v[36:37], v[76:77], -v[84:85]
	v_fma_f64 v[76:77], v[38:39], v[76:77], v[78:79]
	v_add_f64 v[78:79], v[44:45], v[84:85]
	v_mul_f64 v[44:45], v[38:39], v[42:43]
	v_add_f64 v[76:77], v[76:77], v[46:47]
	v_fma_f64 v[44:45], v[36:37], v[40:41], -v[44:45]
	v_mul_f64 v[36:37], v[36:37], v[42:43]
	v_add_f64 v[50:51], v[50:51], v[44:45]
	v_fma_f64 v[36:37], v[38:39], v[40:41], v[36:37]
	v_add_f64 v[48:49], v[36:37], v[48:49]
	ds_read_b128 v[36:39], v52 offset:512
	s_waitcnt lgkmcnt(0)
	v_mul_f64 v[40:41], v[74:75], v[38:39]
	v_mul_f64 v[42:43], v[72:73], v[38:39]
	v_fma_f64 v[40:41], v[72:73], v[36:37], -v[40:41]
	v_fma_f64 v[42:43], v[74:75], v[36:37], v[42:43]
	v_add_f64 v[80:81], v[80:81], v[40:41]
	v_add_f64 v[82:83], v[42:43], v[82:83]
	ds_read_b128 v[40:43], v52 offset:768
	s_waitcnt lgkmcnt(0)
	v_mul_f64 v[44:45], v[74:75], v[42:43]
	v_mul_f64 v[46:47], v[72:73], v[42:43]
	v_fma_f64 v[44:45], v[72:73], v[40:41], -v[44:45]
	v_fma_f64 v[46:47], v[74:75], v[40:41], v[46:47]
	v_add_f64 v[70:71], v[70:71], v[44:45]
	v_add_f64 v[68:69], v[46:47], v[68:69]
	ds_read_b128 v[44:47], v53 offset:8208
	s_waitcnt lgkmcnt(0)
	v_mul_f64 v[72:73], v[46:47], v[38:39]
	v_mul_f64 v[38:39], v[44:45], v[38:39]
	v_fma_f64 v[72:73], v[44:45], v[36:37], -v[72:73]
	v_fma_f64 v[36:37], v[46:47], v[36:37], v[38:39]
	v_mul_f64 v[38:39], v[44:45], v[42:43]
	v_add_f64 v[72:73], v[78:79], v[72:73]
	v_add_f64 v[74:75], v[36:37], v[76:77]
	v_mul_f64 v[36:37], v[46:47], v[42:43]
	v_fma_f64 v[38:39], v[46:47], v[40:41], v[38:39]
	v_fma_f64 v[36:37], v[44:45], v[40:41], -v[36:37]
	v_add_f64 v[46:47], v[38:39], v[48:49]
	v_add_f64 v[44:45], v[50:51], v[36:37]
	ds_read_b128 v[36:39], v52 offset:1024
	s_waitcnt lgkmcnt(0)
	v_mul_f64 v[40:41], v[10:11], v[38:39]
	v_mul_f64 v[42:43], v[8:9], v[38:39]
	v_fma_f64 v[40:41], v[8:9], v[36:37], -v[40:41]
	v_fma_f64 v[42:43], v[10:11], v[36:37], v[42:43]
	v_add_f64 v[48:49], v[80:81], v[40:41]
	v_add_f64 v[50:51], v[42:43], v[82:83]
	ds_read_b128 v[40:43], v52 offset:1280
	s_waitcnt lgkmcnt(0)
	v_mul_f64 v[76:77], v[10:11], v[42:43]
	v_fma_f64 v[76:77], v[8:9], v[40:41], -v[76:77]
	v_mul_f64 v[8:9], v[8:9], v[42:43]
	v_add_f64 v[70:71], v[70:71], v[76:77]
	v_fma_f64 v[8:9], v[10:11], v[40:41], v[8:9]
	v_add_f64 v[68:69], v[8:9], v[68:69]
	ds_read_b128 v[8:11], v53 offset:8224
	s_waitcnt lgkmcnt(0)
	v_mul_f64 v[76:77], v[10:11], v[38:39]
	v_mul_f64 v[38:39], v[8:9], v[38:39]
	v_fma_f64 v[76:77], v[8:9], v[36:37], -v[76:77]
	v_fma_f64 v[36:37], v[10:11], v[36:37], v[38:39]
	v_add_f64 v[72:73], v[72:73], v[76:77]
	v_add_f64 v[74:75], v[36:37], v[74:75]
	v_mul_f64 v[36:37], v[10:11], v[42:43]
	v_fma_f64 v[36:37], v[8:9], v[40:41], -v[36:37]
	v_mul_f64 v[8:9], v[8:9], v[42:43]
	v_fma_f64 v[8:9], v[10:11], v[40:41], v[8:9]
	v_add_f64 v[40:41], v[44:45], v[36:37]
	v_add_f64 v[42:43], v[8:9], v[46:47]
	ds_read_b128 v[8:11], v52 offset:1536
	s_waitcnt lgkmcnt(0)
	v_mul_f64 v[36:37], v[6:7], v[10:11]
	v_mul_f64 v[38:39], v[4:5], v[10:11]
	v_fma_f64 v[36:37], v[4:5], v[8:9], -v[36:37]
	v_fma_f64 v[38:39], v[6:7], v[8:9], v[38:39]
	v_add_f64 v[44:45], v[48:49], v[36:37]
	v_add_f64 v[46:47], v[38:39], v[50:51]
	ds_read_b128 v[36:39], v52 offset:1792
	s_waitcnt lgkmcnt(0)
	v_mul_f64 v[48:49], v[6:7], v[38:39]
	v_fma_f64 v[48:49], v[4:5], v[36:37], -v[48:49]
	v_mul_f64 v[4:5], v[4:5], v[38:39]
	v_add_f64 v[48:49], v[70:71], v[48:49]
	v_fma_f64 v[4:5], v[6:7], v[36:37], v[4:5]
	v_add_f64 v[50:51], v[4:5], v[68:69]
	ds_read_b128 v[4:7], v53 offset:8240
	s_waitcnt lgkmcnt(0)
	v_mul_f64 v[68:69], v[6:7], v[10:11]
	v_mul_f64 v[10:11], v[4:5], v[10:11]
	v_fma_f64 v[68:69], v[4:5], v[8:9], -v[68:69]
	v_fma_f64 v[8:9], v[6:7], v[8:9], v[10:11]
	v_add_f64 v[68:69], v[72:73], v[68:69]
	v_add_f64 v[70:71], v[8:9], v[74:75]
	v_mul_f64 v[8:9], v[6:7], v[38:39]
	v_fma_f64 v[8:9], v[4:5], v[36:37], -v[8:9]
	v_mul_f64 v[4:5], v[4:5], v[38:39]
	v_add_f64 v[40:41], v[40:41], v[8:9]
	v_fma_f64 v[4:5], v[6:7], v[36:37], v[4:5]
	v_add_f64 v[42:43], v[4:5], v[42:43]
	ds_read_b128 v[4:7], v53 offset:64
	ds_read_b128 v[8:11], v52 offset:2048
	s_waitcnt lgkmcnt(0)
	v_mul_f64 v[36:37], v[6:7], v[10:11]
	v_mul_f64 v[38:39], v[4:5], v[10:11]
	v_fma_f64 v[36:37], v[4:5], v[8:9], -v[36:37]
	v_fma_f64 v[38:39], v[6:7], v[8:9], v[38:39]
	v_add_f64 v[44:45], v[44:45], v[36:37]
	v_add_f64 v[46:47], v[38:39], v[46:47]
	ds_read_b128 v[36:39], v52 offset:2304
	s_waitcnt lgkmcnt(0)
	v_mul_f64 v[72:73], v[6:7], v[38:39]
	v_fma_f64 v[72:73], v[4:5], v[36:37], -v[72:73]
	v_mul_f64 v[4:5], v[4:5], v[38:39]
	v_add_f64 v[48:49], v[48:49], v[72:73]
	v_fma_f64 v[4:5], v[6:7], v[36:37], v[4:5]
	v_add_f64 v[50:51], v[4:5], v[50:51]
	ds_read_b128 v[4:7], v53 offset:8256
	s_waitcnt lgkmcnt(0)
	v_mul_f64 v[72:73], v[6:7], v[10:11]
	v_mul_f64 v[10:11], v[4:5], v[10:11]
	v_fma_f64 v[72:73], v[4:5], v[8:9], -v[72:73]
	v_fma_f64 v[8:9], v[6:7], v[8:9], v[10:11]
	v_add_f64 v[68:69], v[68:69], v[72:73]
	v_add_f64 v[70:71], v[8:9], v[70:71]
	v_mul_f64 v[8:9], v[6:7], v[38:39]
	v_fma_f64 v[8:9], v[4:5], v[36:37], -v[8:9]
	v_mul_f64 v[4:5], v[4:5], v[38:39]
	v_add_f64 v[72:73], v[40:41], v[8:9]
	v_fma_f64 v[4:5], v[6:7], v[36:37], v[4:5]
	v_add_f64 v[74:75], v[4:5], v[42:43]
	ds_read_b128 v[4:7], v53 offset:80
	ds_read_b128 v[8:11], v52 offset:2560
	s_waitcnt lgkmcnt(0)
	v_mul_f64 v[36:37], v[6:7], v[10:11]
	v_mul_f64 v[38:39], v[4:5], v[10:11]
	v_fma_f64 v[36:37], v[4:5], v[8:9], -v[36:37]
	v_fma_f64 v[38:39], v[6:7], v[8:9], v[38:39]
	v_add_f64 v[44:45], v[44:45], v[36:37]
	v_add_f64 v[46:47], v[38:39], v[46:47]
	ds_read_b128 v[36:39], v52 offset:2816
	s_waitcnt lgkmcnt(0)
	v_mul_f64 v[40:41], v[6:7], v[38:39]
	v_fma_f64 v[40:41], v[4:5], v[36:37], -v[40:41]
	v_mul_f64 v[4:5], v[4:5], v[38:39]
	v_fma_f64 v[6:7], v[6:7], v[36:37], v[4:5]
	v_add_f64 v[4:5], v[48:49], v[40:41]
	ds_read_b128 v[40:43], v53 offset:8272
	s_waitcnt lgkmcnt(0)
	v_mul_f64 v[48:49], v[42:43], v[10:11]
	v_mul_f64 v[10:11], v[40:41], v[10:11]
	v_add_f64 v[6:7], v[6:7], v[50:51]
	v_fma_f64 v[48:49], v[40:41], v[8:9], -v[48:49]
	v_fma_f64 v[8:9], v[42:43], v[8:9], v[10:11]
	v_mul_f64 v[10:11], v[40:41], v[38:39]
	v_add_f64 v[48:49], v[68:69], v[48:49]
	v_add_f64 v[50:51], v[8:9], v[70:71]
	v_mul_f64 v[8:9], v[42:43], v[38:39]
	v_fma_f64 v[10:11], v[42:43], v[36:37], v[10:11]
	v_fma_f64 v[8:9], v[40:41], v[36:37], -v[8:9]
	v_add_f64 v[70:71], v[10:11], v[74:75]
	v_add_f64 v[68:69], v[72:73], v[8:9]
	ds_read_b128 v[8:11], v53 offset:96
	ds_read_b128 v[36:39], v52 offset:3072
	s_waitcnt lgkmcnt(0)
	v_mul_f64 v[40:41], v[10:11], v[38:39]
	v_mul_f64 v[42:43], v[8:9], v[38:39]
	v_fma_f64 v[40:41], v[8:9], v[36:37], -v[40:41]
	v_fma_f64 v[42:43], v[10:11], v[36:37], v[42:43]
	v_add_f64 v[44:45], v[44:45], v[40:41]
	v_add_f64 v[46:47], v[42:43], v[46:47]
	ds_read_b128 v[40:43], v52 offset:3328
	s_waitcnt lgkmcnt(0)
	v_mul_f64 v[72:73], v[10:11], v[42:43]
	v_fma_f64 v[72:73], v[8:9], v[40:41], -v[72:73]
	v_mul_f64 v[8:9], v[8:9], v[42:43]
	v_add_f64 v[72:73], v[4:5], v[72:73]
	v_fma_f64 v[8:9], v[10:11], v[40:41], v[8:9]
	v_add_f64 v[74:75], v[8:9], v[6:7]
	ds_read_b128 v[4:7], v53 offset:8288
	s_waitcnt lgkmcnt(0)
	v_mul_f64 v[8:9], v[6:7], v[38:39]
	v_mul_f64 v[10:11], v[4:5], v[38:39]
	v_fma_f64 v[8:9], v[4:5], v[36:37], -v[8:9]
	v_fma_f64 v[10:11], v[6:7], v[36:37], v[10:11]
	v_add_f64 v[48:49], v[48:49], v[8:9]
	v_mul_f64 v[8:9], v[6:7], v[42:43]
	v_add_f64 v[50:51], v[10:11], v[50:51]
	v_fma_f64 v[8:9], v[4:5], v[40:41], -v[8:9]
	v_mul_f64 v[4:5], v[4:5], v[42:43]
	v_fma_f64 v[4:5], v[6:7], v[40:41], v[4:5]
	v_add_f64 v[40:41], v[68:69], v[8:9]
	v_add_f64 v[42:43], v[4:5], v[70:71]
	ds_read_b128 v[4:7], v53 offset:112
	ds_read_b128 v[8:11], v52 offset:3584
	s_waitcnt lgkmcnt(0)
	v_mul_f64 v[36:37], v[6:7], v[10:11]
	v_mul_f64 v[38:39], v[4:5], v[10:11]
	v_fma_f64 v[36:37], v[4:5], v[8:9], -v[36:37]
	v_fma_f64 v[38:39], v[6:7], v[8:9], v[38:39]
	v_add_f64 v[44:45], v[44:45], v[36:37]
	v_add_f64 v[46:47], v[38:39], v[46:47]
	ds_read_b128 v[36:39], v52 offset:3840
	s_waitcnt lgkmcnt(0)
	v_mul_f64 v[68:69], v[6:7], v[38:39]
	v_fma_f64 v[68:69], v[4:5], v[36:37], -v[68:69]
	v_mul_f64 v[4:5], v[4:5], v[38:39]
	v_add_f64 v[68:69], v[72:73], v[68:69]
	v_fma_f64 v[4:5], v[6:7], v[36:37], v[4:5]
	v_add_f64 v[70:71], v[4:5], v[74:75]
	ds_read_b128 v[4:7], v53 offset:8304
	s_waitcnt lgkmcnt(0)
	v_mul_f64 v[72:73], v[6:7], v[10:11]
	v_mul_f64 v[10:11], v[4:5], v[10:11]
	v_fma_f64 v[72:73], v[4:5], v[8:9], -v[72:73]
	v_fma_f64 v[8:9], v[6:7], v[8:9], v[10:11]
	v_add_f64 v[48:49], v[48:49], v[72:73]
	v_add_f64 v[50:51], v[8:9], v[50:51]
	v_mul_f64 v[8:9], v[6:7], v[38:39]
	v_fma_f64 v[8:9], v[4:5], v[36:37], -v[8:9]
	v_mul_f64 v[4:5], v[4:5], v[38:39]
	v_add_f64 v[40:41], v[40:41], v[8:9]
	v_fma_f64 v[4:5], v[6:7], v[36:37], v[4:5]
	v_add_f64 v[42:43], v[4:5], v[42:43]
	ds_read_b128 v[4:7], v53 offset:128
	ds_read_b128 v[8:11], v52 offset:4096
	s_waitcnt lgkmcnt(0)
	v_mul_f64 v[36:37], v[6:7], v[10:11]
	v_mul_f64 v[38:39], v[4:5], v[10:11]
	v_fma_f64 v[36:37], v[4:5], v[8:9], -v[36:37]
	v_fma_f64 v[38:39], v[6:7], v[8:9], v[38:39]
	v_add_f64 v[44:45], v[44:45], v[36:37]
	v_add_f64 v[46:47], v[38:39], v[46:47]
	ds_read_b128 v[36:39], v52 offset:4352
	s_waitcnt lgkmcnt(0)
	v_mul_f64 v[72:73], v[6:7], v[38:39]
	v_fma_f64 v[72:73], v[4:5], v[36:37], -v[72:73]
	v_mul_f64 v[4:5], v[4:5], v[38:39]
	v_add_f64 v[68:69], v[68:69], v[72:73]
	v_fma_f64 v[4:5], v[6:7], v[36:37], v[4:5]
	v_add_f64 v[70:71], v[4:5], v[70:71]
	ds_read_b128 v[4:7], v53 offset:8320
	s_waitcnt lgkmcnt(0)
	v_mul_f64 v[72:73], v[6:7], v[10:11]
	v_mul_f64 v[10:11], v[4:5], v[10:11]
	v_fma_f64 v[72:73], v[4:5], v[8:9], -v[72:73]
	v_fma_f64 v[8:9], v[6:7], v[8:9], v[10:11]
	v_add_f64 v[48:49], v[48:49], v[72:73]
	v_add_f64 v[50:51], v[8:9], v[50:51]
	v_mul_f64 v[8:9], v[6:7], v[38:39]
	v_fma_f64 v[8:9], v[4:5], v[36:37], -v[8:9]
	v_mul_f64 v[4:5], v[4:5], v[38:39]
	v_add_f64 v[40:41], v[40:41], v[8:9]
	v_fma_f64 v[4:5], v[6:7], v[36:37], v[4:5]
	;; [unrolled: 31-line block ×21, first 2 shown]
	v_add_f64 v[42:43], v[4:5], v[42:43]
	ds_read_b128 v[4:7], v53 offset:448
	ds_read_b128 v[8:11], v52 offset:14336
	s_waitcnt lgkmcnt(0)
	v_mul_f64 v[36:37], v[6:7], v[10:11]
	v_mul_f64 v[38:39], v[4:5], v[10:11]
	v_fma_f64 v[36:37], v[4:5], v[8:9], -v[36:37]
	v_fma_f64 v[38:39], v[6:7], v[8:9], v[38:39]
	v_add_f64 v[44:45], v[44:45], v[36:37]
	v_add_f64 v[46:47], v[38:39], v[46:47]
	ds_read_b128 v[36:39], v52 offset:14592
	s_waitcnt lgkmcnt(0)
	v_mul_f64 v[72:73], v[6:7], v[38:39]
	v_fma_f64 v[72:73], v[4:5], v[36:37], -v[72:73]
	v_mul_f64 v[4:5], v[4:5], v[38:39]
	v_add_f64 v[68:69], v[68:69], v[72:73]
	v_fma_f64 v[4:5], v[6:7], v[36:37], v[4:5]
	v_add_f64 v[70:71], v[4:5], v[70:71]
	ds_read_b128 v[4:7], v53 offset:8640
	s_waitcnt lgkmcnt(0)
	v_mul_f64 v[72:73], v[6:7], v[10:11]
	v_mul_f64 v[10:11], v[4:5], v[10:11]
	v_fma_f64 v[72:73], v[4:5], v[8:9], -v[72:73]
	v_fma_f64 v[8:9], v[6:7], v[8:9], v[10:11]
	v_add_f64 v[48:49], v[48:49], v[72:73]
	v_add_f64 v[50:51], v[8:9], v[50:51]
	v_mul_f64 v[8:9], v[6:7], v[38:39]
	v_fma_f64 v[8:9], v[4:5], v[36:37], -v[8:9]
	v_mul_f64 v[4:5], v[4:5], v[38:39]
	v_fma_f64 v[6:7], v[6:7], v[36:37], v[4:5]
	v_add_f64 v[4:5], v[40:41], v[8:9]
	ds_read_b128 v[8:11], v53 offset:464
	ds_read_b128 v[36:39], v52 offset:14848
	v_add_f64 v[6:7], v[6:7], v[42:43]
	s_waitcnt lgkmcnt(0)
	v_mul_f64 v[40:41], v[10:11], v[38:39]
	v_mul_f64 v[42:43], v[8:9], v[38:39]
	v_fma_f64 v[40:41], v[8:9], v[36:37], -v[40:41]
	v_fma_f64 v[42:43], v[10:11], v[36:37], v[42:43]
	v_add_f64 v[44:45], v[44:45], v[40:41]
	v_add_f64 v[46:47], v[42:43], v[46:47]
	ds_read_b128 v[40:43], v52 offset:15104
	s_waitcnt lgkmcnt(0)
	v_mul_f64 v[72:73], v[10:11], v[42:43]
	v_fma_f64 v[72:73], v[8:9], v[40:41], -v[72:73]
	v_mul_f64 v[8:9], v[8:9], v[42:43]
	v_add_f64 v[68:69], v[68:69], v[72:73]
	v_fma_f64 v[8:9], v[10:11], v[40:41], v[8:9]
	v_add_f64 v[70:71], v[8:9], v[70:71]
	ds_read_b128 v[8:11], v53 offset:8656
	s_waitcnt lgkmcnt(0)
	v_mul_f64 v[72:73], v[10:11], v[38:39]
	v_mul_f64 v[38:39], v[8:9], v[38:39]
	v_fma_f64 v[72:73], v[8:9], v[36:37], -v[72:73]
	v_fma_f64 v[36:37], v[10:11], v[36:37], v[38:39]
	v_add_f64 v[48:49], v[48:49], v[72:73]
	v_add_f64 v[50:51], v[36:37], v[50:51]
	v_mul_f64 v[36:37], v[10:11], v[42:43]
	v_fma_f64 v[36:37], v[8:9], v[40:41], -v[36:37]
	v_mul_f64 v[8:9], v[8:9], v[42:43]
	v_fma_f64 v[8:9], v[10:11], v[40:41], v[8:9]
	v_add_f64 v[40:41], v[4:5], v[36:37]
	v_add_f64 v[42:43], v[8:9], v[6:7]
	ds_read_b128 v[4:7], v53 offset:480
	ds_read_b128 v[8:11], v52 offset:15360
	s_waitcnt lgkmcnt(0)
	v_mul_f64 v[36:37], v[6:7], v[10:11]
	v_mul_f64 v[38:39], v[4:5], v[10:11]
	v_fma_f64 v[36:37], v[4:5], v[8:9], -v[36:37]
	v_fma_f64 v[38:39], v[6:7], v[8:9], v[38:39]
	v_add_f64 v[72:73], v[44:45], v[36:37]
	v_add_f64 v[74:75], v[38:39], v[46:47]
	ds_read_b128 v[36:39], v52 offset:15616
	s_waitcnt lgkmcnt(0)
	v_mul_f64 v[44:45], v[6:7], v[38:39]
	v_fma_f64 v[44:45], v[4:5], v[36:37], -v[44:45]
	v_mul_f64 v[4:5], v[4:5], v[38:39]
	v_add_f64 v[68:69], v[68:69], v[44:45]
	v_fma_f64 v[4:5], v[6:7], v[36:37], v[4:5]
	v_add_f64 v[70:71], v[4:5], v[70:71]
	ds_read_b128 v[4:7], v53 offset:8672
	s_waitcnt lgkmcnt(0)
	v_mul_f64 v[44:45], v[6:7], v[10:11]
	v_mul_f64 v[10:11], v[4:5], v[10:11]
	v_fma_f64 v[44:45], v[4:5], v[8:9], -v[44:45]
	v_fma_f64 v[8:9], v[6:7], v[8:9], v[10:11]
	v_add_f64 v[76:77], v[48:49], v[44:45]
	v_add_f64 v[78:79], v[8:9], v[50:51]
	v_mul_f64 v[8:9], v[6:7], v[38:39]
	v_fma_f64 v[8:9], v[4:5], v[36:37], -v[8:9]
	v_mul_f64 v[4:5], v[4:5], v[38:39]
	v_fma_f64 v[6:7], v[6:7], v[36:37], v[4:5]
	v_add_f64 v[4:5], v[40:41], v[8:9]
	ds_read_b128 v[8:11], v53 offset:496
	ds_read_b128 v[44:47], v52 offset:15872
	;; [unrolled: 1-line block ×3, first 2 shown]
	s_waitcnt lgkmcnt(1)
	v_mul_f64 v[36:37], v[10:11], v[46:47]
	v_mul_f64 v[38:39], v[8:9], v[46:47]
	v_add_f64 v[6:7], v[6:7], v[42:43]
	v_fma_f64 v[36:37], v[8:9], v[44:45], -v[36:37]
	v_fma_f64 v[38:39], v[10:11], v[44:45], v[38:39]
	v_add_f64 v[40:41], v[72:73], v[36:37]
	s_waitcnt lgkmcnt(0)
	v_mul_f64 v[36:37], v[10:11], v[50:51]
	v_add_f64 v[42:43], v[38:39], v[74:75]
	v_fma_f64 v[36:37], v[8:9], v[48:49], -v[36:37]
	v_mul_f64 v[8:9], v[8:9], v[50:51]
	v_add_f64 v[36:37], v[68:69], v[36:37]
	v_fma_f64 v[8:9], v[10:11], v[48:49], v[8:9]
	v_add_f64 v[38:39], v[8:9], v[70:71]
	ds_read_b128 v[8:11], v53 offset:8688
	s_waitcnt lgkmcnt(0)
	s_barrier
	buffer_gl0_inv
	v_mul_f64 v[68:69], v[10:11], v[46:47]
	v_mul_f64 v[46:47], v[8:9], v[46:47]
	v_fma_f64 v[68:69], v[8:9], v[44:45], -v[68:69]
	v_fma_f64 v[46:47], v[10:11], v[44:45], v[46:47]
	v_add_f64 v[44:45], v[76:77], v[68:69]
	v_mul_f64 v[68:69], v[10:11], v[50:51]
	v_add_f64 v[46:47], v[46:47], v[78:79]
	v_fma_f64 v[68:69], v[8:9], v[48:49], -v[68:69]
	v_mul_f64 v[8:9], v[8:9], v[50:51]
	v_add_f64 v[50:51], v[4:5], v[68:69]
	v_fma_f64 v[8:9], v[10:11], v[48:49], v[8:9]
	v_add_f64 v[48:49], v[8:9], v[6:7]
	s_cbranch_scc1 .LBB114_55
.LBB114_7:                              ;   Parent Loop BB114_4 Depth=1
                                        ; =>  This Inner Loop Header: Depth=2
	v_add_co_u32 v8, s5, v1, s18
	v_add_co_ci_u32_e64 v9, null, 0, s19, s5
	v_cmp_eq_u64_e64 s8, s[18:19], v[16:17]
	v_cmp_le_i64_e64 s6, s[10:11], v[8:9]
	v_cmp_gt_i64_e64 s5, v[8:9], v[12:13]
	s_and_b32 s21, s28, s8
	v_add_co_u32 v6, s8, v62, s16
	v_add_co_ci_u32_e64 v7, null, s17, v63, s8
	s_or_b32 s9, s6, s5
	s_or_b32 s8, s9, s21
	s_nor_b32 s8, s0, s8
	s_and_saveexec_b32 s9, s8
	s_xor_b32 s8, exec_lo, s9
	s_cbranch_execz .LBB114_9
; %bb.8:                                ;   in Loop: Header=BB114_7 Depth=2
	global_load_dwordx4 v[68:71], v[6:7], off offset:-256
	s_waitcnt vmcnt(0)
	ds_write2_b64 v54, v[68:69], v[70:71] offset1:1
.LBB114_9:                              ;   in Loop: Header=BB114_7 Depth=2
	s_or_saveexec_b32 s8, s8
	s_xor_b32 s20, s21, -1
	s_xor_b32 exec_lo, exec_lo, s8
	s_cbranch_execz .LBB114_15
; %bb.10:                               ;   in Loop: Header=BB114_7 Depth=2
	s_and_saveexec_b32 s9, s20
	s_xor_b32 s9, exec_lo, s9
	s_cbranch_execz .LBB114_12
; %bb.11:                               ;   in Loop: Header=BB114_7 Depth=2
	v_mov_b32_e32 v68, v2
	v_mov_b32_e32 v69, v2
	;; [unrolled: 1-line block ×4, first 2 shown]
	ds_write_b128 v54, v[68:71]
.LBB114_12:                             ;   in Loop: Header=BB114_7 Depth=2
	s_andn2_saveexec_b32 s9, s9
; %bb.13:                               ;   in Loop: Header=BB114_7 Depth=2
	v_mov_b32_e32 v4, v2
	v_mov_b32_e32 v5, v2
	ds_write_b128 v54, v[2:5]
; %bb.14:                               ;   in Loop: Header=BB114_7 Depth=2
	s_or_b32 exec_lo, exec_lo, s9
.LBB114_15:                             ;   in Loop: Header=BB114_7 Depth=2
	s_or_b32 exec_lo, exec_lo, s8
	v_cmp_eq_u64_e64 s8, s[18:19], v[18:19]
	v_cmp_lt_i64_e64 s9, v[14:15], v[8:9]
	s_and_b32 s8, s28, s8
	s_or_b32 s6, s6, s9
	s_or_b32 s6, s6, s8
	s_nor_b32 s6, s3, s6
	s_and_saveexec_b32 s9, s6
	s_xor_b32 s9, exec_lo, s9
	s_cbranch_execz .LBB114_17
; %bb.16:                               ;   in Loop: Header=BB114_7 Depth=2
	v_add_co_u32 v4, s6, v64, s16
	v_add_co_ci_u32_e64 v5, null, s17, v65, s6
	global_load_dwordx4 v[68:71], v[4:5], off
	s_waitcnt vmcnt(0)
	ds_write2_b64 v56, v[68:69], v[70:71] offset1:1
.LBB114_17:                             ;   in Loop: Header=BB114_7 Depth=2
	s_andn2_saveexec_b32 s6, s9
	s_cbranch_execz .LBB114_23
; %bb.18:                               ;   in Loop: Header=BB114_7 Depth=2
	s_xor_b32 s8, s8, -1
	s_and_saveexec_b32 s9, s8
	s_xor_b32 s8, exec_lo, s9
	s_cbranch_execz .LBB114_20
; %bb.19:                               ;   in Loop: Header=BB114_7 Depth=2
	v_mov_b32_e32 v68, v2
	v_mov_b32_e32 v69, v2
	;; [unrolled: 1-line block ×4, first 2 shown]
	ds_write_b128 v54, v[68:71] offset:256
.LBB114_20:                             ;   in Loop: Header=BB114_7 Depth=2
	s_andn2_saveexec_b32 s8, s8
; %bb.21:                               ;   in Loop: Header=BB114_7 Depth=2
	v_mov_b32_e32 v4, v2
	v_mov_b32_e32 v5, v2
	ds_write_b128 v54, v[2:5] offset:256
; %bb.22:                               ;   in Loop: Header=BB114_7 Depth=2
	s_or_b32 exec_lo, exec_lo, s8
.LBB114_23:                             ;   in Loop: Header=BB114_7 Depth=2
	s_or_b32 exec_lo, exec_lo, s6
	v_add_co_u32 v4, s6, v8, 16
	v_add_co_ci_u32_e64 v5, null, 0, v9, s6
	v_cmp_eq_u64_e64 s8, s[18:19], v[20:21]
	v_cmp_le_i64_e64 s6, s[10:11], v[4:5]
	v_cmp_gt_i64_e64 s9, v[4:5], v[12:13]
	s_and_b32 s22, s28, s8
	s_or_b32 s8, s6, s9
	s_or_b32 s8, s8, s22
	s_nor_b32 s8, s0, s8
	s_and_saveexec_b32 s9, s8
	s_xor_b32 s8, exec_lo, s9
	s_cbranch_execz .LBB114_25
; %bb.24:                               ;   in Loop: Header=BB114_7 Depth=2
	global_load_dwordx4 v[4:7], v[6:7], off
	s_waitcnt vmcnt(0)
	ds_write2_b64 v57, v[4:5], v[6:7] offset1:1
.LBB114_25:                             ;   in Loop: Header=BB114_7 Depth=2
	s_andn2_saveexec_b32 s8, s8
	s_cbranch_execz .LBB114_31
; %bb.26:                               ;   in Loop: Header=BB114_7 Depth=2
	s_xor_b32 s9, s22, -1
	s_and_saveexec_b32 s22, s9
	s_xor_b32 s9, exec_lo, s22
	s_cbranch_execz .LBB114_28
; %bb.27:                               ;   in Loop: Header=BB114_7 Depth=2
	v_mov_b32_e32 v4, v2
	v_mov_b32_e32 v5, v2
	;; [unrolled: 1-line block ×4, first 2 shown]
	ds_write_b128 v54, v[4:7] offset:8192
.LBB114_28:                             ;   in Loop: Header=BB114_7 Depth=2
	s_andn2_saveexec_b32 s9, s9
; %bb.29:                               ;   in Loop: Header=BB114_7 Depth=2
	v_mov_b32_e32 v4, v2
	v_mov_b32_e32 v5, v2
	ds_write_b128 v54, v[2:5] offset:8192
; %bb.30:                               ;   in Loop: Header=BB114_7 Depth=2
	s_or_b32 exec_lo, exec_lo, s9
.LBB114_31:                             ;   in Loop: Header=BB114_7 Depth=2
	s_or_b32 exec_lo, exec_lo, s8
	s_or_b32 s5, s6, s5
	s_or_b32 s5, s5, s21
	s_nor_b32 s5, s3, s5
	s_and_saveexec_b32 s6, s5
	s_xor_b32 s6, exec_lo, s6
	s_cbranch_execz .LBB114_33
; %bb.32:                               ;   in Loop: Header=BB114_7 Depth=2
	v_add_co_u32 v4, s5, v64, s16
	v_add_co_ci_u32_e64 v5, null, s17, v65, s5
	global_load_dwordx4 v[4:7], v[4:5], off offset:256
	s_waitcnt vmcnt(0)
	ds_write2_b64 v58, v[4:5], v[6:7] offset1:1
.LBB114_33:                             ;   in Loop: Header=BB114_7 Depth=2
	s_andn2_saveexec_b32 s5, s6
	s_cbranch_execz .LBB114_39
; %bb.34:                               ;   in Loop: Header=BB114_7 Depth=2
	s_and_saveexec_b32 s6, s20
	s_xor_b32 s6, exec_lo, s6
	s_cbranch_execz .LBB114_36
; %bb.35:                               ;   in Loop: Header=BB114_7 Depth=2
	v_mov_b32_e32 v4, v2
	v_mov_b32_e32 v5, v2
	;; [unrolled: 1-line block ×4, first 2 shown]
	ds_write_b128 v54, v[4:7] offset:8448
.LBB114_36:                             ;   in Loop: Header=BB114_7 Depth=2
	s_andn2_saveexec_b32 s6, s6
; %bb.37:                               ;   in Loop: Header=BB114_7 Depth=2
	v_mov_b32_e32 v4, v2
	v_mov_b32_e32 v5, v2
	ds_write_b128 v54, v[2:5] offset:8448
; %bb.38:                               ;   in Loop: Header=BB114_7 Depth=2
	s_or_b32 exec_lo, exec_lo, s6
.LBB114_39:                             ;   in Loop: Header=BB114_7 Depth=2
	s_or_b32 exec_lo, exec_lo, s5
	v_add_co_u32 v4, s5, v0, s18
	v_add_co_ci_u32_e64 v5, null, 0, s19, s5
	v_cmp_gt_i64_e64 s5, s[10:11], v[4:5]
	s_and_b32 s6, vcc_lo, s5
	s_xor_b32 s6, s6, -1
	s_and_saveexec_b32 s8, s6
	s_xor_b32 s6, exec_lo, s8
	s_cbranch_execz .LBB114_41
; %bb.40:                               ;   in Loop: Header=BB114_7 Depth=2
	v_mov_b32_e32 v6, v2
	v_mov_b32_e32 v7, v2
	v_mov_b32_e32 v8, v2
	v_mov_b32_e32 v9, v2
	ds_write_b128 v55, v[6:9]
.LBB114_41:                             ;   in Loop: Header=BB114_7 Depth=2
	s_or_saveexec_b32 s8, s6
	v_add_co_u32 v6, s6, v32, s16
	v_add_co_ci_u32_e64 v7, null, s17, v33, s6
	s_xor_b32 exec_lo, exec_lo, s8
	s_cbranch_execz .LBB114_43
; %bb.42:                               ;   in Loop: Header=BB114_7 Depth=2
	global_load_dwordx4 v[8:11], v[6:7], off offset:-256
	s_waitcnt vmcnt(0)
	ds_write2_b64 v55, v[8:9], v[10:11] offset1:1
.LBB114_43:                             ;   in Loop: Header=BB114_7 Depth=2
	s_or_b32 exec_lo, exec_lo, s8
	v_cmp_gt_i64_e64 s6, s[34:35], v[4:5]
	s_and_b32 s8, vcc_lo, s6
	s_xor_b32 s8, s8, -1
	s_and_saveexec_b32 s9, s8
	s_xor_b32 s8, exec_lo, s9
	s_cbranch_execz .LBB114_45
; %bb.44:                               ;   in Loop: Header=BB114_7 Depth=2
	v_mov_b32_e32 v4, v2
	v_mov_b32_e32 v5, v2
	v_mov_b32_e32 v6, v2
	v_mov_b32_e32 v7, v2
	ds_write_b128 v55, v[4:7] offset:256
                                        ; implicit-def: $vgpr6_vgpr7
.LBB114_45:                             ;   in Loop: Header=BB114_7 Depth=2
	s_andn2_saveexec_b32 s8, s8
	s_cbranch_execz .LBB114_47
; %bb.46:                               ;   in Loop: Header=BB114_7 Depth=2
	global_load_dwordx4 v[4:7], v[6:7], off
	s_waitcnt vmcnt(0)
	ds_write2_b64 v59, v[4:5], v[6:7] offset1:1
.LBB114_47:                             ;   in Loop: Header=BB114_7 Depth=2
	s_or_b32 exec_lo, exec_lo, s8
	s_and_b32 s5, s4, s5
	s_xor_b32 s5, s5, -1
	s_and_saveexec_b32 s8, s5
	s_xor_b32 s5, exec_lo, s8
	s_cbranch_execz .LBB114_49
; %bb.48:                               ;   in Loop: Header=BB114_7 Depth=2
	v_mov_b32_e32 v4, v2
	v_mov_b32_e32 v5, v2
	;; [unrolled: 1-line block ×4, first 2 shown]
	ds_write_b128 v55, v[4:7] offset:8192
.LBB114_49:                             ;   in Loop: Header=BB114_7 Depth=2
	s_or_saveexec_b32 s8, s5
	v_add_co_u32 v4, s5, v34, s16
	v_add_co_ci_u32_e64 v5, null, s17, v35, s5
	s_xor_b32 exec_lo, exec_lo, s8
	s_cbranch_execz .LBB114_51
; %bb.50:                               ;   in Loop: Header=BB114_7 Depth=2
	global_load_dwordx4 v[6:9], v[4:5], off
	s_waitcnt vmcnt(0)
	ds_write2_b64 v60, v[6:7], v[8:9] offset1:1
.LBB114_51:                             ;   in Loop: Header=BB114_7 Depth=2
	s_or_b32 exec_lo, exec_lo, s8
	s_and_b32 s5, s4, s6
	s_xor_b32 s5, s5, -1
	s_and_saveexec_b32 s6, s5
	s_xor_b32 s5, exec_lo, s6
	s_cbranch_execz .LBB114_53
; %bb.52:                               ;   in Loop: Header=BB114_7 Depth=2
	v_mov_b32_e32 v4, v2
	v_mov_b32_e32 v5, v2
	;; [unrolled: 1-line block ×4, first 2 shown]
	ds_write_b128 v55, v[4:7] offset:8448
                                        ; implicit-def: $vgpr4_vgpr5
.LBB114_53:                             ;   in Loop: Header=BB114_7 Depth=2
	s_andn2_saveexec_b32 s5, s5
	s_cbranch_execz .LBB114_6
; %bb.54:                               ;   in Loop: Header=BB114_7 Depth=2
	global_load_dwordx4 v[4:7], v[4:5], off offset:256
	s_waitcnt vmcnt(0)
	ds_write2_b64 v61, v[4:5], v[6:7] offset1:1
	s_branch .LBB114_6
.LBB114_55:                             ;   in Loop: Header=BB114_4 Depth=1
	v_mul_lo_u32 v6, s45, v66
	v_mul_lo_u32 v7, s44, v67
	v_mad_u64_u32 v[4:5], null, s44, v66, 0
	v_cmp_gt_i32_e32 vcc_lo, s30, v66
	v_add3_u32 v5, v5, v7, v6
	v_lshlrev_b64 v[4:5], 4, v[4:5]
	v_add_co_u32 v4, s4, s40, v4
	v_add_co_ci_u32_e64 v5, null, s41, v5, s4
	s_and_b32 s4, s1, vcc_lo
	s_and_saveexec_b32 s5, s4
	s_cbranch_execz .LBB114_57
; %bb.56:                               ;   in Loop: Header=BB114_4 Depth=1
	v_add_co_u32 v10, s4, v4, v26
	v_add_co_ci_u32_e64 v11, null, v5, v27, s4
	v_mul_f64 v[32:33], s[14:15], v[42:43]
	v_mul_f64 v[34:35], s[12:13], v[42:43]
	global_load_dwordx4 v[6:9], v[10:11], off
	v_fma_f64 v[32:33], s[12:13], v[40:41], -v[32:33]
	v_fma_f64 v[34:35], s[14:15], v[40:41], v[34:35]
	s_waitcnt vmcnt(0)
	v_add_f64 v[6:7], v[6:7], v[32:33]
	v_add_f64 v[8:9], v[34:35], v[8:9]
	global_store_dwordx4 v[10:11], v[6:9], off
.LBB114_57:                             ;   in Loop: Header=BB114_4 Depth=1
	s_or_b32 exec_lo, exec_lo, s5
	s_and_b32 s5, s2, vcc_lo
	s_and_saveexec_b32 s4, s5
	s_cbranch_execz .LBB114_59
; %bb.58:                               ;   in Loop: Header=BB114_4 Depth=1
	v_add_co_u32 v8, vcc_lo, v4, v30
	v_add_co_ci_u32_e64 v9, null, v5, v31, vcc_lo
	v_mul_f64 v[10:11], s[14:15], v[38:39]
	v_mul_f64 v[32:33], s[12:13], v[38:39]
	global_load_dwordx4 v[4:7], v[8:9], off
	v_fma_f64 v[10:11], s[12:13], v[36:37], -v[10:11]
	v_fma_f64 v[32:33], s[14:15], v[36:37], v[32:33]
	s_waitcnt vmcnt(0)
	v_add_f64 v[4:5], v[4:5], v[10:11]
	v_add_f64 v[6:7], v[32:33], v[6:7]
	global_store_dwordx4 v[8:9], v[4:7], off
.LBB114_59:                             ;   in Loop: Header=BB114_4 Depth=1
	s_or_b32 exec_lo, exec_lo, s4
	v_add_nc_u32_e32 v6, 16, v66
	v_ashrrev_i32_e32 v7, 31, v6
	v_mul_lo_u32 v8, s45, v6
	v_mad_u64_u32 v[4:5], null, s44, v6, 0
	v_cmp_gt_i32_e32 vcc_lo, s30, v6
	v_mul_lo_u32 v7, s44, v7
	v_add3_u32 v5, v5, v7, v8
	v_lshlrev_b64 v[4:5], 4, v[4:5]
	v_add_co_u32 v4, s4, s40, v4
	v_add_co_ci_u32_e64 v5, null, s41, v5, s4
	s_and_b32 s4, s1, vcc_lo
	s_and_saveexec_b32 s5, s4
	s_cbranch_execz .LBB114_61
; %bb.60:                               ;   in Loop: Header=BB114_4 Depth=1
	v_add_co_u32 v10, s4, v4, v26
	v_add_co_ci_u32_e64 v11, null, v5, v27, s4
	v_mul_f64 v[32:33], s[14:15], v[46:47]
	v_mul_f64 v[34:35], s[12:13], v[46:47]
	global_load_dwordx4 v[6:9], v[10:11], off
	v_fma_f64 v[32:33], s[12:13], v[44:45], -v[32:33]
	v_fma_f64 v[34:35], s[14:15], v[44:45], v[34:35]
	s_waitcnt vmcnt(0)
	v_add_f64 v[6:7], v[6:7], v[32:33]
	v_add_f64 v[8:9], v[34:35], v[8:9]
	global_store_dwordx4 v[10:11], v[6:9], off
.LBB114_61:                             ;   in Loop: Header=BB114_4 Depth=1
	s_or_b32 exec_lo, exec_lo, s5
	s_and_b32 s5, s2, vcc_lo
	s_and_saveexec_b32 s4, s5
	s_cbranch_execz .LBB114_3
; %bb.62:                               ;   in Loop: Header=BB114_4 Depth=1
	v_add_co_u32 v8, vcc_lo, v4, v30
	v_add_co_ci_u32_e64 v9, null, v5, v31, vcc_lo
	v_mul_f64 v[10:11], s[14:15], v[48:49]
	v_mul_f64 v[32:33], s[12:13], v[48:49]
	global_load_dwordx4 v[4:7], v[8:9], off
	v_fma_f64 v[10:11], s[12:13], v[50:51], -v[10:11]
	v_fma_f64 v[32:33], s[14:15], v[50:51], v[32:33]
	s_waitcnt vmcnt(0)
	v_add_f64 v[4:5], v[4:5], v[10:11]
	v_add_f64 v[6:7], v[32:33], v[6:7]
	global_store_dwordx4 v[8:9], v[4:7], off
	s_branch .LBB114_3
.LBB114_63:
	s_endpgm
	.section	.rodata,"a",@progbits
	.p2align	6, 0x0
	.amdhsa_kernel _ZL30rocblas_trmm_outofplace_kernelI19rocblas_complex_numIdELi32ELi2ELb1ELb1ELb1ELb0EPKS1_S2_S1_Ev17rocblas_diagonal_iiT6_lPT7_lllS7_lllPT8_llli
		.amdhsa_group_segment_fixed_size 32768
		.amdhsa_private_segment_fixed_size 0
		.amdhsa_kernarg_size 392
		.amdhsa_user_sgpr_count 6
		.amdhsa_user_sgpr_private_segment_buffer 1
		.amdhsa_user_sgpr_dispatch_ptr 0
		.amdhsa_user_sgpr_queue_ptr 0
		.amdhsa_user_sgpr_kernarg_segment_ptr 1
		.amdhsa_user_sgpr_dispatch_id 0
		.amdhsa_user_sgpr_flat_scratch_init 0
		.amdhsa_user_sgpr_private_segment_size 0
		.amdhsa_wavefront_size32 1
		.amdhsa_uses_dynamic_stack 0
		.amdhsa_system_sgpr_private_segment_wavefront_offset 0
		.amdhsa_system_sgpr_workgroup_id_x 1
		.amdhsa_system_sgpr_workgroup_id_y 1
		.amdhsa_system_sgpr_workgroup_id_z 1
		.amdhsa_system_sgpr_workgroup_info 0
		.amdhsa_system_vgpr_workitem_id 1
		.amdhsa_next_free_vgpr 86
		.amdhsa_next_free_sgpr 48
		.amdhsa_reserve_vcc 1
		.amdhsa_reserve_flat_scratch 0
		.amdhsa_float_round_mode_32 0
		.amdhsa_float_round_mode_16_64 0
		.amdhsa_float_denorm_mode_32 3
		.amdhsa_float_denorm_mode_16_64 3
		.amdhsa_dx10_clamp 1
		.amdhsa_ieee_mode 1
		.amdhsa_fp16_overflow 0
		.amdhsa_workgroup_processor_mode 1
		.amdhsa_memory_ordered 1
		.amdhsa_forward_progress 1
		.amdhsa_shared_vgpr_count 0
		.amdhsa_exception_fp_ieee_invalid_op 0
		.amdhsa_exception_fp_denorm_src 0
		.amdhsa_exception_fp_ieee_div_zero 0
		.amdhsa_exception_fp_ieee_overflow 0
		.amdhsa_exception_fp_ieee_underflow 0
		.amdhsa_exception_fp_ieee_inexact 0
		.amdhsa_exception_int_div_zero 0
	.end_amdhsa_kernel
	.section	.text._ZL30rocblas_trmm_outofplace_kernelI19rocblas_complex_numIdELi32ELi2ELb1ELb1ELb1ELb0EPKS1_S2_S1_Ev17rocblas_diagonal_iiT6_lPT7_lllS7_lllPT8_llli,"axG",@progbits,_ZL30rocblas_trmm_outofplace_kernelI19rocblas_complex_numIdELi32ELi2ELb1ELb1ELb1ELb0EPKS1_S2_S1_Ev17rocblas_diagonal_iiT6_lPT7_lllS7_lllPT8_llli,comdat
.Lfunc_end114:
	.size	_ZL30rocblas_trmm_outofplace_kernelI19rocblas_complex_numIdELi32ELi2ELb1ELb1ELb1ELb0EPKS1_S2_S1_Ev17rocblas_diagonal_iiT6_lPT7_lllS7_lllPT8_llli, .Lfunc_end114-_ZL30rocblas_trmm_outofplace_kernelI19rocblas_complex_numIdELi32ELi2ELb1ELb1ELb1ELb0EPKS1_S2_S1_Ev17rocblas_diagonal_iiT6_lPT7_lllS7_lllPT8_llli
                                        ; -- End function
	.set _ZL30rocblas_trmm_outofplace_kernelI19rocblas_complex_numIdELi32ELi2ELb1ELb1ELb1ELb0EPKS1_S2_S1_Ev17rocblas_diagonal_iiT6_lPT7_lllS7_lllPT8_llli.num_vgpr, 86
	.set _ZL30rocblas_trmm_outofplace_kernelI19rocblas_complex_numIdELi32ELi2ELb1ELb1ELb1ELb0EPKS1_S2_S1_Ev17rocblas_diagonal_iiT6_lPT7_lllS7_lllPT8_llli.num_agpr, 0
	.set _ZL30rocblas_trmm_outofplace_kernelI19rocblas_complex_numIdELi32ELi2ELb1ELb1ELb1ELb0EPKS1_S2_S1_Ev17rocblas_diagonal_iiT6_lPT7_lllS7_lllPT8_llli.numbered_sgpr, 48
	.set _ZL30rocblas_trmm_outofplace_kernelI19rocblas_complex_numIdELi32ELi2ELb1ELb1ELb1ELb0EPKS1_S2_S1_Ev17rocblas_diagonal_iiT6_lPT7_lllS7_lllPT8_llli.num_named_barrier, 0
	.set _ZL30rocblas_trmm_outofplace_kernelI19rocblas_complex_numIdELi32ELi2ELb1ELb1ELb1ELb0EPKS1_S2_S1_Ev17rocblas_diagonal_iiT6_lPT7_lllS7_lllPT8_llli.private_seg_size, 0
	.set _ZL30rocblas_trmm_outofplace_kernelI19rocblas_complex_numIdELi32ELi2ELb1ELb1ELb1ELb0EPKS1_S2_S1_Ev17rocblas_diagonal_iiT6_lPT7_lllS7_lllPT8_llli.uses_vcc, 1
	.set _ZL30rocblas_trmm_outofplace_kernelI19rocblas_complex_numIdELi32ELi2ELb1ELb1ELb1ELb0EPKS1_S2_S1_Ev17rocblas_diagonal_iiT6_lPT7_lllS7_lllPT8_llli.uses_flat_scratch, 0
	.set _ZL30rocblas_trmm_outofplace_kernelI19rocblas_complex_numIdELi32ELi2ELb1ELb1ELb1ELb0EPKS1_S2_S1_Ev17rocblas_diagonal_iiT6_lPT7_lllS7_lllPT8_llli.has_dyn_sized_stack, 0
	.set _ZL30rocblas_trmm_outofplace_kernelI19rocblas_complex_numIdELi32ELi2ELb1ELb1ELb1ELb0EPKS1_S2_S1_Ev17rocblas_diagonal_iiT6_lPT7_lllS7_lllPT8_llli.has_recursion, 0
	.set _ZL30rocblas_trmm_outofplace_kernelI19rocblas_complex_numIdELi32ELi2ELb1ELb1ELb1ELb0EPKS1_S2_S1_Ev17rocblas_diagonal_iiT6_lPT7_lllS7_lllPT8_llli.has_indirect_call, 0
	.section	.AMDGPU.csdata,"",@progbits
; Kernel info:
; codeLenInByte = 10232
; TotalNumSgprs: 50
; NumVgprs: 86
; ScratchSize: 0
; MemoryBound: 0
; FloatMode: 240
; IeeeMode: 1
; LDSByteSize: 32768 bytes/workgroup (compile time only)
; SGPRBlocks: 0
; VGPRBlocks: 10
; NumSGPRsForWavesPerEU: 50
; NumVGPRsForWavesPerEU: 86
; Occupancy: 10
; WaveLimiterHint : 0
; COMPUTE_PGM_RSRC2:SCRATCH_EN: 0
; COMPUTE_PGM_RSRC2:USER_SGPR: 6
; COMPUTE_PGM_RSRC2:TRAP_HANDLER: 0
; COMPUTE_PGM_RSRC2:TGID_X_EN: 1
; COMPUTE_PGM_RSRC2:TGID_Y_EN: 1
; COMPUTE_PGM_RSRC2:TGID_Z_EN: 1
; COMPUTE_PGM_RSRC2:TIDIG_COMP_CNT: 1
	.section	.text._ZL30rocblas_trmm_outofplace_kernelI19rocblas_complex_numIdELi32ELi2ELb1ELb1ELb1ELb0ES1_KS1_S1_Ev17rocblas_diagonal_iiT6_lPT7_lllS6_lllPT8_llli,"axG",@progbits,_ZL30rocblas_trmm_outofplace_kernelI19rocblas_complex_numIdELi32ELi2ELb1ELb1ELb1ELb0ES1_KS1_S1_Ev17rocblas_diagonal_iiT6_lPT7_lllS6_lllPT8_llli,comdat
	.globl	_ZL30rocblas_trmm_outofplace_kernelI19rocblas_complex_numIdELi32ELi2ELb1ELb1ELb1ELb0ES1_KS1_S1_Ev17rocblas_diagonal_iiT6_lPT7_lllS6_lllPT8_llli ; -- Begin function _ZL30rocblas_trmm_outofplace_kernelI19rocblas_complex_numIdELi32ELi2ELb1ELb1ELb1ELb0ES1_KS1_S1_Ev17rocblas_diagonal_iiT6_lPT7_lllS6_lllPT8_llli
	.p2align	8
	.type	_ZL30rocblas_trmm_outofplace_kernelI19rocblas_complex_numIdELi32ELi2ELb1ELb1ELb1ELb0ES1_KS1_S1_Ev17rocblas_diagonal_iiT6_lPT7_lllS6_lllPT8_llli,@function
_ZL30rocblas_trmm_outofplace_kernelI19rocblas_complex_numIdELi32ELi2ELb1ELb1ELb1ELb0ES1_KS1_S1_Ev17rocblas_diagonal_iiT6_lPT7_lllS6_lllPT8_llli: ; @_ZL30rocblas_trmm_outofplace_kernelI19rocblas_complex_numIdELi32ELi2ELb1ELb1ELb1ELb0ES1_KS1_S1_Ev17rocblas_diagonal_iiT6_lPT7_lllS6_lllPT8_llli
; %bb.0:
	s_load_dwordx4 s[28:31], s[4:5], 0x10
	s_waitcnt lgkmcnt(0)
	v_cmp_eq_f64_e64 s0, s[28:29], 0
	v_cmp_eq_f64_e64 s1, s[30:31], 0
	s_and_b32 s0, s0, s1
	s_and_b32 vcc_lo, exec_lo, s0
	s_cbranch_vccnz .LBB115_63
; %bb.1:
	s_load_dwordx4 s[44:47], s[4:5], 0x0
	s_waitcnt lgkmcnt(0)
	s_add_i32 s0, s46, -1
	s_ashr_i32 s1, s0, 31
	s_lshr_b32 s1, s1, 27
	s_add_i32 s0, s0, s1
	s_ashr_i32 s33, s0, 5
	s_cmp_gt_i32 s7, s33
	s_cbranch_scc1 .LBB115_63
; %bb.2:
	s_clause 0x2
	s_load_dwordx8 s[36:43], s[4:5], 0x68
	s_load_dwordx16 s[12:27], s[4:5], 0x28
	s_load_dword s47, s[4:5], 0x94
	v_lshlrev_b32_e32 v52, 4, v0
	v_lshlrev_b32_e32 v11, 4, v1
	;; [unrolled: 1-line block ×3, first 2 shown]
	s_mov_b32 s10, s45
	v_lshl_add_u32 v28, s7, 5, v1
	v_add_nc_u32_e32 v53, 0x4000, v2
	v_add_nc_u32_e32 v54, v52, v2
	v_mov_b32_e32 v2, 0
	v_add_nc_u32_e32 v55, v53, v52
	v_add_nc_u32_e32 v56, 0x100, v54
	;; [unrolled: 1-line block ×5, first 2 shown]
	s_waitcnt lgkmcnt(0)
	s_mul_i32 s1, s43, s8
	s_mul_hi_u32 s2, s42, s8
	s_mul_i32 s0, s42, s8
	s_add_i32 s1, s2, s1
	s_mul_i32 s4, s27, s8
	s_lshl_b64 s[0:1], s[0:1], 4
	s_mul_hi_u32 s5, s26, s8
	s_add_u32 s2, s36, s0
	s_addc_u32 s3, s37, s1
	s_lshl_b64 s[0:1], s[38:39], 4
	v_add_nc_u32_e32 v60, 0x2000, v55
	s_add_u32 s36, s2, s0
	s_addc_u32 s37, s3, s1
	s_lshl_b32 s38, s6, 5
	s_cmp_gt_i32 s6, -1
	v_add_nc_u32_e32 v12, s38, v0
	s_cselect_b32 s27, -1, 0
	s_cmpk_eq_i32 s44, 0x84
	v_add_nc_u32_e32 v61, 0x2100, v55
	s_cselect_b32 s39, -1, 0
	v_ashrrev_i32_e32 v13, 31, v12
	s_ashr_i32 s11, s45, 31
	s_ashr_i32 s42, s46, 31
	s_add_u32 s34, s45, -16
	s_addc_u32 s35, s11, -1
	s_add_i32 s5, s5, s4
	s_mul_i32 s4, s26, s8
	v_add_co_u32 v14, vcc_lo, v12, 16
	s_lshl_b64 s[4:5], s[4:5], 4
	s_lshl_b64 s[22:23], s[22:23], 4
	v_mul_lo_u32 v7, s16, v13
	v_mul_lo_u32 v8, s17, v12
	v_mad_u64_u32 v[5:6], null, s16, v12, 0
	v_add_co_ci_u32_e64 v15, null, 0, v13, vcc_lo
	v_sub_co_u32 v16, vcc_lo, v12, v1
	s_add_u32 s4, s4, s22
	s_addc_u32 s5, s5, s23
	v_subrev_co_ci_u32_e64 v17, null, 0, v13, vcc_lo
	s_add_u32 s4, s20, s4
	s_addc_u32 s5, s21, s5
	v_add_co_u32 v22, s4, s4, v52
	v_add_co_u32 v18, vcc_lo, v16, 16
	v_lshlrev_b64 v[26:27], 4, v[12:13]
	v_add_co_ci_u32_e64 v23, null, s5, 0, s4
	v_add3_u32 v6, v6, v7, v8
	v_add_co_ci_u32_e64 v19, null, 0, v17, vcc_lo
	v_add_co_u32 v20, vcc_lo, v16, -16
	v_add_co_ci_u32_e64 v21, null, -1, v17, vcc_lo
	v_add_co_u32 v24, vcc_lo, 0x100, v22
	s_mul_i32 s4, s19, s8
	s_mul_hi_u32 s5, s18, s8
	v_add_co_ci_u32_e64 v25, null, 0, v23, vcc_lo
	s_add_i32 s5, s5, s4
	s_mul_i32 s4, s18, s8
	v_lshlrev_b64 v[5:6], 4, v[5:6]
	v_add_co_u32 v9, vcc_lo, 0x100, v26
	s_lshl_b64 s[4:5], s[4:5], 4
	s_lshl_b64 s[8:9], s[14:15], 4
	v_add_co_ci_u32_e64 v10, null, 0, v27, vcc_lo
	s_lshl_b64 s[20:21], s[24:25], 4
	s_lshl_b32 s22, s47, 5
	s_add_u32 s4, s8, s4
	s_addc_u32 s5, s9, s5
	v_add_co_u32 v5, vcc_lo, s4, v5
	v_mad_u64_u32 v[7:8], null, s16, v9, s[4:5]
	v_mul_lo_u32 v10, s16, v10
	v_mul_lo_u32 v9, s17, v9
	v_add_co_ci_u32_e64 v6, null, s5, v6, vcc_lo
	v_add_co_u32 v5, vcc_lo, v5, v11
	v_add_nc_u32_e32 v3, 16, v12
	v_add_co_ci_u32_e64 v6, null, 0, v6, vcc_lo
	v_add3_u32 v8, v9, v8, v10
	v_add_co_u32 v5, vcc_lo, s12, v5
	v_add_co_ci_u32_e64 v6, null, s13, v6, vcc_lo
	v_add_co_u32 v7, vcc_lo, v7, v11
	v_ashrrev_i32_e32 v4, 31, v3
	v_add_co_ci_u32_e64 v8, null, 0, v8, vcc_lo
	v_add_co_u32 v62, vcc_lo, 0x100, v5
	v_add_co_ci_u32_e64 v63, null, 0, v6, vcc_lo
	v_add_co_u32 v64, vcc_lo, s12, v7
	v_cmp_le_i64_e64 s3, s[10:11], v[14:15]
	v_lshlrev_b64 v[30:31], 4, v[3:4]
	v_cmp_le_i32_e64 s0, s45, v12
	v_cmp_gt_i32_e64 s1, s45, v12
	v_cmp_gt_i32_e64 s2, s45, v3
	v_add_co_ci_u32_e64 v65, null, s13, v8, vcc_lo
	v_mov_b32_e32 v3, 0x3ff00000
	s_branch .LBB115_4
.LBB115_3:                              ;   in Loop: Header=BB115_4 Depth=1
	s_or_b32 exec_lo, exec_lo, s4
	v_add_nc_u32_e32 v28, s22, v28
	s_add_i32 s7, s47, s7
	s_cmp_le_i32 s7, s33
	s_cbranch_scc0 .LBB115_63
.LBB115_4:                              ; =>This Loop Header: Depth=1
                                        ;     Child Loop BB115_7 Depth 2
	v_lshl_add_u32 v66, s7, 5, v1
	v_mov_b32_e32 v40, 0
	v_mov_b32_e32 v42, 0
	;; [unrolled: 1-line block ×16, first 2 shown]
	v_ashrrev_i32_e32 v67, 31, v66
	s_andn2_b32 vcc_lo, exec_lo, s27
	s_cbranch_vccnz .LBB115_55
; %bb.5:                                ;   in Loop: Header=BB115_4 Depth=1
	v_ashrrev_i32_e32 v29, 31, v28
	v_mad_u64_u32 v[32:33], null, s20, v28, v[24:25]
	v_mul_lo_u32 v6, s21, v28
	v_mov_b32_e32 v48, 0
	v_lshlrev_b64 v[4:5], 4, v[28:29]
	v_mul_lo_u32 v7, s20, v29
	v_mov_b32_e32 v50, 0
	v_mov_b32_e32 v46, 0
	;; [unrolled: 1-line block ×4, first 2 shown]
	v_add_co_u32 v8, vcc_lo, 0x100, v4
	v_add_co_ci_u32_e64 v9, null, 0, v5, vcc_lo
	v_sub_co_u32 v4, vcc_lo, s46, v66
	v_add3_u32 v33, v6, v33, v7
	v_mul_lo_u32 v6, s24, v9
	v_mul_lo_u32 v7, s25, v8
	v_mad_u64_u32 v[34:35], null, s24, v8, v[22:23]
	v_sub_co_ci_u32_e64 v5, null, s42, v67, vcc_lo
	v_mov_b32_e32 v36, 0
	v_mov_b32_e32 v42, 0
	;; [unrolled: 1-line block ×3, first 2 shown]
	v_cmp_lt_i64_e64 s4, 16, v[4:5]
	v_mov_b32_e32 v49, 0
	v_mov_b32_e32 v51, 0
	;; [unrolled: 1-line block ×8, first 2 shown]
	v_add3_u32 v35, v7, v35, v6
	s_mov_b64 s[12:13], 0
	s_mov_b64 s[14:15], 0
	v_cmp_lt_i64_e32 vcc_lo, 0, v[4:5]
	s_branch .LBB115_7
.LBB115_6:                              ;   in Loop: Header=BB115_7 Depth=2
	s_or_b32 exec_lo, exec_lo, s5
	s_waitcnt lgkmcnt(0)
	s_barrier
	buffer_gl0_inv
	ds_read_b128 v[68:71], v53
	ds_read_b128 v[72:75], v53 offset:16
	ds_read_b128 v[8:11], v53 offset:32
	;; [unrolled: 1-line block ×3, first 2 shown]
	ds_read_b128 v[76:79], v52
	s_add_u32 s14, s14, 32
	s_addc_u32 s15, s15, 0
	s_sub_i32 s5, s14, 32
	s_add_u32 s12, s12, 0x200
	s_addc_u32 s13, s13, 0
	s_cmp_ge_i32 s5, s38
	s_waitcnt lgkmcnt(0)
	v_mul_f64 v[80:81], v[70:71], v[78:79]
	v_mul_f64 v[82:83], v[68:69], v[78:79]
	v_fma_f64 v[80:81], v[68:69], v[76:77], -v[80:81]
	v_fma_f64 v[82:83], v[70:71], v[76:77], v[82:83]
	v_add_f64 v[80:81], v[40:41], v[80:81]
	v_add_f64 v[82:83], v[82:83], v[42:43]
	ds_read_b128 v[40:43], v52 offset:256
	s_waitcnt lgkmcnt(0)
	v_mul_f64 v[84:85], v[70:71], v[42:43]
	v_fma_f64 v[84:85], v[68:69], v[40:41], -v[84:85]
	v_mul_f64 v[68:69], v[68:69], v[42:43]
	v_fma_f64 v[68:69], v[70:71], v[40:41], v[68:69]
	v_add_f64 v[70:71], v[36:37], v[84:85]
	v_add_f64 v[68:69], v[68:69], v[38:39]
	ds_read_b128 v[36:39], v53 offset:8192
	s_waitcnt lgkmcnt(0)
	v_mul_f64 v[84:85], v[38:39], v[78:79]
	v_mul_f64 v[78:79], v[36:37], v[78:79]
	v_fma_f64 v[84:85], v[36:37], v[76:77], -v[84:85]
	v_fma_f64 v[76:77], v[38:39], v[76:77], v[78:79]
	v_add_f64 v[78:79], v[44:45], v[84:85]
	v_mul_f64 v[44:45], v[38:39], v[42:43]
	v_add_f64 v[76:77], v[76:77], v[46:47]
	v_fma_f64 v[44:45], v[36:37], v[40:41], -v[44:45]
	v_mul_f64 v[36:37], v[36:37], v[42:43]
	v_add_f64 v[50:51], v[50:51], v[44:45]
	v_fma_f64 v[36:37], v[38:39], v[40:41], v[36:37]
	v_add_f64 v[48:49], v[36:37], v[48:49]
	ds_read_b128 v[36:39], v52 offset:512
	s_waitcnt lgkmcnt(0)
	v_mul_f64 v[40:41], v[74:75], v[38:39]
	v_mul_f64 v[42:43], v[72:73], v[38:39]
	v_fma_f64 v[40:41], v[72:73], v[36:37], -v[40:41]
	v_fma_f64 v[42:43], v[74:75], v[36:37], v[42:43]
	v_add_f64 v[80:81], v[80:81], v[40:41]
	v_add_f64 v[82:83], v[42:43], v[82:83]
	ds_read_b128 v[40:43], v52 offset:768
	s_waitcnt lgkmcnt(0)
	v_mul_f64 v[44:45], v[74:75], v[42:43]
	v_mul_f64 v[46:47], v[72:73], v[42:43]
	v_fma_f64 v[44:45], v[72:73], v[40:41], -v[44:45]
	v_fma_f64 v[46:47], v[74:75], v[40:41], v[46:47]
	v_add_f64 v[70:71], v[70:71], v[44:45]
	v_add_f64 v[68:69], v[46:47], v[68:69]
	ds_read_b128 v[44:47], v53 offset:8208
	s_waitcnt lgkmcnt(0)
	v_mul_f64 v[72:73], v[46:47], v[38:39]
	v_mul_f64 v[38:39], v[44:45], v[38:39]
	v_fma_f64 v[72:73], v[44:45], v[36:37], -v[72:73]
	v_fma_f64 v[36:37], v[46:47], v[36:37], v[38:39]
	v_mul_f64 v[38:39], v[44:45], v[42:43]
	v_add_f64 v[72:73], v[78:79], v[72:73]
	v_add_f64 v[74:75], v[36:37], v[76:77]
	v_mul_f64 v[36:37], v[46:47], v[42:43]
	v_fma_f64 v[38:39], v[46:47], v[40:41], v[38:39]
	v_fma_f64 v[36:37], v[44:45], v[40:41], -v[36:37]
	v_add_f64 v[46:47], v[38:39], v[48:49]
	v_add_f64 v[44:45], v[50:51], v[36:37]
	ds_read_b128 v[36:39], v52 offset:1024
	s_waitcnt lgkmcnt(0)
	v_mul_f64 v[40:41], v[10:11], v[38:39]
	v_mul_f64 v[42:43], v[8:9], v[38:39]
	v_fma_f64 v[40:41], v[8:9], v[36:37], -v[40:41]
	v_fma_f64 v[42:43], v[10:11], v[36:37], v[42:43]
	v_add_f64 v[48:49], v[80:81], v[40:41]
	v_add_f64 v[50:51], v[42:43], v[82:83]
	ds_read_b128 v[40:43], v52 offset:1280
	s_waitcnt lgkmcnt(0)
	v_mul_f64 v[76:77], v[10:11], v[42:43]
	v_fma_f64 v[76:77], v[8:9], v[40:41], -v[76:77]
	v_mul_f64 v[8:9], v[8:9], v[42:43]
	v_add_f64 v[70:71], v[70:71], v[76:77]
	v_fma_f64 v[8:9], v[10:11], v[40:41], v[8:9]
	v_add_f64 v[68:69], v[8:9], v[68:69]
	ds_read_b128 v[8:11], v53 offset:8224
	s_waitcnt lgkmcnt(0)
	v_mul_f64 v[76:77], v[10:11], v[38:39]
	v_mul_f64 v[38:39], v[8:9], v[38:39]
	v_fma_f64 v[76:77], v[8:9], v[36:37], -v[76:77]
	v_fma_f64 v[36:37], v[10:11], v[36:37], v[38:39]
	v_add_f64 v[72:73], v[72:73], v[76:77]
	v_add_f64 v[74:75], v[36:37], v[74:75]
	v_mul_f64 v[36:37], v[10:11], v[42:43]
	v_fma_f64 v[36:37], v[8:9], v[40:41], -v[36:37]
	v_mul_f64 v[8:9], v[8:9], v[42:43]
	v_fma_f64 v[8:9], v[10:11], v[40:41], v[8:9]
	v_add_f64 v[40:41], v[44:45], v[36:37]
	v_add_f64 v[42:43], v[8:9], v[46:47]
	ds_read_b128 v[8:11], v52 offset:1536
	s_waitcnt lgkmcnt(0)
	v_mul_f64 v[36:37], v[6:7], v[10:11]
	v_mul_f64 v[38:39], v[4:5], v[10:11]
	v_fma_f64 v[36:37], v[4:5], v[8:9], -v[36:37]
	v_fma_f64 v[38:39], v[6:7], v[8:9], v[38:39]
	v_add_f64 v[44:45], v[48:49], v[36:37]
	v_add_f64 v[46:47], v[38:39], v[50:51]
	ds_read_b128 v[36:39], v52 offset:1792
	s_waitcnt lgkmcnt(0)
	v_mul_f64 v[48:49], v[6:7], v[38:39]
	v_fma_f64 v[48:49], v[4:5], v[36:37], -v[48:49]
	v_mul_f64 v[4:5], v[4:5], v[38:39]
	v_add_f64 v[48:49], v[70:71], v[48:49]
	v_fma_f64 v[4:5], v[6:7], v[36:37], v[4:5]
	v_add_f64 v[50:51], v[4:5], v[68:69]
	ds_read_b128 v[4:7], v53 offset:8240
	s_waitcnt lgkmcnt(0)
	v_mul_f64 v[68:69], v[6:7], v[10:11]
	v_mul_f64 v[10:11], v[4:5], v[10:11]
	v_fma_f64 v[68:69], v[4:5], v[8:9], -v[68:69]
	v_fma_f64 v[8:9], v[6:7], v[8:9], v[10:11]
	v_add_f64 v[68:69], v[72:73], v[68:69]
	v_add_f64 v[70:71], v[8:9], v[74:75]
	v_mul_f64 v[8:9], v[6:7], v[38:39]
	v_fma_f64 v[8:9], v[4:5], v[36:37], -v[8:9]
	v_mul_f64 v[4:5], v[4:5], v[38:39]
	v_add_f64 v[40:41], v[40:41], v[8:9]
	v_fma_f64 v[4:5], v[6:7], v[36:37], v[4:5]
	v_add_f64 v[42:43], v[4:5], v[42:43]
	ds_read_b128 v[4:7], v53 offset:64
	ds_read_b128 v[8:11], v52 offset:2048
	s_waitcnt lgkmcnt(0)
	v_mul_f64 v[36:37], v[6:7], v[10:11]
	v_mul_f64 v[38:39], v[4:5], v[10:11]
	v_fma_f64 v[36:37], v[4:5], v[8:9], -v[36:37]
	v_fma_f64 v[38:39], v[6:7], v[8:9], v[38:39]
	v_add_f64 v[44:45], v[44:45], v[36:37]
	v_add_f64 v[46:47], v[38:39], v[46:47]
	ds_read_b128 v[36:39], v52 offset:2304
	s_waitcnt lgkmcnt(0)
	v_mul_f64 v[72:73], v[6:7], v[38:39]
	v_fma_f64 v[72:73], v[4:5], v[36:37], -v[72:73]
	v_mul_f64 v[4:5], v[4:5], v[38:39]
	v_add_f64 v[48:49], v[48:49], v[72:73]
	v_fma_f64 v[4:5], v[6:7], v[36:37], v[4:5]
	v_add_f64 v[50:51], v[4:5], v[50:51]
	ds_read_b128 v[4:7], v53 offset:8256
	s_waitcnt lgkmcnt(0)
	v_mul_f64 v[72:73], v[6:7], v[10:11]
	v_mul_f64 v[10:11], v[4:5], v[10:11]
	v_fma_f64 v[72:73], v[4:5], v[8:9], -v[72:73]
	v_fma_f64 v[8:9], v[6:7], v[8:9], v[10:11]
	v_add_f64 v[68:69], v[68:69], v[72:73]
	v_add_f64 v[70:71], v[8:9], v[70:71]
	v_mul_f64 v[8:9], v[6:7], v[38:39]
	v_fma_f64 v[8:9], v[4:5], v[36:37], -v[8:9]
	v_mul_f64 v[4:5], v[4:5], v[38:39]
	v_add_f64 v[72:73], v[40:41], v[8:9]
	v_fma_f64 v[4:5], v[6:7], v[36:37], v[4:5]
	v_add_f64 v[74:75], v[4:5], v[42:43]
	ds_read_b128 v[4:7], v53 offset:80
	ds_read_b128 v[8:11], v52 offset:2560
	s_waitcnt lgkmcnt(0)
	v_mul_f64 v[36:37], v[6:7], v[10:11]
	v_mul_f64 v[38:39], v[4:5], v[10:11]
	v_fma_f64 v[36:37], v[4:5], v[8:9], -v[36:37]
	v_fma_f64 v[38:39], v[6:7], v[8:9], v[38:39]
	v_add_f64 v[44:45], v[44:45], v[36:37]
	v_add_f64 v[46:47], v[38:39], v[46:47]
	ds_read_b128 v[36:39], v52 offset:2816
	s_waitcnt lgkmcnt(0)
	v_mul_f64 v[40:41], v[6:7], v[38:39]
	v_fma_f64 v[40:41], v[4:5], v[36:37], -v[40:41]
	v_mul_f64 v[4:5], v[4:5], v[38:39]
	v_fma_f64 v[6:7], v[6:7], v[36:37], v[4:5]
	v_add_f64 v[4:5], v[48:49], v[40:41]
	ds_read_b128 v[40:43], v53 offset:8272
	s_waitcnt lgkmcnt(0)
	v_mul_f64 v[48:49], v[42:43], v[10:11]
	v_mul_f64 v[10:11], v[40:41], v[10:11]
	v_add_f64 v[6:7], v[6:7], v[50:51]
	v_fma_f64 v[48:49], v[40:41], v[8:9], -v[48:49]
	v_fma_f64 v[8:9], v[42:43], v[8:9], v[10:11]
	v_mul_f64 v[10:11], v[40:41], v[38:39]
	v_add_f64 v[48:49], v[68:69], v[48:49]
	v_add_f64 v[50:51], v[8:9], v[70:71]
	v_mul_f64 v[8:9], v[42:43], v[38:39]
	v_fma_f64 v[10:11], v[42:43], v[36:37], v[10:11]
	v_fma_f64 v[8:9], v[40:41], v[36:37], -v[8:9]
	v_add_f64 v[70:71], v[10:11], v[74:75]
	v_add_f64 v[68:69], v[72:73], v[8:9]
	ds_read_b128 v[8:11], v53 offset:96
	ds_read_b128 v[36:39], v52 offset:3072
	s_waitcnt lgkmcnt(0)
	v_mul_f64 v[40:41], v[10:11], v[38:39]
	v_mul_f64 v[42:43], v[8:9], v[38:39]
	v_fma_f64 v[40:41], v[8:9], v[36:37], -v[40:41]
	v_fma_f64 v[42:43], v[10:11], v[36:37], v[42:43]
	v_add_f64 v[44:45], v[44:45], v[40:41]
	v_add_f64 v[46:47], v[42:43], v[46:47]
	ds_read_b128 v[40:43], v52 offset:3328
	s_waitcnt lgkmcnt(0)
	v_mul_f64 v[72:73], v[10:11], v[42:43]
	v_fma_f64 v[72:73], v[8:9], v[40:41], -v[72:73]
	v_mul_f64 v[8:9], v[8:9], v[42:43]
	v_add_f64 v[72:73], v[4:5], v[72:73]
	v_fma_f64 v[8:9], v[10:11], v[40:41], v[8:9]
	v_add_f64 v[74:75], v[8:9], v[6:7]
	ds_read_b128 v[4:7], v53 offset:8288
	s_waitcnt lgkmcnt(0)
	v_mul_f64 v[8:9], v[6:7], v[38:39]
	v_mul_f64 v[10:11], v[4:5], v[38:39]
	v_fma_f64 v[8:9], v[4:5], v[36:37], -v[8:9]
	v_fma_f64 v[10:11], v[6:7], v[36:37], v[10:11]
	v_add_f64 v[48:49], v[48:49], v[8:9]
	v_mul_f64 v[8:9], v[6:7], v[42:43]
	v_add_f64 v[50:51], v[10:11], v[50:51]
	v_fma_f64 v[8:9], v[4:5], v[40:41], -v[8:9]
	v_mul_f64 v[4:5], v[4:5], v[42:43]
	v_fma_f64 v[4:5], v[6:7], v[40:41], v[4:5]
	v_add_f64 v[40:41], v[68:69], v[8:9]
	v_add_f64 v[42:43], v[4:5], v[70:71]
	ds_read_b128 v[4:7], v53 offset:112
	ds_read_b128 v[8:11], v52 offset:3584
	s_waitcnt lgkmcnt(0)
	v_mul_f64 v[36:37], v[6:7], v[10:11]
	v_mul_f64 v[38:39], v[4:5], v[10:11]
	v_fma_f64 v[36:37], v[4:5], v[8:9], -v[36:37]
	v_fma_f64 v[38:39], v[6:7], v[8:9], v[38:39]
	v_add_f64 v[44:45], v[44:45], v[36:37]
	v_add_f64 v[46:47], v[38:39], v[46:47]
	ds_read_b128 v[36:39], v52 offset:3840
	s_waitcnt lgkmcnt(0)
	v_mul_f64 v[68:69], v[6:7], v[38:39]
	v_fma_f64 v[68:69], v[4:5], v[36:37], -v[68:69]
	v_mul_f64 v[4:5], v[4:5], v[38:39]
	v_add_f64 v[68:69], v[72:73], v[68:69]
	v_fma_f64 v[4:5], v[6:7], v[36:37], v[4:5]
	v_add_f64 v[70:71], v[4:5], v[74:75]
	ds_read_b128 v[4:7], v53 offset:8304
	s_waitcnt lgkmcnt(0)
	v_mul_f64 v[72:73], v[6:7], v[10:11]
	v_mul_f64 v[10:11], v[4:5], v[10:11]
	v_fma_f64 v[72:73], v[4:5], v[8:9], -v[72:73]
	v_fma_f64 v[8:9], v[6:7], v[8:9], v[10:11]
	v_add_f64 v[48:49], v[48:49], v[72:73]
	v_add_f64 v[50:51], v[8:9], v[50:51]
	v_mul_f64 v[8:9], v[6:7], v[38:39]
	v_fma_f64 v[8:9], v[4:5], v[36:37], -v[8:9]
	v_mul_f64 v[4:5], v[4:5], v[38:39]
	v_add_f64 v[40:41], v[40:41], v[8:9]
	v_fma_f64 v[4:5], v[6:7], v[36:37], v[4:5]
	v_add_f64 v[42:43], v[4:5], v[42:43]
	ds_read_b128 v[4:7], v53 offset:128
	ds_read_b128 v[8:11], v52 offset:4096
	s_waitcnt lgkmcnt(0)
	v_mul_f64 v[36:37], v[6:7], v[10:11]
	v_mul_f64 v[38:39], v[4:5], v[10:11]
	v_fma_f64 v[36:37], v[4:5], v[8:9], -v[36:37]
	v_fma_f64 v[38:39], v[6:7], v[8:9], v[38:39]
	v_add_f64 v[44:45], v[44:45], v[36:37]
	v_add_f64 v[46:47], v[38:39], v[46:47]
	ds_read_b128 v[36:39], v52 offset:4352
	s_waitcnt lgkmcnt(0)
	v_mul_f64 v[72:73], v[6:7], v[38:39]
	v_fma_f64 v[72:73], v[4:5], v[36:37], -v[72:73]
	v_mul_f64 v[4:5], v[4:5], v[38:39]
	v_add_f64 v[68:69], v[68:69], v[72:73]
	v_fma_f64 v[4:5], v[6:7], v[36:37], v[4:5]
	v_add_f64 v[70:71], v[4:5], v[70:71]
	ds_read_b128 v[4:7], v53 offset:8320
	s_waitcnt lgkmcnt(0)
	v_mul_f64 v[72:73], v[6:7], v[10:11]
	v_mul_f64 v[10:11], v[4:5], v[10:11]
	v_fma_f64 v[72:73], v[4:5], v[8:9], -v[72:73]
	v_fma_f64 v[8:9], v[6:7], v[8:9], v[10:11]
	v_add_f64 v[48:49], v[48:49], v[72:73]
	v_add_f64 v[50:51], v[8:9], v[50:51]
	v_mul_f64 v[8:9], v[6:7], v[38:39]
	v_fma_f64 v[8:9], v[4:5], v[36:37], -v[8:9]
	v_mul_f64 v[4:5], v[4:5], v[38:39]
	v_add_f64 v[40:41], v[40:41], v[8:9]
	v_fma_f64 v[4:5], v[6:7], v[36:37], v[4:5]
	;; [unrolled: 31-line block ×21, first 2 shown]
	v_add_f64 v[42:43], v[4:5], v[42:43]
	ds_read_b128 v[4:7], v53 offset:448
	ds_read_b128 v[8:11], v52 offset:14336
	s_waitcnt lgkmcnt(0)
	v_mul_f64 v[36:37], v[6:7], v[10:11]
	v_mul_f64 v[38:39], v[4:5], v[10:11]
	v_fma_f64 v[36:37], v[4:5], v[8:9], -v[36:37]
	v_fma_f64 v[38:39], v[6:7], v[8:9], v[38:39]
	v_add_f64 v[44:45], v[44:45], v[36:37]
	v_add_f64 v[46:47], v[38:39], v[46:47]
	ds_read_b128 v[36:39], v52 offset:14592
	s_waitcnt lgkmcnt(0)
	v_mul_f64 v[72:73], v[6:7], v[38:39]
	v_fma_f64 v[72:73], v[4:5], v[36:37], -v[72:73]
	v_mul_f64 v[4:5], v[4:5], v[38:39]
	v_add_f64 v[68:69], v[68:69], v[72:73]
	v_fma_f64 v[4:5], v[6:7], v[36:37], v[4:5]
	v_add_f64 v[70:71], v[4:5], v[70:71]
	ds_read_b128 v[4:7], v53 offset:8640
	s_waitcnt lgkmcnt(0)
	v_mul_f64 v[72:73], v[6:7], v[10:11]
	v_mul_f64 v[10:11], v[4:5], v[10:11]
	v_fma_f64 v[72:73], v[4:5], v[8:9], -v[72:73]
	v_fma_f64 v[8:9], v[6:7], v[8:9], v[10:11]
	v_add_f64 v[48:49], v[48:49], v[72:73]
	v_add_f64 v[50:51], v[8:9], v[50:51]
	v_mul_f64 v[8:9], v[6:7], v[38:39]
	v_fma_f64 v[8:9], v[4:5], v[36:37], -v[8:9]
	v_mul_f64 v[4:5], v[4:5], v[38:39]
	v_fma_f64 v[6:7], v[6:7], v[36:37], v[4:5]
	v_add_f64 v[4:5], v[40:41], v[8:9]
	ds_read_b128 v[8:11], v53 offset:464
	ds_read_b128 v[36:39], v52 offset:14848
	v_add_f64 v[6:7], v[6:7], v[42:43]
	s_waitcnt lgkmcnt(0)
	v_mul_f64 v[40:41], v[10:11], v[38:39]
	v_mul_f64 v[42:43], v[8:9], v[38:39]
	v_fma_f64 v[40:41], v[8:9], v[36:37], -v[40:41]
	v_fma_f64 v[42:43], v[10:11], v[36:37], v[42:43]
	v_add_f64 v[44:45], v[44:45], v[40:41]
	v_add_f64 v[46:47], v[42:43], v[46:47]
	ds_read_b128 v[40:43], v52 offset:15104
	s_waitcnt lgkmcnt(0)
	v_mul_f64 v[72:73], v[10:11], v[42:43]
	v_fma_f64 v[72:73], v[8:9], v[40:41], -v[72:73]
	v_mul_f64 v[8:9], v[8:9], v[42:43]
	v_add_f64 v[68:69], v[68:69], v[72:73]
	v_fma_f64 v[8:9], v[10:11], v[40:41], v[8:9]
	v_add_f64 v[70:71], v[8:9], v[70:71]
	ds_read_b128 v[8:11], v53 offset:8656
	s_waitcnt lgkmcnt(0)
	v_mul_f64 v[72:73], v[10:11], v[38:39]
	v_mul_f64 v[38:39], v[8:9], v[38:39]
	v_fma_f64 v[72:73], v[8:9], v[36:37], -v[72:73]
	v_fma_f64 v[36:37], v[10:11], v[36:37], v[38:39]
	v_add_f64 v[48:49], v[48:49], v[72:73]
	v_add_f64 v[50:51], v[36:37], v[50:51]
	v_mul_f64 v[36:37], v[10:11], v[42:43]
	v_fma_f64 v[36:37], v[8:9], v[40:41], -v[36:37]
	v_mul_f64 v[8:9], v[8:9], v[42:43]
	v_fma_f64 v[8:9], v[10:11], v[40:41], v[8:9]
	v_add_f64 v[40:41], v[4:5], v[36:37]
	v_add_f64 v[42:43], v[8:9], v[6:7]
	ds_read_b128 v[4:7], v53 offset:480
	ds_read_b128 v[8:11], v52 offset:15360
	s_waitcnt lgkmcnt(0)
	v_mul_f64 v[36:37], v[6:7], v[10:11]
	v_mul_f64 v[38:39], v[4:5], v[10:11]
	v_fma_f64 v[36:37], v[4:5], v[8:9], -v[36:37]
	v_fma_f64 v[38:39], v[6:7], v[8:9], v[38:39]
	v_add_f64 v[72:73], v[44:45], v[36:37]
	v_add_f64 v[74:75], v[38:39], v[46:47]
	ds_read_b128 v[36:39], v52 offset:15616
	s_waitcnt lgkmcnt(0)
	v_mul_f64 v[44:45], v[6:7], v[38:39]
	v_fma_f64 v[44:45], v[4:5], v[36:37], -v[44:45]
	v_mul_f64 v[4:5], v[4:5], v[38:39]
	v_add_f64 v[68:69], v[68:69], v[44:45]
	v_fma_f64 v[4:5], v[6:7], v[36:37], v[4:5]
	v_add_f64 v[70:71], v[4:5], v[70:71]
	ds_read_b128 v[4:7], v53 offset:8672
	s_waitcnt lgkmcnt(0)
	v_mul_f64 v[44:45], v[6:7], v[10:11]
	v_mul_f64 v[10:11], v[4:5], v[10:11]
	v_fma_f64 v[44:45], v[4:5], v[8:9], -v[44:45]
	v_fma_f64 v[8:9], v[6:7], v[8:9], v[10:11]
	v_add_f64 v[76:77], v[48:49], v[44:45]
	v_add_f64 v[78:79], v[8:9], v[50:51]
	v_mul_f64 v[8:9], v[6:7], v[38:39]
	v_fma_f64 v[8:9], v[4:5], v[36:37], -v[8:9]
	v_mul_f64 v[4:5], v[4:5], v[38:39]
	v_fma_f64 v[6:7], v[6:7], v[36:37], v[4:5]
	v_add_f64 v[4:5], v[40:41], v[8:9]
	ds_read_b128 v[8:11], v53 offset:496
	ds_read_b128 v[44:47], v52 offset:15872
	;; [unrolled: 1-line block ×3, first 2 shown]
	s_waitcnt lgkmcnt(1)
	v_mul_f64 v[36:37], v[10:11], v[46:47]
	v_mul_f64 v[38:39], v[8:9], v[46:47]
	v_add_f64 v[6:7], v[6:7], v[42:43]
	v_fma_f64 v[36:37], v[8:9], v[44:45], -v[36:37]
	v_fma_f64 v[38:39], v[10:11], v[44:45], v[38:39]
	v_add_f64 v[40:41], v[72:73], v[36:37]
	s_waitcnt lgkmcnt(0)
	v_mul_f64 v[36:37], v[10:11], v[50:51]
	v_add_f64 v[42:43], v[38:39], v[74:75]
	v_fma_f64 v[36:37], v[8:9], v[48:49], -v[36:37]
	v_mul_f64 v[8:9], v[8:9], v[50:51]
	v_add_f64 v[36:37], v[68:69], v[36:37]
	v_fma_f64 v[8:9], v[10:11], v[48:49], v[8:9]
	v_add_f64 v[38:39], v[8:9], v[70:71]
	ds_read_b128 v[8:11], v53 offset:8688
	s_waitcnt lgkmcnt(0)
	s_barrier
	buffer_gl0_inv
	v_mul_f64 v[68:69], v[10:11], v[46:47]
	v_mul_f64 v[46:47], v[8:9], v[46:47]
	v_fma_f64 v[68:69], v[8:9], v[44:45], -v[68:69]
	v_fma_f64 v[46:47], v[10:11], v[44:45], v[46:47]
	v_add_f64 v[44:45], v[76:77], v[68:69]
	v_mul_f64 v[68:69], v[10:11], v[50:51]
	v_add_f64 v[46:47], v[46:47], v[78:79]
	v_fma_f64 v[68:69], v[8:9], v[48:49], -v[68:69]
	v_mul_f64 v[8:9], v[8:9], v[50:51]
	v_add_f64 v[50:51], v[4:5], v[68:69]
	v_fma_f64 v[8:9], v[10:11], v[48:49], v[8:9]
	v_add_f64 v[48:49], v[8:9], v[6:7]
	s_cbranch_scc1 .LBB115_55
.LBB115_7:                              ;   Parent Loop BB115_4 Depth=1
                                        ; =>  This Inner Loop Header: Depth=2
	v_add_co_u32 v8, s5, v1, s14
	v_add_co_ci_u32_e64 v9, null, 0, s15, s5
	v_cmp_eq_u64_e64 s8, s[14:15], v[16:17]
	v_cmp_le_i64_e64 s6, s[10:11], v[8:9]
	v_cmp_gt_i64_e64 s5, v[8:9], v[12:13]
	s_and_b32 s17, s39, s8
	v_add_co_u32 v6, s8, v62, s12
	v_add_co_ci_u32_e64 v7, null, s13, v63, s8
	s_or_b32 s9, s6, s5
	s_or_b32 s8, s9, s17
	s_nor_b32 s8, s0, s8
	s_and_saveexec_b32 s9, s8
	s_xor_b32 s8, exec_lo, s9
	s_cbranch_execz .LBB115_9
; %bb.8:                                ;   in Loop: Header=BB115_7 Depth=2
	global_load_dwordx4 v[68:71], v[6:7], off offset:-256
	s_waitcnt vmcnt(0)
	ds_write2_b64 v54, v[68:69], v[70:71] offset1:1
.LBB115_9:                              ;   in Loop: Header=BB115_7 Depth=2
	s_or_saveexec_b32 s8, s8
	s_xor_b32 s16, s17, -1
	s_xor_b32 exec_lo, exec_lo, s8
	s_cbranch_execz .LBB115_15
; %bb.10:                               ;   in Loop: Header=BB115_7 Depth=2
	s_and_saveexec_b32 s9, s16
	s_xor_b32 s9, exec_lo, s9
	s_cbranch_execz .LBB115_12
; %bb.11:                               ;   in Loop: Header=BB115_7 Depth=2
	v_mov_b32_e32 v68, v2
	v_mov_b32_e32 v69, v2
	;; [unrolled: 1-line block ×4, first 2 shown]
	ds_write_b128 v54, v[68:71]
.LBB115_12:                             ;   in Loop: Header=BB115_7 Depth=2
	s_andn2_saveexec_b32 s9, s9
; %bb.13:                               ;   in Loop: Header=BB115_7 Depth=2
	v_mov_b32_e32 v4, v2
	v_mov_b32_e32 v5, v2
	ds_write_b128 v54, v[2:5]
; %bb.14:                               ;   in Loop: Header=BB115_7 Depth=2
	s_or_b32 exec_lo, exec_lo, s9
.LBB115_15:                             ;   in Loop: Header=BB115_7 Depth=2
	s_or_b32 exec_lo, exec_lo, s8
	v_cmp_eq_u64_e64 s8, s[14:15], v[18:19]
	v_cmp_lt_i64_e64 s9, v[14:15], v[8:9]
	s_and_b32 s8, s39, s8
	s_or_b32 s6, s6, s9
	s_or_b32 s6, s6, s8
	s_nor_b32 s6, s3, s6
	s_and_saveexec_b32 s9, s6
	s_xor_b32 s9, exec_lo, s9
	s_cbranch_execz .LBB115_17
; %bb.16:                               ;   in Loop: Header=BB115_7 Depth=2
	v_add_co_u32 v4, s6, v64, s12
	v_add_co_ci_u32_e64 v5, null, s13, v65, s6
	global_load_dwordx4 v[68:71], v[4:5], off
	s_waitcnt vmcnt(0)
	ds_write2_b64 v56, v[68:69], v[70:71] offset1:1
.LBB115_17:                             ;   in Loop: Header=BB115_7 Depth=2
	s_andn2_saveexec_b32 s6, s9
	s_cbranch_execz .LBB115_23
; %bb.18:                               ;   in Loop: Header=BB115_7 Depth=2
	s_xor_b32 s8, s8, -1
	s_and_saveexec_b32 s9, s8
	s_xor_b32 s8, exec_lo, s9
	s_cbranch_execz .LBB115_20
; %bb.19:                               ;   in Loop: Header=BB115_7 Depth=2
	v_mov_b32_e32 v68, v2
	v_mov_b32_e32 v69, v2
	;; [unrolled: 1-line block ×4, first 2 shown]
	ds_write_b128 v54, v[68:71] offset:256
.LBB115_20:                             ;   in Loop: Header=BB115_7 Depth=2
	s_andn2_saveexec_b32 s8, s8
; %bb.21:                               ;   in Loop: Header=BB115_7 Depth=2
	v_mov_b32_e32 v4, v2
	v_mov_b32_e32 v5, v2
	ds_write_b128 v54, v[2:5] offset:256
; %bb.22:                               ;   in Loop: Header=BB115_7 Depth=2
	s_or_b32 exec_lo, exec_lo, s8
.LBB115_23:                             ;   in Loop: Header=BB115_7 Depth=2
	s_or_b32 exec_lo, exec_lo, s6
	v_add_co_u32 v4, s6, v8, 16
	v_add_co_ci_u32_e64 v5, null, 0, v9, s6
	v_cmp_eq_u64_e64 s8, s[14:15], v[20:21]
	v_cmp_le_i64_e64 s6, s[10:11], v[4:5]
	v_cmp_gt_i64_e64 s9, v[4:5], v[12:13]
	s_and_b32 s18, s39, s8
	s_or_b32 s8, s6, s9
	s_or_b32 s8, s8, s18
	s_nor_b32 s8, s0, s8
	s_and_saveexec_b32 s9, s8
	s_xor_b32 s8, exec_lo, s9
	s_cbranch_execz .LBB115_25
; %bb.24:                               ;   in Loop: Header=BB115_7 Depth=2
	global_load_dwordx4 v[4:7], v[6:7], off
	s_waitcnt vmcnt(0)
	ds_write2_b64 v57, v[4:5], v[6:7] offset1:1
.LBB115_25:                             ;   in Loop: Header=BB115_7 Depth=2
	s_andn2_saveexec_b32 s8, s8
	s_cbranch_execz .LBB115_31
; %bb.26:                               ;   in Loop: Header=BB115_7 Depth=2
	s_xor_b32 s9, s18, -1
	s_and_saveexec_b32 s18, s9
	s_xor_b32 s9, exec_lo, s18
	s_cbranch_execz .LBB115_28
; %bb.27:                               ;   in Loop: Header=BB115_7 Depth=2
	v_mov_b32_e32 v4, v2
	v_mov_b32_e32 v5, v2
	;; [unrolled: 1-line block ×4, first 2 shown]
	ds_write_b128 v54, v[4:7] offset:8192
.LBB115_28:                             ;   in Loop: Header=BB115_7 Depth=2
	s_andn2_saveexec_b32 s9, s9
; %bb.29:                               ;   in Loop: Header=BB115_7 Depth=2
	v_mov_b32_e32 v4, v2
	v_mov_b32_e32 v5, v2
	ds_write_b128 v54, v[2:5] offset:8192
; %bb.30:                               ;   in Loop: Header=BB115_7 Depth=2
	s_or_b32 exec_lo, exec_lo, s9
.LBB115_31:                             ;   in Loop: Header=BB115_7 Depth=2
	s_or_b32 exec_lo, exec_lo, s8
	s_or_b32 s5, s6, s5
	s_or_b32 s5, s5, s17
	s_nor_b32 s5, s3, s5
	s_and_saveexec_b32 s6, s5
	s_xor_b32 s6, exec_lo, s6
	s_cbranch_execz .LBB115_33
; %bb.32:                               ;   in Loop: Header=BB115_7 Depth=2
	v_add_co_u32 v4, s5, v64, s12
	v_add_co_ci_u32_e64 v5, null, s13, v65, s5
	global_load_dwordx4 v[4:7], v[4:5], off offset:256
	s_waitcnt vmcnt(0)
	ds_write2_b64 v58, v[4:5], v[6:7] offset1:1
.LBB115_33:                             ;   in Loop: Header=BB115_7 Depth=2
	s_andn2_saveexec_b32 s5, s6
	s_cbranch_execz .LBB115_39
; %bb.34:                               ;   in Loop: Header=BB115_7 Depth=2
	s_and_saveexec_b32 s6, s16
	s_xor_b32 s6, exec_lo, s6
	s_cbranch_execz .LBB115_36
; %bb.35:                               ;   in Loop: Header=BB115_7 Depth=2
	v_mov_b32_e32 v4, v2
	v_mov_b32_e32 v5, v2
	;; [unrolled: 1-line block ×4, first 2 shown]
	ds_write_b128 v54, v[4:7] offset:8448
.LBB115_36:                             ;   in Loop: Header=BB115_7 Depth=2
	s_andn2_saveexec_b32 s6, s6
; %bb.37:                               ;   in Loop: Header=BB115_7 Depth=2
	v_mov_b32_e32 v4, v2
	v_mov_b32_e32 v5, v2
	ds_write_b128 v54, v[2:5] offset:8448
; %bb.38:                               ;   in Loop: Header=BB115_7 Depth=2
	s_or_b32 exec_lo, exec_lo, s6
.LBB115_39:                             ;   in Loop: Header=BB115_7 Depth=2
	s_or_b32 exec_lo, exec_lo, s5
	v_add_co_u32 v4, s5, v0, s14
	v_add_co_ci_u32_e64 v5, null, 0, s15, s5
	v_cmp_gt_i64_e64 s5, s[10:11], v[4:5]
	s_and_b32 s6, vcc_lo, s5
	s_xor_b32 s6, s6, -1
	s_and_saveexec_b32 s8, s6
	s_xor_b32 s6, exec_lo, s8
	s_cbranch_execz .LBB115_41
; %bb.40:                               ;   in Loop: Header=BB115_7 Depth=2
	v_mov_b32_e32 v6, v2
	v_mov_b32_e32 v7, v2
	;; [unrolled: 1-line block ×4, first 2 shown]
	ds_write_b128 v55, v[6:9]
.LBB115_41:                             ;   in Loop: Header=BB115_7 Depth=2
	s_or_saveexec_b32 s8, s6
	v_add_co_u32 v6, s6, v32, s12
	v_add_co_ci_u32_e64 v7, null, s13, v33, s6
	s_xor_b32 exec_lo, exec_lo, s8
	s_cbranch_execz .LBB115_43
; %bb.42:                               ;   in Loop: Header=BB115_7 Depth=2
	global_load_dwordx4 v[8:11], v[6:7], off offset:-256
	s_waitcnt vmcnt(0)
	ds_write2_b64 v55, v[8:9], v[10:11] offset1:1
.LBB115_43:                             ;   in Loop: Header=BB115_7 Depth=2
	s_or_b32 exec_lo, exec_lo, s8
	v_cmp_gt_i64_e64 s6, s[34:35], v[4:5]
	s_and_b32 s8, vcc_lo, s6
	s_xor_b32 s8, s8, -1
	s_and_saveexec_b32 s9, s8
	s_xor_b32 s8, exec_lo, s9
	s_cbranch_execz .LBB115_45
; %bb.44:                               ;   in Loop: Header=BB115_7 Depth=2
	v_mov_b32_e32 v4, v2
	v_mov_b32_e32 v5, v2
	;; [unrolled: 1-line block ×4, first 2 shown]
	ds_write_b128 v55, v[4:7] offset:256
                                        ; implicit-def: $vgpr6_vgpr7
.LBB115_45:                             ;   in Loop: Header=BB115_7 Depth=2
	s_andn2_saveexec_b32 s8, s8
	s_cbranch_execz .LBB115_47
; %bb.46:                               ;   in Loop: Header=BB115_7 Depth=2
	global_load_dwordx4 v[4:7], v[6:7], off
	s_waitcnt vmcnt(0)
	ds_write2_b64 v59, v[4:5], v[6:7] offset1:1
.LBB115_47:                             ;   in Loop: Header=BB115_7 Depth=2
	s_or_b32 exec_lo, exec_lo, s8
	s_and_b32 s5, s4, s5
	s_xor_b32 s5, s5, -1
	s_and_saveexec_b32 s8, s5
	s_xor_b32 s5, exec_lo, s8
	s_cbranch_execz .LBB115_49
; %bb.48:                               ;   in Loop: Header=BB115_7 Depth=2
	v_mov_b32_e32 v4, v2
	v_mov_b32_e32 v5, v2
	;; [unrolled: 1-line block ×4, first 2 shown]
	ds_write_b128 v55, v[4:7] offset:8192
.LBB115_49:                             ;   in Loop: Header=BB115_7 Depth=2
	s_or_saveexec_b32 s8, s5
	v_add_co_u32 v4, s5, v34, s12
	v_add_co_ci_u32_e64 v5, null, s13, v35, s5
	s_xor_b32 exec_lo, exec_lo, s8
	s_cbranch_execz .LBB115_51
; %bb.50:                               ;   in Loop: Header=BB115_7 Depth=2
	global_load_dwordx4 v[6:9], v[4:5], off
	s_waitcnt vmcnt(0)
	ds_write2_b64 v60, v[6:7], v[8:9] offset1:1
.LBB115_51:                             ;   in Loop: Header=BB115_7 Depth=2
	s_or_b32 exec_lo, exec_lo, s8
	s_and_b32 s5, s4, s6
	s_xor_b32 s5, s5, -1
	s_and_saveexec_b32 s6, s5
	s_xor_b32 s5, exec_lo, s6
	s_cbranch_execz .LBB115_53
; %bb.52:                               ;   in Loop: Header=BB115_7 Depth=2
	v_mov_b32_e32 v4, v2
	v_mov_b32_e32 v5, v2
	;; [unrolled: 1-line block ×4, first 2 shown]
	ds_write_b128 v55, v[4:7] offset:8448
                                        ; implicit-def: $vgpr4_vgpr5
.LBB115_53:                             ;   in Loop: Header=BB115_7 Depth=2
	s_andn2_saveexec_b32 s5, s5
	s_cbranch_execz .LBB115_6
; %bb.54:                               ;   in Loop: Header=BB115_7 Depth=2
	global_load_dwordx4 v[4:7], v[4:5], off offset:256
	s_waitcnt vmcnt(0)
	ds_write2_b64 v61, v[4:5], v[6:7] offset1:1
	s_branch .LBB115_6
.LBB115_55:                             ;   in Loop: Header=BB115_4 Depth=1
	v_mul_lo_u32 v6, s41, v66
	v_mul_lo_u32 v7, s40, v67
	v_mad_u64_u32 v[4:5], null, s40, v66, 0
	v_cmp_gt_i32_e32 vcc_lo, s46, v66
	v_add3_u32 v5, v5, v7, v6
	v_lshlrev_b64 v[4:5], 4, v[4:5]
	v_add_co_u32 v4, s4, s36, v4
	v_add_co_ci_u32_e64 v5, null, s37, v5, s4
	s_and_b32 s4, s1, vcc_lo
	s_and_saveexec_b32 s5, s4
	s_cbranch_execz .LBB115_57
; %bb.56:                               ;   in Loop: Header=BB115_4 Depth=1
	v_add_co_u32 v10, s4, v4, v26
	v_add_co_ci_u32_e64 v11, null, v5, v27, s4
	v_mul_f64 v[32:33], s[30:31], v[42:43]
	v_mul_f64 v[34:35], s[28:29], v[42:43]
	global_load_dwordx4 v[6:9], v[10:11], off
	v_fma_f64 v[32:33], s[28:29], v[40:41], -v[32:33]
	v_fma_f64 v[34:35], s[30:31], v[40:41], v[34:35]
	s_waitcnt vmcnt(0)
	v_add_f64 v[6:7], v[6:7], v[32:33]
	v_add_f64 v[8:9], v[34:35], v[8:9]
	global_store_dwordx4 v[10:11], v[6:9], off
.LBB115_57:                             ;   in Loop: Header=BB115_4 Depth=1
	s_or_b32 exec_lo, exec_lo, s5
	s_and_b32 s5, s2, vcc_lo
	s_and_saveexec_b32 s4, s5
	s_cbranch_execz .LBB115_59
; %bb.58:                               ;   in Loop: Header=BB115_4 Depth=1
	v_add_co_u32 v8, vcc_lo, v4, v30
	v_add_co_ci_u32_e64 v9, null, v5, v31, vcc_lo
	v_mul_f64 v[10:11], s[30:31], v[38:39]
	v_mul_f64 v[32:33], s[28:29], v[38:39]
	global_load_dwordx4 v[4:7], v[8:9], off
	v_fma_f64 v[10:11], s[28:29], v[36:37], -v[10:11]
	v_fma_f64 v[32:33], s[30:31], v[36:37], v[32:33]
	s_waitcnt vmcnt(0)
	v_add_f64 v[4:5], v[4:5], v[10:11]
	v_add_f64 v[6:7], v[32:33], v[6:7]
	global_store_dwordx4 v[8:9], v[4:7], off
.LBB115_59:                             ;   in Loop: Header=BB115_4 Depth=1
	s_or_b32 exec_lo, exec_lo, s4
	v_add_nc_u32_e32 v6, 16, v66
	v_ashrrev_i32_e32 v7, 31, v6
	v_mul_lo_u32 v8, s41, v6
	v_mad_u64_u32 v[4:5], null, s40, v6, 0
	v_cmp_gt_i32_e32 vcc_lo, s46, v6
	v_mul_lo_u32 v7, s40, v7
	v_add3_u32 v5, v5, v7, v8
	v_lshlrev_b64 v[4:5], 4, v[4:5]
	v_add_co_u32 v4, s4, s36, v4
	v_add_co_ci_u32_e64 v5, null, s37, v5, s4
	s_and_b32 s4, s1, vcc_lo
	s_and_saveexec_b32 s5, s4
	s_cbranch_execz .LBB115_61
; %bb.60:                               ;   in Loop: Header=BB115_4 Depth=1
	v_add_co_u32 v10, s4, v4, v26
	v_add_co_ci_u32_e64 v11, null, v5, v27, s4
	v_mul_f64 v[32:33], s[30:31], v[46:47]
	v_mul_f64 v[34:35], s[28:29], v[46:47]
	global_load_dwordx4 v[6:9], v[10:11], off
	v_fma_f64 v[32:33], s[28:29], v[44:45], -v[32:33]
	v_fma_f64 v[34:35], s[30:31], v[44:45], v[34:35]
	s_waitcnt vmcnt(0)
	v_add_f64 v[6:7], v[6:7], v[32:33]
	v_add_f64 v[8:9], v[34:35], v[8:9]
	global_store_dwordx4 v[10:11], v[6:9], off
.LBB115_61:                             ;   in Loop: Header=BB115_4 Depth=1
	s_or_b32 exec_lo, exec_lo, s5
	s_and_b32 s5, s2, vcc_lo
	s_and_saveexec_b32 s4, s5
	s_cbranch_execz .LBB115_3
; %bb.62:                               ;   in Loop: Header=BB115_4 Depth=1
	v_add_co_u32 v8, vcc_lo, v4, v30
	v_add_co_ci_u32_e64 v9, null, v5, v31, vcc_lo
	v_mul_f64 v[10:11], s[30:31], v[48:49]
	v_mul_f64 v[32:33], s[28:29], v[48:49]
	global_load_dwordx4 v[4:7], v[8:9], off
	v_fma_f64 v[10:11], s[28:29], v[50:51], -v[10:11]
	v_fma_f64 v[32:33], s[30:31], v[50:51], v[32:33]
	s_waitcnt vmcnt(0)
	v_add_f64 v[4:5], v[4:5], v[10:11]
	v_add_f64 v[6:7], v[32:33], v[6:7]
	global_store_dwordx4 v[8:9], v[4:7], off
	s_branch .LBB115_3
.LBB115_63:
	s_endpgm
	.section	.rodata,"a",@progbits
	.p2align	6, 0x0
	.amdhsa_kernel _ZL30rocblas_trmm_outofplace_kernelI19rocblas_complex_numIdELi32ELi2ELb1ELb1ELb1ELb0ES1_KS1_S1_Ev17rocblas_diagonal_iiT6_lPT7_lllS6_lllPT8_llli
		.amdhsa_group_segment_fixed_size 32768
		.amdhsa_private_segment_fixed_size 0
		.amdhsa_kernarg_size 400
		.amdhsa_user_sgpr_count 6
		.amdhsa_user_sgpr_private_segment_buffer 1
		.amdhsa_user_sgpr_dispatch_ptr 0
		.amdhsa_user_sgpr_queue_ptr 0
		.amdhsa_user_sgpr_kernarg_segment_ptr 1
		.amdhsa_user_sgpr_dispatch_id 0
		.amdhsa_user_sgpr_flat_scratch_init 0
		.amdhsa_user_sgpr_private_segment_size 0
		.amdhsa_wavefront_size32 1
		.amdhsa_uses_dynamic_stack 0
		.amdhsa_system_sgpr_private_segment_wavefront_offset 0
		.amdhsa_system_sgpr_workgroup_id_x 1
		.amdhsa_system_sgpr_workgroup_id_y 1
		.amdhsa_system_sgpr_workgroup_id_z 1
		.amdhsa_system_sgpr_workgroup_info 0
		.amdhsa_system_vgpr_workitem_id 1
		.amdhsa_next_free_vgpr 86
		.amdhsa_next_free_sgpr 48
		.amdhsa_reserve_vcc 1
		.amdhsa_reserve_flat_scratch 0
		.amdhsa_float_round_mode_32 0
		.amdhsa_float_round_mode_16_64 0
		.amdhsa_float_denorm_mode_32 3
		.amdhsa_float_denorm_mode_16_64 3
		.amdhsa_dx10_clamp 1
		.amdhsa_ieee_mode 1
		.amdhsa_fp16_overflow 0
		.amdhsa_workgroup_processor_mode 1
		.amdhsa_memory_ordered 1
		.amdhsa_forward_progress 1
		.amdhsa_shared_vgpr_count 0
		.amdhsa_exception_fp_ieee_invalid_op 0
		.amdhsa_exception_fp_denorm_src 0
		.amdhsa_exception_fp_ieee_div_zero 0
		.amdhsa_exception_fp_ieee_overflow 0
		.amdhsa_exception_fp_ieee_underflow 0
		.amdhsa_exception_fp_ieee_inexact 0
		.amdhsa_exception_int_div_zero 0
	.end_amdhsa_kernel
	.section	.text._ZL30rocblas_trmm_outofplace_kernelI19rocblas_complex_numIdELi32ELi2ELb1ELb1ELb1ELb0ES1_KS1_S1_Ev17rocblas_diagonal_iiT6_lPT7_lllS6_lllPT8_llli,"axG",@progbits,_ZL30rocblas_trmm_outofplace_kernelI19rocblas_complex_numIdELi32ELi2ELb1ELb1ELb1ELb0ES1_KS1_S1_Ev17rocblas_diagonal_iiT6_lPT7_lllS6_lllPT8_llli,comdat
.Lfunc_end115:
	.size	_ZL30rocblas_trmm_outofplace_kernelI19rocblas_complex_numIdELi32ELi2ELb1ELb1ELb1ELb0ES1_KS1_S1_Ev17rocblas_diagonal_iiT6_lPT7_lllS6_lllPT8_llli, .Lfunc_end115-_ZL30rocblas_trmm_outofplace_kernelI19rocblas_complex_numIdELi32ELi2ELb1ELb1ELb1ELb0ES1_KS1_S1_Ev17rocblas_diagonal_iiT6_lPT7_lllS6_lllPT8_llli
                                        ; -- End function
	.set _ZL30rocblas_trmm_outofplace_kernelI19rocblas_complex_numIdELi32ELi2ELb1ELb1ELb1ELb0ES1_KS1_S1_Ev17rocblas_diagonal_iiT6_lPT7_lllS6_lllPT8_llli.num_vgpr, 86
	.set _ZL30rocblas_trmm_outofplace_kernelI19rocblas_complex_numIdELi32ELi2ELb1ELb1ELb1ELb0ES1_KS1_S1_Ev17rocblas_diagonal_iiT6_lPT7_lllS6_lllPT8_llli.num_agpr, 0
	.set _ZL30rocblas_trmm_outofplace_kernelI19rocblas_complex_numIdELi32ELi2ELb1ELb1ELb1ELb0ES1_KS1_S1_Ev17rocblas_diagonal_iiT6_lPT7_lllS6_lllPT8_llli.numbered_sgpr, 48
	.set _ZL30rocblas_trmm_outofplace_kernelI19rocblas_complex_numIdELi32ELi2ELb1ELb1ELb1ELb0ES1_KS1_S1_Ev17rocblas_diagonal_iiT6_lPT7_lllS6_lllPT8_llli.num_named_barrier, 0
	.set _ZL30rocblas_trmm_outofplace_kernelI19rocblas_complex_numIdELi32ELi2ELb1ELb1ELb1ELb0ES1_KS1_S1_Ev17rocblas_diagonal_iiT6_lPT7_lllS6_lllPT8_llli.private_seg_size, 0
	.set _ZL30rocblas_trmm_outofplace_kernelI19rocblas_complex_numIdELi32ELi2ELb1ELb1ELb1ELb0ES1_KS1_S1_Ev17rocblas_diagonal_iiT6_lPT7_lllS6_lllPT8_llli.uses_vcc, 1
	.set _ZL30rocblas_trmm_outofplace_kernelI19rocblas_complex_numIdELi32ELi2ELb1ELb1ELb1ELb0ES1_KS1_S1_Ev17rocblas_diagonal_iiT6_lPT7_lllS6_lllPT8_llli.uses_flat_scratch, 0
	.set _ZL30rocblas_trmm_outofplace_kernelI19rocblas_complex_numIdELi32ELi2ELb1ELb1ELb1ELb0ES1_KS1_S1_Ev17rocblas_diagonal_iiT6_lPT7_lllS6_lllPT8_llli.has_dyn_sized_stack, 0
	.set _ZL30rocblas_trmm_outofplace_kernelI19rocblas_complex_numIdELi32ELi2ELb1ELb1ELb1ELb0ES1_KS1_S1_Ev17rocblas_diagonal_iiT6_lPT7_lllS6_lllPT8_llli.has_recursion, 0
	.set _ZL30rocblas_trmm_outofplace_kernelI19rocblas_complex_numIdELi32ELi2ELb1ELb1ELb1ELb0ES1_KS1_S1_Ev17rocblas_diagonal_iiT6_lPT7_lllS6_lllPT8_llli.has_indirect_call, 0
	.section	.AMDGPU.csdata,"",@progbits
; Kernel info:
; codeLenInByte = 10192
; TotalNumSgprs: 50
; NumVgprs: 86
; ScratchSize: 0
; MemoryBound: 0
; FloatMode: 240
; IeeeMode: 1
; LDSByteSize: 32768 bytes/workgroup (compile time only)
; SGPRBlocks: 0
; VGPRBlocks: 10
; NumSGPRsForWavesPerEU: 50
; NumVGPRsForWavesPerEU: 86
; Occupancy: 10
; WaveLimiterHint : 0
; COMPUTE_PGM_RSRC2:SCRATCH_EN: 0
; COMPUTE_PGM_RSRC2:USER_SGPR: 6
; COMPUTE_PGM_RSRC2:TRAP_HANDLER: 0
; COMPUTE_PGM_RSRC2:TGID_X_EN: 1
; COMPUTE_PGM_RSRC2:TGID_Y_EN: 1
; COMPUTE_PGM_RSRC2:TGID_Z_EN: 1
; COMPUTE_PGM_RSRC2:TIDIG_COMP_CNT: 1
	.section	.text._ZL30rocblas_trmm_outofplace_kernelI19rocblas_complex_numIdELi32ELi2ELb1ELb0ELb1ELb1EPKS1_S2_S1_Ev17rocblas_diagonal_iiT6_lPT7_lllS7_lllPT8_llli,"axG",@progbits,_ZL30rocblas_trmm_outofplace_kernelI19rocblas_complex_numIdELi32ELi2ELb1ELb0ELb1ELb1EPKS1_S2_S1_Ev17rocblas_diagonal_iiT6_lPT7_lllS7_lllPT8_llli,comdat
	.globl	_ZL30rocblas_trmm_outofplace_kernelI19rocblas_complex_numIdELi32ELi2ELb1ELb0ELb1ELb1EPKS1_S2_S1_Ev17rocblas_diagonal_iiT6_lPT7_lllS7_lllPT8_llli ; -- Begin function _ZL30rocblas_trmm_outofplace_kernelI19rocblas_complex_numIdELi32ELi2ELb1ELb0ELb1ELb1EPKS1_S2_S1_Ev17rocblas_diagonal_iiT6_lPT7_lllS7_lllPT8_llli
	.p2align	8
	.type	_ZL30rocblas_trmm_outofplace_kernelI19rocblas_complex_numIdELi32ELi2ELb1ELb0ELb1ELb1EPKS1_S2_S1_Ev17rocblas_diagonal_iiT6_lPT7_lllS7_lllPT8_llli,@function
_ZL30rocblas_trmm_outofplace_kernelI19rocblas_complex_numIdELi32ELi2ELb1ELb0ELb1ELb1EPKS1_S2_S1_Ev17rocblas_diagonal_iiT6_lPT7_lllS7_lllPT8_llli: ; @_ZL30rocblas_trmm_outofplace_kernelI19rocblas_complex_numIdELi32ELi2ELb1ELb0ELb1ELb1EPKS1_S2_S1_Ev17rocblas_diagonal_iiT6_lPT7_lllS7_lllPT8_llli
; %bb.0:
	s_load_dwordx16 s[12:27], s[4:5], 0x10
	s_waitcnt lgkmcnt(0)
	s_mul_i32 s1, s15, s8
	s_mul_hi_u32 s2, s14, s8
	s_mul_i32 s0, s14, s8
	s_add_i32 s1, s2, s1
	s_lshl_b64 s[0:1], s[0:1], 4
	s_add_u32 s0, s12, s0
	s_addc_u32 s1, s13, s1
	s_load_dwordx4 s[12:15], s[0:1], 0x0
	s_waitcnt lgkmcnt(0)
	v_cmp_eq_f64_e64 s0, s[12:13], 0
	v_cmp_eq_f64_e64 s1, s[14:15], 0
	s_and_b32 s0, s0, s1
	s_and_b32 vcc_lo, exec_lo, s0
	s_cbranch_vccnz .LBB116_64
; %bb.1:
	s_load_dwordx4 s[28:31], s[4:5], 0x0
	s_waitcnt lgkmcnt(0)
	s_add_i32 s0, s30, -1
	s_ashr_i32 s1, s0, 31
	s_lshr_b32 s1, s1, 27
	s_add_i32 s0, s0, s1
	s_ashr_i32 s31, s0, 5
	s_cmp_gt_i32 s7, s31
	s_cbranch_scc1 .LBB116_64
; %bb.2:
	s_clause 0x1
	s_load_dwordx4 s[44:47], s[4:5], 0x70
	s_load_dwordx8 s[36:43], s[4:5], 0x50
	s_mul_i32 s1, s23, s8
	s_mul_hi_u32 s2, s22, s8
	s_mul_i32 s0, s22, s8
	s_add_i32 s1, s2, s1
	s_load_dword s33, s[4:5], 0x8c
	s_lshl_b64 s[34:35], s[0:1], 4
	v_lshlrev_b32_e32 v2, 9, v1
	s_add_u32 s0, s16, s34
	s_addc_u32 s1, s17, s35
	s_lshl_b64 s[48:49], s[18:19], 4
	v_lshlrev_b32_e32 v52, 4, v0
	s_add_u32 s2, s0, s48
	s_addc_u32 s3, s1, s49
	v_add_nc_u32_e32 v53, 0x4000, v2
	s_mov_b32 s10, s29
	v_add_nc_u32_e32 v55, v52, v2
	v_lshl_add_u32 v30, s7, 5, v1
	v_add_nc_u32_e32 v54, v53, v52
	s_waitcnt lgkmcnt(0)
	s_mul_i32 s1, s47, s8
	s_mul_hi_u32 s4, s46, s8
	s_mul_i32 s0, s46, s8
	s_add_i32 s1, s4, s1
	v_add_nc_u32_e32 v56, 0x2000, v54
	s_lshl_b64 s[0:1], s[0:1], 4
	v_add_nc_u32_e32 v59, 0x2100, v54
	s_add_u32 s4, s40, s0
	s_addc_u32 s5, s41, s1
	s_lshl_b64 s[0:1], s[42:43], 4
	s_add_u32 s40, s4, s0
	s_addc_u32 s41, s5, s1
	s_lshl_b32 s0, s6, 5
	s_mul_i32 s4, s39, s8
	v_add_nc_u32_e32 v12, s0, v0
	v_add_nc_u32_e32 v14, s0, v1
	s_sub_i32 s42, s29, s0
	s_mul_hi_u32 s5, s38, s8
	s_cmp_gt_i32 s42, 0
	v_ashrrev_i32_e32 v13, 31, v12
	v_mul_lo_u32 v4, s21, v12
	v_mad_u64_u32 v[2:3], null, s20, v12, 0
	v_ashrrev_i32_e32 v15, 31, v14
	v_mul_lo_u32 v5, s20, v13
	v_add_co_u32 v18, vcc_lo, v12, 16
	v_add_co_ci_u32_e64 v19, null, 0, v13, vcc_lo
	s_cselect_b32 s43, -1, 0
	s_cmpk_eq_i32 s28, 0x84
	v_lshlrev_b64 v[24:25], 4, v[12:13]
	v_add3_u32 v3, v3, v5, v4
	v_lshlrev_b64 v[4:5], 4, v[14:15]
	s_cselect_b32 s28, -1, 0
	s_ashr_i32 s11, s29, 31
	s_ashr_i32 s46, s30, 31
	v_lshlrev_b64 v[2:3], 4, v[2:3]
	s_add_u32 s18, s29, -16
	s_addc_u32 s19, s11, -1
	s_add_i32 s5, s5, s4
	s_mul_i32 s4, s38, s8
	s_lshl_b64 s[8:9], s[26:27], 4
	v_add_co_u32 v2, vcc_lo, s2, v2
	v_add_co_ci_u32_e64 v3, null, s3, v3, vcc_lo
	s_lshl_b64 s[4:5], s[4:5], 4
	v_add_co_u32 v57, vcc_lo, v2, v4
	v_add_co_ci_u32_e64 v58, null, v3, v5, vcc_lo
	v_sub_co_u32 v20, vcc_lo, v12, v14
	v_sub_co_ci_u32_e64 v21, null, v13, v15, vcc_lo
	s_add_u32 s4, s4, s8
	v_add_co_u32 v22, vcc_lo, v20, 16
	v_add_co_ci_u32_e64 v23, null, 0, v21, vcc_lo
	v_add_co_u32 v6, vcc_lo, 0x100, v24
	s_addc_u32 s5, s5, s9
	s_add_u32 s6, s24, s4
	v_add_co_ci_u32_e64 v7, null, 0, v25, vcc_lo
	s_addc_u32 s8, s25, s5
	s_lshl_b64 s[22:23], s[36:37], 4
	s_lshl_b32 s24, s33, 5
	s_add_u32 s4, s48, s34
	s_addc_u32 s5, s49, s35
	v_mul_lo_u32 v7, s20, v7
	v_mad_u64_u32 v[2:3], null, s20, v6, s[4:5]
	v_mul_lo_u32 v6, s21, v6
	v_add_co_u32 v26, vcc_lo, v20, -16
	v_add_co_ci_u32_e64 v27, null, -1, v21, vcc_lo
	v_add_co_u32 v8, vcc_lo, s6, v24
	v_add_co_ci_u32_e64 v9, null, s8, v25, vcc_lo
	v_add3_u32 v3, v6, v3, v7
	v_add_co_u32 v28, vcc_lo, 0x100, v8
	v_add_co_ci_u32_e64 v29, null, 0, v9, vcc_lo
	v_add_co_u32 v2, vcc_lo, v2, v4
	v_add_nc_u32_e32 v16, 16, v12
	v_add_co_ci_u32_e64 v3, null, v3, v5, vcc_lo
	v_add_co_u32 v60, vcc_lo, s16, v2
	v_cmp_le_i64_e64 s1, s[10:11], v[18:19]
	v_add_nc_u32_e32 v0, 0x100, v54
	v_cmp_le_i32_e64 s0, s29, v12
	v_cmp_gt_i32_e64 s2, s29, v12
	v_cmp_gt_i32_e64 s3, s29, v16
	v_ashrrev_i32_e32 v17, 31, v16
	v_add_co_ci_u32_e64 v61, null, s17, v3, vcc_lo
	v_mov_b32_e32 v2, 0
	v_mov_b32_e32 v3, 0x3ff00000
	s_branch .LBB116_4
.LBB116_3:                              ;   in Loop: Header=BB116_4 Depth=1
	s_or_b32 exec_lo, exec_lo, s4
	v_add_nc_u32_e32 v30, s24, v30
	s_add_i32 s7, s33, s7
	s_cmp_le_i32 s7, s31
	s_cbranch_scc0 .LBB116_64
.LBB116_4:                              ; =>This Loop Header: Depth=1
                                        ;     Child Loop BB116_7 Depth 2
	v_lshl_add_u32 v62, s7, 5, v1
	s_andn2_b32 vcc_lo, exec_lo, s43
	v_ashrrev_i32_e32 v63, 31, v62
	s_cbranch_vccnz .LBB116_55
; %bb.5:                                ;   in Loop: Header=BB116_4 Depth=1
	v_ashrrev_i32_e32 v31, 31, v30
	v_mad_u64_u32 v[32:33], null, s22, v30, v[28:29]
	v_mul_lo_u32 v6, s23, v30
	v_mov_b32_e32 v48, 0
	v_lshlrev_b64 v[4:5], 4, v[30:31]
	v_mul_lo_u32 v7, s22, v31
	v_mov_b32_e32 v50, 0
	v_mov_b32_e32 v46, 0
	;; [unrolled: 1-line block ×4, first 2 shown]
	v_add_co_u32 v8, vcc_lo, 0x100, v4
	v_add_co_ci_u32_e64 v9, null, 0, v5, vcc_lo
	v_sub_co_u32 v4, vcc_lo, s30, v62
	v_add3_u32 v33, v6, v33, v7
	v_mul_lo_u32 v6, s36, v9
	v_mul_lo_u32 v7, s37, v8
	v_mad_u64_u32 v[34:35], null, s36, v8, v[28:29]
	v_sub_co_ci_u32_e64 v5, null, s46, v63, vcc_lo
	v_mov_b32_e32 v36, 0
	v_mov_b32_e32 v42, 0
	;; [unrolled: 1-line block ×3, first 2 shown]
	v_cmp_lt_i64_e64 s4, 16, v[4:5]
	v_mov_b32_e32 v49, 0
	v_mov_b32_e32 v51, 0
	;; [unrolled: 1-line block ×8, first 2 shown]
	v_add3_u32 v35, v7, v35, v6
	s_mov_b64 s[16:17], 0
	s_mov_b64 s[20:21], 0
	v_cmp_lt_i64_e32 vcc_lo, 0, v[4:5]
	s_branch .LBB116_7
.LBB116_6:                              ;   in Loop: Header=BB116_7 Depth=2
	s_or_b32 exec_lo, exec_lo, s5
	s_waitcnt lgkmcnt(0)
	s_barrier
	buffer_gl0_inv
	ds_read_b128 v[64:67], v53
	ds_read_b128 v[68:71], v53 offset:16
	ds_read_b128 v[8:11], v53 offset:32
	;; [unrolled: 1-line block ×3, first 2 shown]
	ds_read_b128 v[72:75], v52
	s_add_u32 s20, s20, 32
	s_addc_u32 s21, s21, 0
	s_add_u32 s16, s16, 0x200
	s_addc_u32 s17, s17, 0
	s_cmp_ge_i32 s20, s42
	s_waitcnt lgkmcnt(0)
	v_mul_f64 v[76:77], v[66:67], v[74:75]
	v_mul_f64 v[78:79], v[64:65], v[74:75]
	v_fma_f64 v[76:77], v[64:65], v[72:73], -v[76:77]
	v_fma_f64 v[78:79], v[66:67], v[72:73], v[78:79]
	v_add_f64 v[76:77], v[40:41], v[76:77]
	v_add_f64 v[78:79], v[78:79], v[42:43]
	ds_read_b128 v[40:43], v52 offset:256
	s_waitcnt lgkmcnt(0)
	v_mul_f64 v[80:81], v[66:67], v[42:43]
	v_fma_f64 v[80:81], v[64:65], v[40:41], -v[80:81]
	v_mul_f64 v[64:65], v[64:65], v[42:43]
	v_fma_f64 v[64:65], v[66:67], v[40:41], v[64:65]
	v_add_f64 v[66:67], v[36:37], v[80:81]
	v_add_f64 v[64:65], v[64:65], v[38:39]
	ds_read_b128 v[36:39], v53 offset:8192
	s_waitcnt lgkmcnt(0)
	v_mul_f64 v[80:81], v[38:39], v[74:75]
	v_mul_f64 v[74:75], v[36:37], v[74:75]
	v_fma_f64 v[80:81], v[36:37], v[72:73], -v[80:81]
	v_fma_f64 v[72:73], v[38:39], v[72:73], v[74:75]
	v_add_f64 v[74:75], v[44:45], v[80:81]
	v_mul_f64 v[44:45], v[38:39], v[42:43]
	v_add_f64 v[72:73], v[72:73], v[46:47]
	v_fma_f64 v[44:45], v[36:37], v[40:41], -v[44:45]
	v_mul_f64 v[36:37], v[36:37], v[42:43]
	v_add_f64 v[50:51], v[50:51], v[44:45]
	v_fma_f64 v[36:37], v[38:39], v[40:41], v[36:37]
	v_add_f64 v[48:49], v[36:37], v[48:49]
	ds_read_b128 v[36:39], v52 offset:512
	s_waitcnt lgkmcnt(0)
	v_mul_f64 v[40:41], v[70:71], v[38:39]
	v_mul_f64 v[42:43], v[68:69], v[38:39]
	v_fma_f64 v[40:41], v[68:69], v[36:37], -v[40:41]
	v_fma_f64 v[42:43], v[70:71], v[36:37], v[42:43]
	v_add_f64 v[76:77], v[76:77], v[40:41]
	v_add_f64 v[78:79], v[42:43], v[78:79]
	ds_read_b128 v[40:43], v52 offset:768
	s_waitcnt lgkmcnt(0)
	v_mul_f64 v[44:45], v[70:71], v[42:43]
	v_mul_f64 v[46:47], v[68:69], v[42:43]
	v_fma_f64 v[44:45], v[68:69], v[40:41], -v[44:45]
	v_fma_f64 v[46:47], v[70:71], v[40:41], v[46:47]
	v_add_f64 v[66:67], v[66:67], v[44:45]
	v_add_f64 v[64:65], v[46:47], v[64:65]
	ds_read_b128 v[44:47], v53 offset:8208
	s_waitcnt lgkmcnt(0)
	v_mul_f64 v[68:69], v[46:47], v[38:39]
	v_mul_f64 v[38:39], v[44:45], v[38:39]
	v_fma_f64 v[68:69], v[44:45], v[36:37], -v[68:69]
	v_fma_f64 v[36:37], v[46:47], v[36:37], v[38:39]
	v_mul_f64 v[38:39], v[44:45], v[42:43]
	v_add_f64 v[68:69], v[74:75], v[68:69]
	v_add_f64 v[70:71], v[36:37], v[72:73]
	v_mul_f64 v[36:37], v[46:47], v[42:43]
	v_fma_f64 v[38:39], v[46:47], v[40:41], v[38:39]
	v_fma_f64 v[36:37], v[44:45], v[40:41], -v[36:37]
	v_add_f64 v[46:47], v[38:39], v[48:49]
	v_add_f64 v[44:45], v[50:51], v[36:37]
	ds_read_b128 v[36:39], v52 offset:1024
	s_waitcnt lgkmcnt(0)
	v_mul_f64 v[40:41], v[10:11], v[38:39]
	v_mul_f64 v[42:43], v[8:9], v[38:39]
	v_fma_f64 v[40:41], v[8:9], v[36:37], -v[40:41]
	v_fma_f64 v[42:43], v[10:11], v[36:37], v[42:43]
	v_add_f64 v[48:49], v[76:77], v[40:41]
	v_add_f64 v[50:51], v[42:43], v[78:79]
	ds_read_b128 v[40:43], v52 offset:1280
	s_waitcnt lgkmcnt(0)
	v_mul_f64 v[72:73], v[10:11], v[42:43]
	v_fma_f64 v[72:73], v[8:9], v[40:41], -v[72:73]
	v_mul_f64 v[8:9], v[8:9], v[42:43]
	v_add_f64 v[66:67], v[66:67], v[72:73]
	v_fma_f64 v[8:9], v[10:11], v[40:41], v[8:9]
	v_add_f64 v[64:65], v[8:9], v[64:65]
	ds_read_b128 v[8:11], v53 offset:8224
	s_waitcnt lgkmcnt(0)
	v_mul_f64 v[72:73], v[10:11], v[38:39]
	v_mul_f64 v[38:39], v[8:9], v[38:39]
	v_fma_f64 v[72:73], v[8:9], v[36:37], -v[72:73]
	v_fma_f64 v[36:37], v[10:11], v[36:37], v[38:39]
	v_add_f64 v[68:69], v[68:69], v[72:73]
	v_add_f64 v[70:71], v[36:37], v[70:71]
	v_mul_f64 v[36:37], v[10:11], v[42:43]
	v_fma_f64 v[36:37], v[8:9], v[40:41], -v[36:37]
	v_mul_f64 v[8:9], v[8:9], v[42:43]
	v_fma_f64 v[8:9], v[10:11], v[40:41], v[8:9]
	v_add_f64 v[40:41], v[44:45], v[36:37]
	v_add_f64 v[42:43], v[8:9], v[46:47]
	ds_read_b128 v[8:11], v52 offset:1536
	s_waitcnt lgkmcnt(0)
	v_mul_f64 v[36:37], v[6:7], v[10:11]
	v_mul_f64 v[38:39], v[4:5], v[10:11]
	v_fma_f64 v[36:37], v[4:5], v[8:9], -v[36:37]
	v_fma_f64 v[38:39], v[6:7], v[8:9], v[38:39]
	v_add_f64 v[44:45], v[48:49], v[36:37]
	v_add_f64 v[46:47], v[38:39], v[50:51]
	ds_read_b128 v[36:39], v52 offset:1792
	s_waitcnt lgkmcnt(0)
	v_mul_f64 v[48:49], v[6:7], v[38:39]
	v_fma_f64 v[48:49], v[4:5], v[36:37], -v[48:49]
	v_mul_f64 v[4:5], v[4:5], v[38:39]
	v_add_f64 v[48:49], v[66:67], v[48:49]
	v_fma_f64 v[4:5], v[6:7], v[36:37], v[4:5]
	v_add_f64 v[50:51], v[4:5], v[64:65]
	ds_read_b128 v[4:7], v53 offset:8240
	s_waitcnt lgkmcnt(0)
	v_mul_f64 v[64:65], v[6:7], v[10:11]
	v_mul_f64 v[10:11], v[4:5], v[10:11]
	v_fma_f64 v[64:65], v[4:5], v[8:9], -v[64:65]
	v_fma_f64 v[8:9], v[6:7], v[8:9], v[10:11]
	v_add_f64 v[64:65], v[68:69], v[64:65]
	v_add_f64 v[66:67], v[8:9], v[70:71]
	v_mul_f64 v[8:9], v[6:7], v[38:39]
	v_fma_f64 v[8:9], v[4:5], v[36:37], -v[8:9]
	v_mul_f64 v[4:5], v[4:5], v[38:39]
	v_add_f64 v[40:41], v[40:41], v[8:9]
	v_fma_f64 v[4:5], v[6:7], v[36:37], v[4:5]
	v_add_f64 v[42:43], v[4:5], v[42:43]
	ds_read_b128 v[4:7], v53 offset:64
	ds_read_b128 v[8:11], v52 offset:2048
	s_waitcnt lgkmcnt(0)
	v_mul_f64 v[36:37], v[6:7], v[10:11]
	v_mul_f64 v[38:39], v[4:5], v[10:11]
	v_fma_f64 v[36:37], v[4:5], v[8:9], -v[36:37]
	v_fma_f64 v[38:39], v[6:7], v[8:9], v[38:39]
	v_add_f64 v[44:45], v[44:45], v[36:37]
	v_add_f64 v[46:47], v[38:39], v[46:47]
	ds_read_b128 v[36:39], v52 offset:2304
	s_waitcnt lgkmcnt(0)
	v_mul_f64 v[68:69], v[6:7], v[38:39]
	v_fma_f64 v[68:69], v[4:5], v[36:37], -v[68:69]
	v_mul_f64 v[4:5], v[4:5], v[38:39]
	v_add_f64 v[48:49], v[48:49], v[68:69]
	v_fma_f64 v[4:5], v[6:7], v[36:37], v[4:5]
	v_add_f64 v[50:51], v[4:5], v[50:51]
	ds_read_b128 v[4:7], v53 offset:8256
	s_waitcnt lgkmcnt(0)
	v_mul_f64 v[68:69], v[6:7], v[10:11]
	v_mul_f64 v[10:11], v[4:5], v[10:11]
	v_fma_f64 v[68:69], v[4:5], v[8:9], -v[68:69]
	v_fma_f64 v[8:9], v[6:7], v[8:9], v[10:11]
	v_add_f64 v[64:65], v[64:65], v[68:69]
	v_add_f64 v[66:67], v[8:9], v[66:67]
	v_mul_f64 v[8:9], v[6:7], v[38:39]
	v_fma_f64 v[8:9], v[4:5], v[36:37], -v[8:9]
	v_mul_f64 v[4:5], v[4:5], v[38:39]
	v_add_f64 v[68:69], v[40:41], v[8:9]
	v_fma_f64 v[4:5], v[6:7], v[36:37], v[4:5]
	v_add_f64 v[70:71], v[4:5], v[42:43]
	ds_read_b128 v[4:7], v53 offset:80
	ds_read_b128 v[8:11], v52 offset:2560
	s_waitcnt lgkmcnt(0)
	v_mul_f64 v[36:37], v[6:7], v[10:11]
	v_mul_f64 v[38:39], v[4:5], v[10:11]
	v_fma_f64 v[36:37], v[4:5], v[8:9], -v[36:37]
	v_fma_f64 v[38:39], v[6:7], v[8:9], v[38:39]
	v_add_f64 v[44:45], v[44:45], v[36:37]
	v_add_f64 v[46:47], v[38:39], v[46:47]
	ds_read_b128 v[36:39], v52 offset:2816
	s_waitcnt lgkmcnt(0)
	v_mul_f64 v[40:41], v[6:7], v[38:39]
	v_fma_f64 v[40:41], v[4:5], v[36:37], -v[40:41]
	v_mul_f64 v[4:5], v[4:5], v[38:39]
	v_fma_f64 v[6:7], v[6:7], v[36:37], v[4:5]
	v_add_f64 v[4:5], v[48:49], v[40:41]
	ds_read_b128 v[40:43], v53 offset:8272
	s_waitcnt lgkmcnt(0)
	v_mul_f64 v[48:49], v[42:43], v[10:11]
	v_mul_f64 v[10:11], v[40:41], v[10:11]
	v_add_f64 v[6:7], v[6:7], v[50:51]
	v_fma_f64 v[48:49], v[40:41], v[8:9], -v[48:49]
	v_fma_f64 v[8:9], v[42:43], v[8:9], v[10:11]
	v_mul_f64 v[10:11], v[40:41], v[38:39]
	v_add_f64 v[48:49], v[64:65], v[48:49]
	v_add_f64 v[50:51], v[8:9], v[66:67]
	v_mul_f64 v[8:9], v[42:43], v[38:39]
	v_fma_f64 v[10:11], v[42:43], v[36:37], v[10:11]
	v_fma_f64 v[8:9], v[40:41], v[36:37], -v[8:9]
	v_add_f64 v[66:67], v[10:11], v[70:71]
	v_add_f64 v[64:65], v[68:69], v[8:9]
	ds_read_b128 v[8:11], v53 offset:96
	ds_read_b128 v[36:39], v52 offset:3072
	s_waitcnt lgkmcnt(0)
	v_mul_f64 v[40:41], v[10:11], v[38:39]
	v_mul_f64 v[42:43], v[8:9], v[38:39]
	v_fma_f64 v[40:41], v[8:9], v[36:37], -v[40:41]
	v_fma_f64 v[42:43], v[10:11], v[36:37], v[42:43]
	v_add_f64 v[44:45], v[44:45], v[40:41]
	v_add_f64 v[46:47], v[42:43], v[46:47]
	ds_read_b128 v[40:43], v52 offset:3328
	s_waitcnt lgkmcnt(0)
	v_mul_f64 v[68:69], v[10:11], v[42:43]
	v_fma_f64 v[68:69], v[8:9], v[40:41], -v[68:69]
	v_mul_f64 v[8:9], v[8:9], v[42:43]
	v_add_f64 v[68:69], v[4:5], v[68:69]
	v_fma_f64 v[8:9], v[10:11], v[40:41], v[8:9]
	v_add_f64 v[70:71], v[8:9], v[6:7]
	ds_read_b128 v[4:7], v53 offset:8288
	s_waitcnt lgkmcnt(0)
	v_mul_f64 v[8:9], v[6:7], v[38:39]
	v_mul_f64 v[10:11], v[4:5], v[38:39]
	v_fma_f64 v[8:9], v[4:5], v[36:37], -v[8:9]
	v_fma_f64 v[10:11], v[6:7], v[36:37], v[10:11]
	v_add_f64 v[48:49], v[48:49], v[8:9]
	v_mul_f64 v[8:9], v[6:7], v[42:43]
	v_add_f64 v[50:51], v[10:11], v[50:51]
	v_fma_f64 v[8:9], v[4:5], v[40:41], -v[8:9]
	v_mul_f64 v[4:5], v[4:5], v[42:43]
	v_fma_f64 v[4:5], v[6:7], v[40:41], v[4:5]
	v_add_f64 v[40:41], v[64:65], v[8:9]
	v_add_f64 v[42:43], v[4:5], v[66:67]
	ds_read_b128 v[4:7], v53 offset:112
	ds_read_b128 v[8:11], v52 offset:3584
	s_waitcnt lgkmcnt(0)
	v_mul_f64 v[36:37], v[6:7], v[10:11]
	v_mul_f64 v[38:39], v[4:5], v[10:11]
	v_fma_f64 v[36:37], v[4:5], v[8:9], -v[36:37]
	v_fma_f64 v[38:39], v[6:7], v[8:9], v[38:39]
	v_add_f64 v[44:45], v[44:45], v[36:37]
	v_add_f64 v[46:47], v[38:39], v[46:47]
	ds_read_b128 v[36:39], v52 offset:3840
	s_waitcnt lgkmcnt(0)
	v_mul_f64 v[64:65], v[6:7], v[38:39]
	v_fma_f64 v[64:65], v[4:5], v[36:37], -v[64:65]
	v_mul_f64 v[4:5], v[4:5], v[38:39]
	v_add_f64 v[64:65], v[68:69], v[64:65]
	v_fma_f64 v[4:5], v[6:7], v[36:37], v[4:5]
	v_add_f64 v[66:67], v[4:5], v[70:71]
	ds_read_b128 v[4:7], v53 offset:8304
	s_waitcnt lgkmcnt(0)
	v_mul_f64 v[68:69], v[6:7], v[10:11]
	v_mul_f64 v[10:11], v[4:5], v[10:11]
	v_fma_f64 v[68:69], v[4:5], v[8:9], -v[68:69]
	v_fma_f64 v[8:9], v[6:7], v[8:9], v[10:11]
	v_add_f64 v[48:49], v[48:49], v[68:69]
	v_add_f64 v[50:51], v[8:9], v[50:51]
	v_mul_f64 v[8:9], v[6:7], v[38:39]
	v_fma_f64 v[8:9], v[4:5], v[36:37], -v[8:9]
	v_mul_f64 v[4:5], v[4:5], v[38:39]
	v_add_f64 v[40:41], v[40:41], v[8:9]
	v_fma_f64 v[4:5], v[6:7], v[36:37], v[4:5]
	v_add_f64 v[42:43], v[4:5], v[42:43]
	ds_read_b128 v[4:7], v53 offset:128
	ds_read_b128 v[8:11], v52 offset:4096
	s_waitcnt lgkmcnt(0)
	v_mul_f64 v[36:37], v[6:7], v[10:11]
	v_mul_f64 v[38:39], v[4:5], v[10:11]
	v_fma_f64 v[36:37], v[4:5], v[8:9], -v[36:37]
	v_fma_f64 v[38:39], v[6:7], v[8:9], v[38:39]
	v_add_f64 v[44:45], v[44:45], v[36:37]
	v_add_f64 v[46:47], v[38:39], v[46:47]
	ds_read_b128 v[36:39], v52 offset:4352
	s_waitcnt lgkmcnt(0)
	v_mul_f64 v[68:69], v[6:7], v[38:39]
	v_fma_f64 v[68:69], v[4:5], v[36:37], -v[68:69]
	v_mul_f64 v[4:5], v[4:5], v[38:39]
	v_add_f64 v[64:65], v[64:65], v[68:69]
	v_fma_f64 v[4:5], v[6:7], v[36:37], v[4:5]
	v_add_f64 v[66:67], v[4:5], v[66:67]
	ds_read_b128 v[4:7], v53 offset:8320
	s_waitcnt lgkmcnt(0)
	v_mul_f64 v[68:69], v[6:7], v[10:11]
	v_mul_f64 v[10:11], v[4:5], v[10:11]
	v_fma_f64 v[68:69], v[4:5], v[8:9], -v[68:69]
	v_fma_f64 v[8:9], v[6:7], v[8:9], v[10:11]
	v_add_f64 v[48:49], v[48:49], v[68:69]
	v_add_f64 v[50:51], v[8:9], v[50:51]
	v_mul_f64 v[8:9], v[6:7], v[38:39]
	v_fma_f64 v[8:9], v[4:5], v[36:37], -v[8:9]
	v_mul_f64 v[4:5], v[4:5], v[38:39]
	v_add_f64 v[40:41], v[40:41], v[8:9]
	v_fma_f64 v[4:5], v[6:7], v[36:37], v[4:5]
	;; [unrolled: 31-line block ×21, first 2 shown]
	v_add_f64 v[42:43], v[4:5], v[42:43]
	ds_read_b128 v[4:7], v53 offset:448
	ds_read_b128 v[8:11], v52 offset:14336
	s_waitcnt lgkmcnt(0)
	v_mul_f64 v[36:37], v[6:7], v[10:11]
	v_mul_f64 v[38:39], v[4:5], v[10:11]
	v_fma_f64 v[36:37], v[4:5], v[8:9], -v[36:37]
	v_fma_f64 v[38:39], v[6:7], v[8:9], v[38:39]
	v_add_f64 v[44:45], v[44:45], v[36:37]
	v_add_f64 v[46:47], v[38:39], v[46:47]
	ds_read_b128 v[36:39], v52 offset:14592
	s_waitcnt lgkmcnt(0)
	v_mul_f64 v[68:69], v[6:7], v[38:39]
	v_fma_f64 v[68:69], v[4:5], v[36:37], -v[68:69]
	v_mul_f64 v[4:5], v[4:5], v[38:39]
	v_add_f64 v[64:65], v[64:65], v[68:69]
	v_fma_f64 v[4:5], v[6:7], v[36:37], v[4:5]
	v_add_f64 v[66:67], v[4:5], v[66:67]
	ds_read_b128 v[4:7], v53 offset:8640
	s_waitcnt lgkmcnt(0)
	v_mul_f64 v[68:69], v[6:7], v[10:11]
	v_mul_f64 v[10:11], v[4:5], v[10:11]
	v_fma_f64 v[68:69], v[4:5], v[8:9], -v[68:69]
	v_fma_f64 v[8:9], v[6:7], v[8:9], v[10:11]
	v_add_f64 v[48:49], v[48:49], v[68:69]
	v_add_f64 v[50:51], v[8:9], v[50:51]
	v_mul_f64 v[8:9], v[6:7], v[38:39]
	v_fma_f64 v[8:9], v[4:5], v[36:37], -v[8:9]
	v_mul_f64 v[4:5], v[4:5], v[38:39]
	v_fma_f64 v[6:7], v[6:7], v[36:37], v[4:5]
	v_add_f64 v[4:5], v[40:41], v[8:9]
	ds_read_b128 v[8:11], v53 offset:464
	ds_read_b128 v[36:39], v52 offset:14848
	v_add_f64 v[6:7], v[6:7], v[42:43]
	s_waitcnt lgkmcnt(0)
	v_mul_f64 v[40:41], v[10:11], v[38:39]
	v_mul_f64 v[42:43], v[8:9], v[38:39]
	v_fma_f64 v[40:41], v[8:9], v[36:37], -v[40:41]
	v_fma_f64 v[42:43], v[10:11], v[36:37], v[42:43]
	v_add_f64 v[44:45], v[44:45], v[40:41]
	v_add_f64 v[46:47], v[42:43], v[46:47]
	ds_read_b128 v[40:43], v52 offset:15104
	s_waitcnt lgkmcnt(0)
	v_mul_f64 v[68:69], v[10:11], v[42:43]
	v_fma_f64 v[68:69], v[8:9], v[40:41], -v[68:69]
	v_mul_f64 v[8:9], v[8:9], v[42:43]
	v_add_f64 v[64:65], v[64:65], v[68:69]
	v_fma_f64 v[8:9], v[10:11], v[40:41], v[8:9]
	v_add_f64 v[66:67], v[8:9], v[66:67]
	ds_read_b128 v[8:11], v53 offset:8656
	s_waitcnt lgkmcnt(0)
	v_mul_f64 v[68:69], v[10:11], v[38:39]
	v_mul_f64 v[38:39], v[8:9], v[38:39]
	v_fma_f64 v[68:69], v[8:9], v[36:37], -v[68:69]
	v_fma_f64 v[36:37], v[10:11], v[36:37], v[38:39]
	v_add_f64 v[48:49], v[48:49], v[68:69]
	v_add_f64 v[50:51], v[36:37], v[50:51]
	v_mul_f64 v[36:37], v[10:11], v[42:43]
	v_fma_f64 v[36:37], v[8:9], v[40:41], -v[36:37]
	v_mul_f64 v[8:9], v[8:9], v[42:43]
	v_fma_f64 v[8:9], v[10:11], v[40:41], v[8:9]
	v_add_f64 v[40:41], v[4:5], v[36:37]
	v_add_f64 v[42:43], v[8:9], v[6:7]
	ds_read_b128 v[4:7], v53 offset:480
	ds_read_b128 v[8:11], v52 offset:15360
	s_waitcnt lgkmcnt(0)
	v_mul_f64 v[36:37], v[6:7], v[10:11]
	v_mul_f64 v[38:39], v[4:5], v[10:11]
	v_fma_f64 v[36:37], v[4:5], v[8:9], -v[36:37]
	v_fma_f64 v[38:39], v[6:7], v[8:9], v[38:39]
	v_add_f64 v[68:69], v[44:45], v[36:37]
	v_add_f64 v[70:71], v[38:39], v[46:47]
	ds_read_b128 v[36:39], v52 offset:15616
	s_waitcnt lgkmcnt(0)
	v_mul_f64 v[44:45], v[6:7], v[38:39]
	v_fma_f64 v[44:45], v[4:5], v[36:37], -v[44:45]
	v_mul_f64 v[4:5], v[4:5], v[38:39]
	v_add_f64 v[64:65], v[64:65], v[44:45]
	v_fma_f64 v[4:5], v[6:7], v[36:37], v[4:5]
	v_add_f64 v[66:67], v[4:5], v[66:67]
	ds_read_b128 v[4:7], v53 offset:8672
	s_waitcnt lgkmcnt(0)
	v_mul_f64 v[44:45], v[6:7], v[10:11]
	v_mul_f64 v[10:11], v[4:5], v[10:11]
	v_fma_f64 v[44:45], v[4:5], v[8:9], -v[44:45]
	v_fma_f64 v[8:9], v[6:7], v[8:9], v[10:11]
	v_add_f64 v[72:73], v[48:49], v[44:45]
	v_add_f64 v[74:75], v[8:9], v[50:51]
	v_mul_f64 v[8:9], v[6:7], v[38:39]
	v_fma_f64 v[8:9], v[4:5], v[36:37], -v[8:9]
	v_mul_f64 v[4:5], v[4:5], v[38:39]
	v_fma_f64 v[6:7], v[6:7], v[36:37], v[4:5]
	v_add_f64 v[4:5], v[40:41], v[8:9]
	ds_read_b128 v[8:11], v53 offset:496
	ds_read_b128 v[44:47], v52 offset:15872
	;; [unrolled: 1-line block ×3, first 2 shown]
	s_waitcnt lgkmcnt(1)
	v_mul_f64 v[36:37], v[10:11], v[46:47]
	v_mul_f64 v[38:39], v[8:9], v[46:47]
	v_add_f64 v[6:7], v[6:7], v[42:43]
	v_fma_f64 v[36:37], v[8:9], v[44:45], -v[36:37]
	v_fma_f64 v[38:39], v[10:11], v[44:45], v[38:39]
	v_add_f64 v[40:41], v[68:69], v[36:37]
	s_waitcnt lgkmcnt(0)
	v_mul_f64 v[36:37], v[10:11], v[50:51]
	v_add_f64 v[42:43], v[38:39], v[70:71]
	v_fma_f64 v[36:37], v[8:9], v[48:49], -v[36:37]
	v_mul_f64 v[8:9], v[8:9], v[50:51]
	v_add_f64 v[36:37], v[64:65], v[36:37]
	v_fma_f64 v[8:9], v[10:11], v[48:49], v[8:9]
	v_add_f64 v[38:39], v[8:9], v[66:67]
	ds_read_b128 v[8:11], v53 offset:8688
	s_waitcnt lgkmcnt(0)
	s_barrier
	buffer_gl0_inv
	v_mul_f64 v[64:65], v[10:11], v[46:47]
	v_mul_f64 v[46:47], v[8:9], v[46:47]
	v_fma_f64 v[64:65], v[8:9], v[44:45], -v[64:65]
	v_fma_f64 v[46:47], v[10:11], v[44:45], v[46:47]
	v_add_f64 v[44:45], v[72:73], v[64:65]
	v_mul_f64 v[64:65], v[10:11], v[50:51]
	v_add_f64 v[46:47], v[46:47], v[74:75]
	v_fma_f64 v[64:65], v[8:9], v[48:49], -v[64:65]
	v_mul_f64 v[8:9], v[8:9], v[50:51]
	v_add_f64 v[50:51], v[4:5], v[64:65]
	v_fma_f64 v[8:9], v[10:11], v[48:49], v[8:9]
	v_add_f64 v[48:49], v[8:9], v[6:7]
	s_cbranch_scc1 .LBB116_56
.LBB116_7:                              ;   Parent Loop BB116_4 Depth=1
                                        ; =>  This Inner Loop Header: Depth=2
	v_add_co_u32 v8, s5, v14, s20
	v_add_co_ci_u32_e64 v9, null, s21, v15, s5
	v_cmp_eq_u64_e64 s8, s[20:21], v[20:21]
	v_cmp_le_i64_e64 s6, s[10:11], v[8:9]
	v_cmp_lt_i64_e64 s5, v[8:9], v[12:13]
	s_and_b32 s26, s28, s8
	v_add_co_u32 v6, s8, v57, s16
	v_add_co_ci_u32_e64 v7, null, s17, v58, s8
	s_or_b32 s9, s6, s5
	s_or_b32 s8, s9, s26
	s_nor_b32 s8, s0, s8
	s_and_saveexec_b32 s9, s8
	s_xor_b32 s8, exec_lo, s9
	s_cbranch_execz .LBB116_9
; %bb.8:                                ;   in Loop: Header=BB116_7 Depth=2
	global_load_dwordx4 v[64:67], v[6:7], off
	s_waitcnt vmcnt(0)
	v_xor_b32_e32 v67, 0x80000000, v67
	ds_write_b128 v55, v[64:67]
.LBB116_9:                              ;   in Loop: Header=BB116_7 Depth=2
	s_or_saveexec_b32 s8, s8
	s_xor_b32 s25, s26, -1
	s_xor_b32 exec_lo, exec_lo, s8
	s_cbranch_execz .LBB116_15
; %bb.10:                               ;   in Loop: Header=BB116_7 Depth=2
	s_and_saveexec_b32 s9, s25
	s_xor_b32 s9, exec_lo, s9
	s_cbranch_execz .LBB116_12
; %bb.11:                               ;   in Loop: Header=BB116_7 Depth=2
	v_mov_b32_e32 v64, v2
	v_mov_b32_e32 v65, v2
	;; [unrolled: 1-line block ×4, first 2 shown]
	ds_write_b128 v55, v[64:67]
.LBB116_12:                             ;   in Loop: Header=BB116_7 Depth=2
	s_andn2_saveexec_b32 s9, s9
; %bb.13:                               ;   in Loop: Header=BB116_7 Depth=2
	v_mov_b32_e32 v4, v2
	v_mov_b32_e32 v5, v2
	ds_write_b128 v55, v[2:5]
; %bb.14:                               ;   in Loop: Header=BB116_7 Depth=2
	s_or_b32 exec_lo, exec_lo, s9
.LBB116_15:                             ;   in Loop: Header=BB116_7 Depth=2
	s_or_b32 exec_lo, exec_lo, s8
	v_cmp_eq_u64_e64 s8, s[20:21], v[22:23]
	v_cmp_gt_i64_e64 s9, v[18:19], v[8:9]
	s_and_b32 s8, s28, s8
	s_or_b32 s6, s6, s9
	s_or_b32 s6, s6, s8
	s_nor_b32 s6, s1, s6
	s_and_saveexec_b32 s9, s6
	s_xor_b32 s9, exec_lo, s9
	s_cbranch_execz .LBB116_17
; %bb.16:                               ;   in Loop: Header=BB116_7 Depth=2
	v_add_co_u32 v4, s6, v60, s16
	v_add_co_ci_u32_e64 v5, null, s17, v61, s6
	global_load_dwordx4 v[64:67], v[4:5], off
	s_waitcnt vmcnt(0)
	v_xor_b32_e32 v67, 0x80000000, v67
	ds_write_b128 v55, v[64:67] offset:256
.LBB116_17:                             ;   in Loop: Header=BB116_7 Depth=2
	s_andn2_saveexec_b32 s6, s9
	s_cbranch_execz .LBB116_23
; %bb.18:                               ;   in Loop: Header=BB116_7 Depth=2
	s_xor_b32 s8, s8, -1
	s_and_saveexec_b32 s9, s8
	s_xor_b32 s8, exec_lo, s9
	s_cbranch_execz .LBB116_20
; %bb.19:                               ;   in Loop: Header=BB116_7 Depth=2
	v_mov_b32_e32 v64, v2
	v_mov_b32_e32 v65, v2
	;; [unrolled: 1-line block ×4, first 2 shown]
	ds_write_b128 v55, v[64:67] offset:256
.LBB116_20:                             ;   in Loop: Header=BB116_7 Depth=2
	s_andn2_saveexec_b32 s8, s8
; %bb.21:                               ;   in Loop: Header=BB116_7 Depth=2
	v_mov_b32_e32 v4, v2
	v_mov_b32_e32 v5, v2
	ds_write_b128 v55, v[2:5] offset:256
; %bb.22:                               ;   in Loop: Header=BB116_7 Depth=2
	s_or_b32 exec_lo, exec_lo, s8
.LBB116_23:                             ;   in Loop: Header=BB116_7 Depth=2
	s_or_b32 exec_lo, exec_lo, s6
	v_add_co_u32 v4, s6, v8, 16
	v_add_co_ci_u32_e64 v5, null, 0, v9, s6
	v_cmp_eq_u64_e64 s8, s[20:21], v[26:27]
	v_cmp_le_i64_e64 s6, s[10:11], v[4:5]
	v_cmp_lt_i64_e64 s9, v[4:5], v[12:13]
	s_and_b32 s27, s28, s8
	s_or_b32 s8, s6, s9
	s_or_b32 s8, s8, s27
	s_nor_b32 s8, s0, s8
	s_and_saveexec_b32 s9, s8
	s_xor_b32 s8, exec_lo, s9
	s_cbranch_execz .LBB116_25
; %bb.24:                               ;   in Loop: Header=BB116_7 Depth=2
	global_load_dwordx4 v[4:7], v[6:7], off offset:256
	s_waitcnt vmcnt(0)
	v_xor_b32_e32 v7, 0x80000000, v7
	ds_write_b128 v55, v[4:7] offset:8192
.LBB116_25:                             ;   in Loop: Header=BB116_7 Depth=2
	s_andn2_saveexec_b32 s8, s8
	s_cbranch_execz .LBB116_31
; %bb.26:                               ;   in Loop: Header=BB116_7 Depth=2
	s_xor_b32 s9, s27, -1
	s_and_saveexec_b32 s27, s9
	s_xor_b32 s9, exec_lo, s27
	s_cbranch_execz .LBB116_28
; %bb.27:                               ;   in Loop: Header=BB116_7 Depth=2
	v_mov_b32_e32 v4, v2
	v_mov_b32_e32 v5, v2
	;; [unrolled: 1-line block ×4, first 2 shown]
	ds_write_b128 v55, v[4:7] offset:8192
.LBB116_28:                             ;   in Loop: Header=BB116_7 Depth=2
	s_andn2_saveexec_b32 s9, s9
; %bb.29:                               ;   in Loop: Header=BB116_7 Depth=2
	v_mov_b32_e32 v4, v2
	v_mov_b32_e32 v5, v2
	ds_write_b128 v55, v[2:5] offset:8192
; %bb.30:                               ;   in Loop: Header=BB116_7 Depth=2
	s_or_b32 exec_lo, exec_lo, s9
.LBB116_31:                             ;   in Loop: Header=BB116_7 Depth=2
	s_or_b32 exec_lo, exec_lo, s8
	s_or_b32 s5, s6, s5
	s_or_b32 s5, s5, s26
	s_nor_b32 s5, s1, s5
	s_and_saveexec_b32 s6, s5
	s_xor_b32 s6, exec_lo, s6
	s_cbranch_execz .LBB116_33
; %bb.32:                               ;   in Loop: Header=BB116_7 Depth=2
	v_add_co_u32 v4, s5, v60, s16
	v_add_co_ci_u32_e64 v5, null, s17, v61, s5
	global_load_dwordx4 v[4:7], v[4:5], off offset:256
	s_waitcnt vmcnt(0)
	v_xor_b32_e32 v7, 0x80000000, v7
	ds_write_b128 v55, v[4:7] offset:8448
.LBB116_33:                             ;   in Loop: Header=BB116_7 Depth=2
	s_andn2_saveexec_b32 s5, s6
	s_cbranch_execz .LBB116_39
; %bb.34:                               ;   in Loop: Header=BB116_7 Depth=2
	s_and_saveexec_b32 s6, s25
	s_xor_b32 s6, exec_lo, s6
	s_cbranch_execz .LBB116_36
; %bb.35:                               ;   in Loop: Header=BB116_7 Depth=2
	v_mov_b32_e32 v4, v2
	v_mov_b32_e32 v5, v2
	;; [unrolled: 1-line block ×4, first 2 shown]
	ds_write_b128 v55, v[4:7] offset:8448
.LBB116_36:                             ;   in Loop: Header=BB116_7 Depth=2
	s_andn2_saveexec_b32 s6, s6
; %bb.37:                               ;   in Loop: Header=BB116_7 Depth=2
	v_mov_b32_e32 v4, v2
	v_mov_b32_e32 v5, v2
	ds_write_b128 v55, v[2:5] offset:8448
; %bb.38:                               ;   in Loop: Header=BB116_7 Depth=2
	s_or_b32 exec_lo, exec_lo, s6
.LBB116_39:                             ;   in Loop: Header=BB116_7 Depth=2
	s_or_b32 exec_lo, exec_lo, s5
	v_add_co_u32 v4, s5, v12, s20
	v_add_co_ci_u32_e64 v5, null, s21, v13, s5
	v_cmp_gt_i64_e64 s5, s[10:11], v[4:5]
	s_and_b32 s6, vcc_lo, s5
	s_xor_b32 s6, s6, -1
	s_and_saveexec_b32 s8, s6
	s_xor_b32 s6, exec_lo, s8
	s_cbranch_execz .LBB116_41
; %bb.40:                               ;   in Loop: Header=BB116_7 Depth=2
	v_mov_b32_e32 v6, v2
	v_mov_b32_e32 v7, v2
	;; [unrolled: 1-line block ×4, first 2 shown]
	ds_write_b128 v54, v[6:9]
.LBB116_41:                             ;   in Loop: Header=BB116_7 Depth=2
	s_or_saveexec_b32 s8, s6
	v_add_co_u32 v6, s6, v32, s16
	v_add_co_ci_u32_e64 v7, null, s17, v33, s6
	s_xor_b32 exec_lo, exec_lo, s8
	s_cbranch_execz .LBB116_43
; %bb.42:                               ;   in Loop: Header=BB116_7 Depth=2
	global_load_dwordx4 v[8:11], v[6:7], off offset:-256
	s_waitcnt vmcnt(0)
	ds_write2_b64 v54, v[8:9], v[10:11] offset1:1
.LBB116_43:                             ;   in Loop: Header=BB116_7 Depth=2
	s_or_b32 exec_lo, exec_lo, s8
	v_cmp_gt_i64_e64 s6, s[18:19], v[4:5]
	s_and_b32 s8, vcc_lo, s6
	s_xor_b32 s8, s8, -1
	s_and_saveexec_b32 s9, s8
	s_xor_b32 s8, exec_lo, s9
	s_cbranch_execz .LBB116_45
; %bb.44:                               ;   in Loop: Header=BB116_7 Depth=2
	v_mov_b32_e32 v4, v2
	v_mov_b32_e32 v5, v2
	;; [unrolled: 1-line block ×4, first 2 shown]
	ds_write_b128 v54, v[4:7] offset:256
                                        ; implicit-def: $vgpr6_vgpr7
.LBB116_45:                             ;   in Loop: Header=BB116_7 Depth=2
	s_andn2_saveexec_b32 s8, s8
	s_cbranch_execz .LBB116_47
; %bb.46:                               ;   in Loop: Header=BB116_7 Depth=2
	global_load_dwordx4 v[4:7], v[6:7], off
	s_waitcnt vmcnt(0)
	ds_write2_b64 v0, v[4:5], v[6:7] offset1:1
.LBB116_47:                             ;   in Loop: Header=BB116_7 Depth=2
	s_or_b32 exec_lo, exec_lo, s8
	s_and_b32 s5, s4, s5
	s_xor_b32 s5, s5, -1
	s_and_saveexec_b32 s8, s5
	s_xor_b32 s5, exec_lo, s8
	s_cbranch_execz .LBB116_49
; %bb.48:                               ;   in Loop: Header=BB116_7 Depth=2
	v_mov_b32_e32 v4, v2
	v_mov_b32_e32 v5, v2
	;; [unrolled: 1-line block ×4, first 2 shown]
	ds_write_b128 v54, v[4:7] offset:8192
.LBB116_49:                             ;   in Loop: Header=BB116_7 Depth=2
	s_or_saveexec_b32 s8, s5
	v_add_co_u32 v4, s5, v34, s16
	v_add_co_ci_u32_e64 v5, null, s17, v35, s5
	s_xor_b32 exec_lo, exec_lo, s8
	s_cbranch_execz .LBB116_51
; %bb.50:                               ;   in Loop: Header=BB116_7 Depth=2
	global_load_dwordx4 v[6:9], v[4:5], off offset:-256
	s_waitcnt vmcnt(0)
	ds_write2_b64 v56, v[6:7], v[8:9] offset1:1
.LBB116_51:                             ;   in Loop: Header=BB116_7 Depth=2
	s_or_b32 exec_lo, exec_lo, s8
	s_and_b32 s5, s4, s6
	s_xor_b32 s5, s5, -1
	s_and_saveexec_b32 s6, s5
	s_xor_b32 s5, exec_lo, s6
	s_cbranch_execz .LBB116_53
; %bb.52:                               ;   in Loop: Header=BB116_7 Depth=2
	v_mov_b32_e32 v4, v2
	v_mov_b32_e32 v5, v2
	;; [unrolled: 1-line block ×4, first 2 shown]
	ds_write_b128 v54, v[4:7] offset:8448
                                        ; implicit-def: $vgpr4_vgpr5
.LBB116_53:                             ;   in Loop: Header=BB116_7 Depth=2
	s_andn2_saveexec_b32 s5, s5
	s_cbranch_execz .LBB116_6
; %bb.54:                               ;   in Loop: Header=BB116_7 Depth=2
	global_load_dwordx4 v[4:7], v[4:5], off
	s_waitcnt vmcnt(0)
	ds_write2_b64 v59, v[4:5], v[6:7] offset1:1
	s_branch .LBB116_6
.LBB116_55:                             ;   in Loop: Header=BB116_4 Depth=1
	v_mov_b32_e32 v40, 0
	v_mov_b32_e32 v42, 0
	;; [unrolled: 1-line block ×16, first 2 shown]
.LBB116_56:                             ;   in Loop: Header=BB116_4 Depth=1
	v_mul_lo_u32 v6, s45, v62
	v_mul_lo_u32 v7, s44, v63
	v_mad_u64_u32 v[4:5], null, s44, v62, 0
	v_cmp_gt_i32_e32 vcc_lo, s30, v62
	v_add3_u32 v5, v5, v7, v6
	v_lshlrev_b64 v[4:5], 4, v[4:5]
	v_add_co_u32 v4, s4, s40, v4
	v_add_co_ci_u32_e64 v5, null, s41, v5, s4
	s_and_b32 s4, s2, vcc_lo
	s_and_saveexec_b32 s5, s4
	s_cbranch_execz .LBB116_58
; %bb.57:                               ;   in Loop: Header=BB116_4 Depth=1
	v_add_co_u32 v10, s4, v4, v24
	v_add_co_ci_u32_e64 v11, null, v5, v25, s4
	v_mul_f64 v[31:32], s[14:15], v[42:43]
	v_mul_f64 v[33:34], s[12:13], v[42:43]
	global_load_dwordx4 v[6:9], v[10:11], off
	v_fma_f64 v[31:32], s[12:13], v[40:41], -v[31:32]
	v_fma_f64 v[33:34], s[14:15], v[40:41], v[33:34]
	s_waitcnt vmcnt(0)
	v_add_f64 v[6:7], v[6:7], v[31:32]
	v_add_f64 v[8:9], v[33:34], v[8:9]
	global_store_dwordx4 v[10:11], v[6:9], off
.LBB116_58:                             ;   in Loop: Header=BB116_4 Depth=1
	s_or_b32 exec_lo, exec_lo, s5
	s_and_b32 s5, s3, vcc_lo
	s_and_saveexec_b32 s4, s5
	s_cbranch_execz .LBB116_60
; %bb.59:                               ;   in Loop: Header=BB116_4 Depth=1
	v_lshlrev_b64 v[6:7], 4, v[16:17]
	v_mul_f64 v[10:11], s[14:15], v[38:39]
	v_mul_f64 v[31:32], s[12:13], v[38:39]
	v_add_co_u32 v8, vcc_lo, v4, v6
	v_add_co_ci_u32_e64 v9, null, v5, v7, vcc_lo
	global_load_dwordx4 v[4:7], v[8:9], off
	v_fma_f64 v[10:11], s[12:13], v[36:37], -v[10:11]
	v_fma_f64 v[31:32], s[14:15], v[36:37], v[31:32]
	s_waitcnt vmcnt(0)
	v_add_f64 v[4:5], v[4:5], v[10:11]
	v_add_f64 v[6:7], v[31:32], v[6:7]
	global_store_dwordx4 v[8:9], v[4:7], off
.LBB116_60:                             ;   in Loop: Header=BB116_4 Depth=1
	s_or_b32 exec_lo, exec_lo, s4
	v_add_nc_u32_e32 v6, 16, v62
	v_ashrrev_i32_e32 v7, 31, v6
	v_mul_lo_u32 v8, s45, v6
	v_mad_u64_u32 v[4:5], null, s44, v6, 0
	v_cmp_gt_i32_e32 vcc_lo, s30, v6
	v_mul_lo_u32 v7, s44, v7
	v_add3_u32 v5, v5, v7, v8
	v_lshlrev_b64 v[4:5], 4, v[4:5]
	v_add_co_u32 v4, s4, s40, v4
	v_add_co_ci_u32_e64 v5, null, s41, v5, s4
	s_and_b32 s4, s2, vcc_lo
	s_and_saveexec_b32 s5, s4
	s_cbranch_execz .LBB116_62
; %bb.61:                               ;   in Loop: Header=BB116_4 Depth=1
	v_add_co_u32 v10, s4, v4, v24
	v_add_co_ci_u32_e64 v11, null, v5, v25, s4
	v_mul_f64 v[31:32], s[14:15], v[46:47]
	v_mul_f64 v[33:34], s[12:13], v[46:47]
	global_load_dwordx4 v[6:9], v[10:11], off
	v_fma_f64 v[31:32], s[12:13], v[44:45], -v[31:32]
	v_fma_f64 v[33:34], s[14:15], v[44:45], v[33:34]
	s_waitcnt vmcnt(0)
	v_add_f64 v[6:7], v[6:7], v[31:32]
	v_add_f64 v[8:9], v[33:34], v[8:9]
	global_store_dwordx4 v[10:11], v[6:9], off
.LBB116_62:                             ;   in Loop: Header=BB116_4 Depth=1
	s_or_b32 exec_lo, exec_lo, s5
	s_and_b32 s5, s3, vcc_lo
	s_and_saveexec_b32 s4, s5
	s_cbranch_execz .LBB116_3
; %bb.63:                               ;   in Loop: Header=BB116_4 Depth=1
	v_lshlrev_b64 v[6:7], 4, v[16:17]
	v_mul_f64 v[10:11], s[14:15], v[48:49]
	v_mul_f64 v[31:32], s[12:13], v[48:49]
	v_add_co_u32 v8, vcc_lo, v4, v6
	v_add_co_ci_u32_e64 v9, null, v5, v7, vcc_lo
	global_load_dwordx4 v[4:7], v[8:9], off
	v_fma_f64 v[10:11], s[12:13], v[50:51], -v[10:11]
	v_fma_f64 v[31:32], s[14:15], v[50:51], v[31:32]
	s_waitcnt vmcnt(0)
	v_add_f64 v[4:5], v[4:5], v[10:11]
	v_add_f64 v[6:7], v[31:32], v[6:7]
	global_store_dwordx4 v[8:9], v[4:7], off
	s_branch .LBB116_3
.LBB116_64:
	s_endpgm
	.section	.rodata,"a",@progbits
	.p2align	6, 0x0
	.amdhsa_kernel _ZL30rocblas_trmm_outofplace_kernelI19rocblas_complex_numIdELi32ELi2ELb1ELb0ELb1ELb1EPKS1_S2_S1_Ev17rocblas_diagonal_iiT6_lPT7_lllS7_lllPT8_llli
		.amdhsa_group_segment_fixed_size 32768
		.amdhsa_private_segment_fixed_size 0
		.amdhsa_kernarg_size 392
		.amdhsa_user_sgpr_count 6
		.amdhsa_user_sgpr_private_segment_buffer 1
		.amdhsa_user_sgpr_dispatch_ptr 0
		.amdhsa_user_sgpr_queue_ptr 0
		.amdhsa_user_sgpr_kernarg_segment_ptr 1
		.amdhsa_user_sgpr_dispatch_id 0
		.amdhsa_user_sgpr_flat_scratch_init 0
		.amdhsa_user_sgpr_private_segment_size 0
		.amdhsa_wavefront_size32 1
		.amdhsa_uses_dynamic_stack 0
		.amdhsa_system_sgpr_private_segment_wavefront_offset 0
		.amdhsa_system_sgpr_workgroup_id_x 1
		.amdhsa_system_sgpr_workgroup_id_y 1
		.amdhsa_system_sgpr_workgroup_id_z 1
		.amdhsa_system_sgpr_workgroup_info 0
		.amdhsa_system_vgpr_workitem_id 1
		.amdhsa_next_free_vgpr 82
		.amdhsa_next_free_sgpr 50
		.amdhsa_reserve_vcc 1
		.amdhsa_reserve_flat_scratch 0
		.amdhsa_float_round_mode_32 0
		.amdhsa_float_round_mode_16_64 0
		.amdhsa_float_denorm_mode_32 3
		.amdhsa_float_denorm_mode_16_64 3
		.amdhsa_dx10_clamp 1
		.amdhsa_ieee_mode 1
		.amdhsa_fp16_overflow 0
		.amdhsa_workgroup_processor_mode 1
		.amdhsa_memory_ordered 1
		.amdhsa_forward_progress 1
		.amdhsa_shared_vgpr_count 0
		.amdhsa_exception_fp_ieee_invalid_op 0
		.amdhsa_exception_fp_denorm_src 0
		.amdhsa_exception_fp_ieee_div_zero 0
		.amdhsa_exception_fp_ieee_overflow 0
		.amdhsa_exception_fp_ieee_underflow 0
		.amdhsa_exception_fp_ieee_inexact 0
		.amdhsa_exception_int_div_zero 0
	.end_amdhsa_kernel
	.section	.text._ZL30rocblas_trmm_outofplace_kernelI19rocblas_complex_numIdELi32ELi2ELb1ELb0ELb1ELb1EPKS1_S2_S1_Ev17rocblas_diagonal_iiT6_lPT7_lllS7_lllPT8_llli,"axG",@progbits,_ZL30rocblas_trmm_outofplace_kernelI19rocblas_complex_numIdELi32ELi2ELb1ELb0ELb1ELb1EPKS1_S2_S1_Ev17rocblas_diagonal_iiT6_lPT7_lllS7_lllPT8_llli,comdat
.Lfunc_end116:
	.size	_ZL30rocblas_trmm_outofplace_kernelI19rocblas_complex_numIdELi32ELi2ELb1ELb0ELb1ELb1EPKS1_S2_S1_Ev17rocblas_diagonal_iiT6_lPT7_lllS7_lllPT8_llli, .Lfunc_end116-_ZL30rocblas_trmm_outofplace_kernelI19rocblas_complex_numIdELi32ELi2ELb1ELb0ELb1ELb1EPKS1_S2_S1_Ev17rocblas_diagonal_iiT6_lPT7_lllS7_lllPT8_llli
                                        ; -- End function
	.set _ZL30rocblas_trmm_outofplace_kernelI19rocblas_complex_numIdELi32ELi2ELb1ELb0ELb1ELb1EPKS1_S2_S1_Ev17rocblas_diagonal_iiT6_lPT7_lllS7_lllPT8_llli.num_vgpr, 82
	.set _ZL30rocblas_trmm_outofplace_kernelI19rocblas_complex_numIdELi32ELi2ELb1ELb0ELb1ELb1EPKS1_S2_S1_Ev17rocblas_diagonal_iiT6_lPT7_lllS7_lllPT8_llli.num_agpr, 0
	.set _ZL30rocblas_trmm_outofplace_kernelI19rocblas_complex_numIdELi32ELi2ELb1ELb0ELb1ELb1EPKS1_S2_S1_Ev17rocblas_diagonal_iiT6_lPT7_lllS7_lllPT8_llli.numbered_sgpr, 50
	.set _ZL30rocblas_trmm_outofplace_kernelI19rocblas_complex_numIdELi32ELi2ELb1ELb0ELb1ELb1EPKS1_S2_S1_Ev17rocblas_diagonal_iiT6_lPT7_lllS7_lllPT8_llli.num_named_barrier, 0
	.set _ZL30rocblas_trmm_outofplace_kernelI19rocblas_complex_numIdELi32ELi2ELb1ELb0ELb1ELb1EPKS1_S2_S1_Ev17rocblas_diagonal_iiT6_lPT7_lllS7_lllPT8_llli.private_seg_size, 0
	.set _ZL30rocblas_trmm_outofplace_kernelI19rocblas_complex_numIdELi32ELi2ELb1ELb0ELb1ELb1EPKS1_S2_S1_Ev17rocblas_diagonal_iiT6_lPT7_lllS7_lllPT8_llli.uses_vcc, 1
	.set _ZL30rocblas_trmm_outofplace_kernelI19rocblas_complex_numIdELi32ELi2ELb1ELb0ELb1ELb1EPKS1_S2_S1_Ev17rocblas_diagonal_iiT6_lPT7_lllS7_lllPT8_llli.uses_flat_scratch, 0
	.set _ZL30rocblas_trmm_outofplace_kernelI19rocblas_complex_numIdELi32ELi2ELb1ELb0ELb1ELb1EPKS1_S2_S1_Ev17rocblas_diagonal_iiT6_lPT7_lllS7_lllPT8_llli.has_dyn_sized_stack, 0
	.set _ZL30rocblas_trmm_outofplace_kernelI19rocblas_complex_numIdELi32ELi2ELb1ELb0ELb1ELb1EPKS1_S2_S1_Ev17rocblas_diagonal_iiT6_lPT7_lllS7_lllPT8_llli.has_recursion, 0
	.set _ZL30rocblas_trmm_outofplace_kernelI19rocblas_complex_numIdELi32ELi2ELb1ELb0ELb1ELb1EPKS1_S2_S1_Ev17rocblas_diagonal_iiT6_lPT7_lllS7_lllPT8_llli.has_indirect_call, 0
	.section	.AMDGPU.csdata,"",@progbits
; Kernel info:
; codeLenInByte = 10240
; TotalNumSgprs: 52
; NumVgprs: 82
; ScratchSize: 0
; MemoryBound: 0
; FloatMode: 240
; IeeeMode: 1
; LDSByteSize: 32768 bytes/workgroup (compile time only)
; SGPRBlocks: 0
; VGPRBlocks: 10
; NumSGPRsForWavesPerEU: 52
; NumVGPRsForWavesPerEU: 82
; Occupancy: 10
; WaveLimiterHint : 0
; COMPUTE_PGM_RSRC2:SCRATCH_EN: 0
; COMPUTE_PGM_RSRC2:USER_SGPR: 6
; COMPUTE_PGM_RSRC2:TRAP_HANDLER: 0
; COMPUTE_PGM_RSRC2:TGID_X_EN: 1
; COMPUTE_PGM_RSRC2:TGID_Y_EN: 1
; COMPUTE_PGM_RSRC2:TGID_Z_EN: 1
; COMPUTE_PGM_RSRC2:TIDIG_COMP_CNT: 1
	.section	.text._ZL30rocblas_trmm_outofplace_kernelI19rocblas_complex_numIdELi32ELi2ELb1ELb0ELb1ELb1ES1_KS1_S1_Ev17rocblas_diagonal_iiT6_lPT7_lllS6_lllPT8_llli,"axG",@progbits,_ZL30rocblas_trmm_outofplace_kernelI19rocblas_complex_numIdELi32ELi2ELb1ELb0ELb1ELb1ES1_KS1_S1_Ev17rocblas_diagonal_iiT6_lPT7_lllS6_lllPT8_llli,comdat
	.globl	_ZL30rocblas_trmm_outofplace_kernelI19rocblas_complex_numIdELi32ELi2ELb1ELb0ELb1ELb1ES1_KS1_S1_Ev17rocblas_diagonal_iiT6_lPT7_lllS6_lllPT8_llli ; -- Begin function _ZL30rocblas_trmm_outofplace_kernelI19rocblas_complex_numIdELi32ELi2ELb1ELb0ELb1ELb1ES1_KS1_S1_Ev17rocblas_diagonal_iiT6_lPT7_lllS6_lllPT8_llli
	.p2align	8
	.type	_ZL30rocblas_trmm_outofplace_kernelI19rocblas_complex_numIdELi32ELi2ELb1ELb0ELb1ELb1ES1_KS1_S1_Ev17rocblas_diagonal_iiT6_lPT7_lllS6_lllPT8_llli,@function
_ZL30rocblas_trmm_outofplace_kernelI19rocblas_complex_numIdELi32ELi2ELb1ELb0ELb1ELb1ES1_KS1_S1_Ev17rocblas_diagonal_iiT6_lPT7_lllS6_lllPT8_llli: ; @_ZL30rocblas_trmm_outofplace_kernelI19rocblas_complex_numIdELi32ELi2ELb1ELb0ELb1ELb1ES1_KS1_S1_Ev17rocblas_diagonal_iiT6_lPT7_lllS6_lllPT8_llli
; %bb.0:
	s_load_dwordx4 s[28:31], s[4:5], 0x10
	s_waitcnt lgkmcnt(0)
	v_cmp_eq_f64_e64 s0, s[28:29], 0
	v_cmp_eq_f64_e64 s1, s[30:31], 0
	s_and_b32 s0, s0, s1
	s_and_b32 vcc_lo, exec_lo, s0
	s_cbranch_vccnz .LBB117_64
; %bb.1:
	s_load_dwordx4 s[44:47], s[4:5], 0x0
	s_waitcnt lgkmcnt(0)
	s_add_i32 s0, s46, -1
	s_ashr_i32 s1, s0, 31
	s_lshr_b32 s1, s1, 27
	s_add_i32 s0, s0, s1
	s_ashr_i32 s33, s0, 5
	s_cmp_gt_i32 s7, s33
	s_cbranch_scc1 .LBB117_64
; %bb.2:
	s_clause 0x2
	s_load_dwordx16 s[12:27], s[4:5], 0x28
	s_load_dwordx8 s[36:43], s[4:5], 0x68
	s_load_dword s34, s[4:5], 0x94
	v_lshlrev_b32_e32 v2, 9, v1
	v_lshlrev_b32_e32 v52, 4, v0
	s_mov_b32 s10, s45
	v_lshl_add_u32 v30, s7, 5, v1
	v_add_nc_u32_e32 v53, 0x4000, v2
	v_add_nc_u32_e32 v55, v52, v2
	;; [unrolled: 1-line block ×5, first 2 shown]
	s_waitcnt lgkmcnt(0)
	s_mul_i32 s1, s19, s8
	s_mul_hi_u32 s2, s18, s8
	s_mul_i32 s0, s18, s8
	s_add_i32 s1, s2, s1
	s_mul_i32 s2, s43, s8
	s_lshl_b64 s[4:5], s[0:1], 4
	s_mul_hi_u32 s1, s42, s8
	s_add_u32 s3, s12, s4
	s_addc_u32 s9, s13, s5
	s_lshl_b64 s[48:49], s[14:15], 4
	s_mul_i32 s0, s42, s8
	s_add_u32 s3, s3, s48
	s_addc_u32 s18, s9, s49
	s_add_i32 s1, s1, s2
	s_mul_i32 s19, s27, s8
	s_lshl_b64 s[0:1], s[0:1], 4
	v_add_nc_u32_e32 v58, 0x2100, v54
	s_add_u32 s2, s36, s0
	s_addc_u32 s9, s37, s1
	s_lshl_b64 s[0:1], s[38:39], 4
	s_add_u32 s27, s2, s0
	s_addc_u32 s35, s9, s1
	s_lshl_b32 s0, s6, 5
	s_mul_hi_u32 s2, s26, s8
	v_add_nc_u32_e32 v12, s0, v0
	v_add_nc_u32_e32 v14, s0, v1
	s_sub_i32 s36, s45, s0
	s_mul_i32 s8, s26, s8
	s_cmp_gt_i32 s36, 0
	v_ashrrev_i32_e32 v13, 31, v12
	v_mul_lo_u32 v0, s17, v12
	v_mad_u64_u32 v[2:3], null, s16, v12, 0
	v_ashrrev_i32_e32 v15, 31, v14
	v_mul_lo_u32 v4, s16, v13
	v_add_co_u32 v18, vcc_lo, v12, 16
	v_add_co_ci_u32_e64 v19, null, 0, v13, vcc_lo
	s_cselect_b32 s26, -1, 0
	s_cmpk_eq_i32 s44, 0x84
	v_lshlrev_b64 v[24:25], 4, v[12:13]
	v_add3_u32 v3, v3, v4, v0
	v_lshlrev_b64 v[4:5], 4, v[14:15]
	s_cselect_b32 s37, -1, 0
	s_ashr_i32 s11, s45, 31
	s_ashr_i32 s38, s46, 31
	v_lshlrev_b64 v[2:3], 4, v[2:3]
	s_add_u32 s14, s45, -16
	s_addc_u32 s15, s11, -1
	s_add_i32 s9, s2, s19
	v_add_nc_u32_e32 v16, 16, v12
	s_lshl_b64 s[8:9], s[8:9], 4
	v_add_co_u32 v0, vcc_lo, s3, v2
	v_add_co_ci_u32_e64 v2, null, s18, v3, vcc_lo
	s_lshl_b64 s[18:19], s[22:23], 4
	v_add_co_u32 v0, vcc_lo, v0, v4
	v_add_co_ci_u32_e64 v59, null, v2, v5, vcc_lo
	v_sub_co_u32 v20, vcc_lo, v12, v14
	v_sub_co_ci_u32_e64 v21, null, v13, v15, vcc_lo
	s_add_u32 s6, s8, s18
	v_add_co_u32 v22, vcc_lo, v20, 16
	v_add_co_ci_u32_e64 v23, null, 0, v21, vcc_lo
	v_add_co_u32 v6, vcc_lo, 0x100, v24
	s_addc_u32 s8, s9, s19
	s_add_u32 s6, s20, s6
	v_add_co_ci_u32_e64 v7, null, 0, v25, vcc_lo
	s_addc_u32 s8, s21, s8
	s_lshl_b64 s[18:19], s[24:25], 4
	s_lshl_b32 s20, s34, 5
	s_add_u32 s4, s48, s4
	s_addc_u32 s5, s49, s5
	v_mul_lo_u32 v7, s16, v7
	v_mad_u64_u32 v[2:3], null, s16, v6, s[4:5]
	v_mul_lo_u32 v6, s17, v6
	v_add_co_u32 v26, vcc_lo, v20, -16
	v_add_co_ci_u32_e64 v27, null, -1, v21, vcc_lo
	v_add_co_u32 v8, vcc_lo, s6, v24
	v_add_co_ci_u32_e64 v9, null, s8, v25, vcc_lo
	v_add3_u32 v3, v6, v3, v7
	v_add_co_u32 v28, vcc_lo, 0x100, v8
	v_add_co_ci_u32_e64 v29, null, 0, v9, vcc_lo
	v_add_co_u32 v2, vcc_lo, v2, v4
	v_add_co_ci_u32_e64 v3, null, v3, v5, vcc_lo
	v_cmp_le_i64_e64 s3, s[10:11], v[18:19]
	v_add_co_u32 v60, vcc_lo, s12, v2
	v_cmp_le_i32_e64 s0, s45, v12
	v_cmp_gt_i32_e64 s1, s45, v12
	v_cmp_gt_i32_e64 s2, s45, v16
	v_ashrrev_i32_e32 v17, 31, v16
	v_add_co_ci_u32_e64 v61, null, s13, v3, vcc_lo
	v_mov_b32_e32 v2, 0
	v_mov_b32_e32 v3, 0x3ff00000
	s_branch .LBB117_4
.LBB117_3:                              ;   in Loop: Header=BB117_4 Depth=1
	s_or_b32 exec_lo, exec_lo, s4
	v_add_nc_u32_e32 v30, s20, v30
	s_add_i32 s7, s34, s7
	s_cmp_le_i32 s7, s33
	s_cbranch_scc0 .LBB117_64
.LBB117_4:                              ; =>This Loop Header: Depth=1
                                        ;     Child Loop BB117_7 Depth 2
	v_lshl_add_u32 v62, s7, 5, v1
	s_andn2_b32 vcc_lo, exec_lo, s26
	v_ashrrev_i32_e32 v63, 31, v62
	s_cbranch_vccnz .LBB117_55
; %bb.5:                                ;   in Loop: Header=BB117_4 Depth=1
	v_ashrrev_i32_e32 v31, 31, v30
	v_mad_u64_u32 v[32:33], null, s18, v30, v[28:29]
	v_mul_lo_u32 v6, s19, v30
	v_mov_b32_e32 v48, 0
	v_lshlrev_b64 v[4:5], 4, v[30:31]
	v_mul_lo_u32 v7, s18, v31
	v_mov_b32_e32 v50, 0
	v_mov_b32_e32 v46, 0
	;; [unrolled: 1-line block ×4, first 2 shown]
	v_add_co_u32 v8, vcc_lo, 0x100, v4
	v_add_co_ci_u32_e64 v9, null, 0, v5, vcc_lo
	v_sub_co_u32 v4, vcc_lo, s46, v62
	v_add3_u32 v33, v6, v33, v7
	v_mul_lo_u32 v6, s24, v9
	v_mul_lo_u32 v7, s25, v8
	v_mad_u64_u32 v[34:35], null, s24, v8, v[28:29]
	v_sub_co_ci_u32_e64 v5, null, s38, v63, vcc_lo
	v_mov_b32_e32 v36, 0
	v_mov_b32_e32 v42, 0
	;; [unrolled: 1-line block ×3, first 2 shown]
	v_cmp_lt_i64_e64 s4, 16, v[4:5]
	v_mov_b32_e32 v49, 0
	v_mov_b32_e32 v51, 0
	;; [unrolled: 1-line block ×8, first 2 shown]
	v_add3_u32 v35, v7, v35, v6
	s_mov_b64 s[12:13], 0
	s_mov_b64 s[16:17], 0
	v_cmp_lt_i64_e32 vcc_lo, 0, v[4:5]
	s_branch .LBB117_7
.LBB117_6:                              ;   in Loop: Header=BB117_7 Depth=2
	s_or_b32 exec_lo, exec_lo, s5
	s_waitcnt lgkmcnt(0)
	s_barrier
	buffer_gl0_inv
	ds_read_b128 v[64:67], v53
	ds_read_b128 v[68:71], v53 offset:16
	ds_read_b128 v[8:11], v53 offset:32
	;; [unrolled: 1-line block ×3, first 2 shown]
	ds_read_b128 v[72:75], v52
	s_add_u32 s16, s16, 32
	s_addc_u32 s17, s17, 0
	s_add_u32 s12, s12, 0x200
	s_addc_u32 s13, s13, 0
	s_cmp_ge_i32 s16, s36
	s_waitcnt lgkmcnt(0)
	v_mul_f64 v[76:77], v[66:67], v[74:75]
	v_mul_f64 v[78:79], v[64:65], v[74:75]
	v_fma_f64 v[76:77], v[64:65], v[72:73], -v[76:77]
	v_fma_f64 v[78:79], v[66:67], v[72:73], v[78:79]
	v_add_f64 v[76:77], v[40:41], v[76:77]
	v_add_f64 v[78:79], v[78:79], v[42:43]
	ds_read_b128 v[40:43], v52 offset:256
	s_waitcnt lgkmcnt(0)
	v_mul_f64 v[80:81], v[66:67], v[42:43]
	v_fma_f64 v[80:81], v[64:65], v[40:41], -v[80:81]
	v_mul_f64 v[64:65], v[64:65], v[42:43]
	v_fma_f64 v[64:65], v[66:67], v[40:41], v[64:65]
	v_add_f64 v[66:67], v[36:37], v[80:81]
	v_add_f64 v[64:65], v[64:65], v[38:39]
	ds_read_b128 v[36:39], v53 offset:8192
	s_waitcnt lgkmcnt(0)
	v_mul_f64 v[80:81], v[38:39], v[74:75]
	v_mul_f64 v[74:75], v[36:37], v[74:75]
	v_fma_f64 v[80:81], v[36:37], v[72:73], -v[80:81]
	v_fma_f64 v[72:73], v[38:39], v[72:73], v[74:75]
	v_add_f64 v[74:75], v[44:45], v[80:81]
	v_mul_f64 v[44:45], v[38:39], v[42:43]
	v_add_f64 v[72:73], v[72:73], v[46:47]
	v_fma_f64 v[44:45], v[36:37], v[40:41], -v[44:45]
	v_mul_f64 v[36:37], v[36:37], v[42:43]
	v_add_f64 v[50:51], v[50:51], v[44:45]
	v_fma_f64 v[36:37], v[38:39], v[40:41], v[36:37]
	v_add_f64 v[48:49], v[36:37], v[48:49]
	ds_read_b128 v[36:39], v52 offset:512
	s_waitcnt lgkmcnt(0)
	v_mul_f64 v[40:41], v[70:71], v[38:39]
	v_mul_f64 v[42:43], v[68:69], v[38:39]
	v_fma_f64 v[40:41], v[68:69], v[36:37], -v[40:41]
	v_fma_f64 v[42:43], v[70:71], v[36:37], v[42:43]
	v_add_f64 v[76:77], v[76:77], v[40:41]
	v_add_f64 v[78:79], v[42:43], v[78:79]
	ds_read_b128 v[40:43], v52 offset:768
	s_waitcnt lgkmcnt(0)
	v_mul_f64 v[44:45], v[70:71], v[42:43]
	v_mul_f64 v[46:47], v[68:69], v[42:43]
	v_fma_f64 v[44:45], v[68:69], v[40:41], -v[44:45]
	v_fma_f64 v[46:47], v[70:71], v[40:41], v[46:47]
	v_add_f64 v[66:67], v[66:67], v[44:45]
	v_add_f64 v[64:65], v[46:47], v[64:65]
	ds_read_b128 v[44:47], v53 offset:8208
	s_waitcnt lgkmcnt(0)
	v_mul_f64 v[68:69], v[46:47], v[38:39]
	v_mul_f64 v[38:39], v[44:45], v[38:39]
	v_fma_f64 v[68:69], v[44:45], v[36:37], -v[68:69]
	v_fma_f64 v[36:37], v[46:47], v[36:37], v[38:39]
	v_mul_f64 v[38:39], v[44:45], v[42:43]
	v_add_f64 v[68:69], v[74:75], v[68:69]
	v_add_f64 v[70:71], v[36:37], v[72:73]
	v_mul_f64 v[36:37], v[46:47], v[42:43]
	v_fma_f64 v[38:39], v[46:47], v[40:41], v[38:39]
	v_fma_f64 v[36:37], v[44:45], v[40:41], -v[36:37]
	v_add_f64 v[46:47], v[38:39], v[48:49]
	v_add_f64 v[44:45], v[50:51], v[36:37]
	ds_read_b128 v[36:39], v52 offset:1024
	s_waitcnt lgkmcnt(0)
	v_mul_f64 v[40:41], v[10:11], v[38:39]
	v_mul_f64 v[42:43], v[8:9], v[38:39]
	v_fma_f64 v[40:41], v[8:9], v[36:37], -v[40:41]
	v_fma_f64 v[42:43], v[10:11], v[36:37], v[42:43]
	v_add_f64 v[48:49], v[76:77], v[40:41]
	v_add_f64 v[50:51], v[42:43], v[78:79]
	ds_read_b128 v[40:43], v52 offset:1280
	s_waitcnt lgkmcnt(0)
	v_mul_f64 v[72:73], v[10:11], v[42:43]
	v_fma_f64 v[72:73], v[8:9], v[40:41], -v[72:73]
	v_mul_f64 v[8:9], v[8:9], v[42:43]
	v_add_f64 v[66:67], v[66:67], v[72:73]
	v_fma_f64 v[8:9], v[10:11], v[40:41], v[8:9]
	v_add_f64 v[64:65], v[8:9], v[64:65]
	ds_read_b128 v[8:11], v53 offset:8224
	s_waitcnt lgkmcnt(0)
	v_mul_f64 v[72:73], v[10:11], v[38:39]
	v_mul_f64 v[38:39], v[8:9], v[38:39]
	v_fma_f64 v[72:73], v[8:9], v[36:37], -v[72:73]
	v_fma_f64 v[36:37], v[10:11], v[36:37], v[38:39]
	v_add_f64 v[68:69], v[68:69], v[72:73]
	v_add_f64 v[70:71], v[36:37], v[70:71]
	v_mul_f64 v[36:37], v[10:11], v[42:43]
	v_fma_f64 v[36:37], v[8:9], v[40:41], -v[36:37]
	v_mul_f64 v[8:9], v[8:9], v[42:43]
	v_fma_f64 v[8:9], v[10:11], v[40:41], v[8:9]
	v_add_f64 v[40:41], v[44:45], v[36:37]
	v_add_f64 v[42:43], v[8:9], v[46:47]
	ds_read_b128 v[8:11], v52 offset:1536
	s_waitcnt lgkmcnt(0)
	v_mul_f64 v[36:37], v[6:7], v[10:11]
	v_mul_f64 v[38:39], v[4:5], v[10:11]
	v_fma_f64 v[36:37], v[4:5], v[8:9], -v[36:37]
	v_fma_f64 v[38:39], v[6:7], v[8:9], v[38:39]
	v_add_f64 v[44:45], v[48:49], v[36:37]
	v_add_f64 v[46:47], v[38:39], v[50:51]
	ds_read_b128 v[36:39], v52 offset:1792
	s_waitcnt lgkmcnt(0)
	v_mul_f64 v[48:49], v[6:7], v[38:39]
	v_fma_f64 v[48:49], v[4:5], v[36:37], -v[48:49]
	v_mul_f64 v[4:5], v[4:5], v[38:39]
	v_add_f64 v[48:49], v[66:67], v[48:49]
	v_fma_f64 v[4:5], v[6:7], v[36:37], v[4:5]
	v_add_f64 v[50:51], v[4:5], v[64:65]
	ds_read_b128 v[4:7], v53 offset:8240
	s_waitcnt lgkmcnt(0)
	v_mul_f64 v[64:65], v[6:7], v[10:11]
	v_mul_f64 v[10:11], v[4:5], v[10:11]
	v_fma_f64 v[64:65], v[4:5], v[8:9], -v[64:65]
	v_fma_f64 v[8:9], v[6:7], v[8:9], v[10:11]
	v_add_f64 v[64:65], v[68:69], v[64:65]
	v_add_f64 v[66:67], v[8:9], v[70:71]
	v_mul_f64 v[8:9], v[6:7], v[38:39]
	v_fma_f64 v[8:9], v[4:5], v[36:37], -v[8:9]
	v_mul_f64 v[4:5], v[4:5], v[38:39]
	v_add_f64 v[40:41], v[40:41], v[8:9]
	v_fma_f64 v[4:5], v[6:7], v[36:37], v[4:5]
	v_add_f64 v[42:43], v[4:5], v[42:43]
	ds_read_b128 v[4:7], v53 offset:64
	ds_read_b128 v[8:11], v52 offset:2048
	s_waitcnt lgkmcnt(0)
	v_mul_f64 v[36:37], v[6:7], v[10:11]
	v_mul_f64 v[38:39], v[4:5], v[10:11]
	v_fma_f64 v[36:37], v[4:5], v[8:9], -v[36:37]
	v_fma_f64 v[38:39], v[6:7], v[8:9], v[38:39]
	v_add_f64 v[44:45], v[44:45], v[36:37]
	v_add_f64 v[46:47], v[38:39], v[46:47]
	ds_read_b128 v[36:39], v52 offset:2304
	s_waitcnt lgkmcnt(0)
	v_mul_f64 v[68:69], v[6:7], v[38:39]
	v_fma_f64 v[68:69], v[4:5], v[36:37], -v[68:69]
	v_mul_f64 v[4:5], v[4:5], v[38:39]
	v_add_f64 v[48:49], v[48:49], v[68:69]
	v_fma_f64 v[4:5], v[6:7], v[36:37], v[4:5]
	v_add_f64 v[50:51], v[4:5], v[50:51]
	ds_read_b128 v[4:7], v53 offset:8256
	s_waitcnt lgkmcnt(0)
	v_mul_f64 v[68:69], v[6:7], v[10:11]
	v_mul_f64 v[10:11], v[4:5], v[10:11]
	v_fma_f64 v[68:69], v[4:5], v[8:9], -v[68:69]
	v_fma_f64 v[8:9], v[6:7], v[8:9], v[10:11]
	v_add_f64 v[64:65], v[64:65], v[68:69]
	v_add_f64 v[66:67], v[8:9], v[66:67]
	v_mul_f64 v[8:9], v[6:7], v[38:39]
	v_fma_f64 v[8:9], v[4:5], v[36:37], -v[8:9]
	v_mul_f64 v[4:5], v[4:5], v[38:39]
	v_add_f64 v[68:69], v[40:41], v[8:9]
	v_fma_f64 v[4:5], v[6:7], v[36:37], v[4:5]
	v_add_f64 v[70:71], v[4:5], v[42:43]
	ds_read_b128 v[4:7], v53 offset:80
	ds_read_b128 v[8:11], v52 offset:2560
	s_waitcnt lgkmcnt(0)
	v_mul_f64 v[36:37], v[6:7], v[10:11]
	v_mul_f64 v[38:39], v[4:5], v[10:11]
	v_fma_f64 v[36:37], v[4:5], v[8:9], -v[36:37]
	v_fma_f64 v[38:39], v[6:7], v[8:9], v[38:39]
	v_add_f64 v[44:45], v[44:45], v[36:37]
	v_add_f64 v[46:47], v[38:39], v[46:47]
	ds_read_b128 v[36:39], v52 offset:2816
	s_waitcnt lgkmcnt(0)
	v_mul_f64 v[40:41], v[6:7], v[38:39]
	v_fma_f64 v[40:41], v[4:5], v[36:37], -v[40:41]
	v_mul_f64 v[4:5], v[4:5], v[38:39]
	v_fma_f64 v[6:7], v[6:7], v[36:37], v[4:5]
	v_add_f64 v[4:5], v[48:49], v[40:41]
	ds_read_b128 v[40:43], v53 offset:8272
	s_waitcnt lgkmcnt(0)
	v_mul_f64 v[48:49], v[42:43], v[10:11]
	v_mul_f64 v[10:11], v[40:41], v[10:11]
	v_add_f64 v[6:7], v[6:7], v[50:51]
	v_fma_f64 v[48:49], v[40:41], v[8:9], -v[48:49]
	v_fma_f64 v[8:9], v[42:43], v[8:9], v[10:11]
	v_mul_f64 v[10:11], v[40:41], v[38:39]
	v_add_f64 v[48:49], v[64:65], v[48:49]
	v_add_f64 v[50:51], v[8:9], v[66:67]
	v_mul_f64 v[8:9], v[42:43], v[38:39]
	v_fma_f64 v[10:11], v[42:43], v[36:37], v[10:11]
	v_fma_f64 v[8:9], v[40:41], v[36:37], -v[8:9]
	v_add_f64 v[66:67], v[10:11], v[70:71]
	v_add_f64 v[64:65], v[68:69], v[8:9]
	ds_read_b128 v[8:11], v53 offset:96
	ds_read_b128 v[36:39], v52 offset:3072
	s_waitcnt lgkmcnt(0)
	v_mul_f64 v[40:41], v[10:11], v[38:39]
	v_mul_f64 v[42:43], v[8:9], v[38:39]
	v_fma_f64 v[40:41], v[8:9], v[36:37], -v[40:41]
	v_fma_f64 v[42:43], v[10:11], v[36:37], v[42:43]
	v_add_f64 v[44:45], v[44:45], v[40:41]
	v_add_f64 v[46:47], v[42:43], v[46:47]
	ds_read_b128 v[40:43], v52 offset:3328
	s_waitcnt lgkmcnt(0)
	v_mul_f64 v[68:69], v[10:11], v[42:43]
	v_fma_f64 v[68:69], v[8:9], v[40:41], -v[68:69]
	v_mul_f64 v[8:9], v[8:9], v[42:43]
	v_add_f64 v[68:69], v[4:5], v[68:69]
	v_fma_f64 v[8:9], v[10:11], v[40:41], v[8:9]
	v_add_f64 v[70:71], v[8:9], v[6:7]
	ds_read_b128 v[4:7], v53 offset:8288
	s_waitcnt lgkmcnt(0)
	v_mul_f64 v[8:9], v[6:7], v[38:39]
	v_mul_f64 v[10:11], v[4:5], v[38:39]
	v_fma_f64 v[8:9], v[4:5], v[36:37], -v[8:9]
	v_fma_f64 v[10:11], v[6:7], v[36:37], v[10:11]
	v_add_f64 v[48:49], v[48:49], v[8:9]
	v_mul_f64 v[8:9], v[6:7], v[42:43]
	v_add_f64 v[50:51], v[10:11], v[50:51]
	v_fma_f64 v[8:9], v[4:5], v[40:41], -v[8:9]
	v_mul_f64 v[4:5], v[4:5], v[42:43]
	v_fma_f64 v[4:5], v[6:7], v[40:41], v[4:5]
	v_add_f64 v[40:41], v[64:65], v[8:9]
	v_add_f64 v[42:43], v[4:5], v[66:67]
	ds_read_b128 v[4:7], v53 offset:112
	ds_read_b128 v[8:11], v52 offset:3584
	s_waitcnt lgkmcnt(0)
	v_mul_f64 v[36:37], v[6:7], v[10:11]
	v_mul_f64 v[38:39], v[4:5], v[10:11]
	v_fma_f64 v[36:37], v[4:5], v[8:9], -v[36:37]
	v_fma_f64 v[38:39], v[6:7], v[8:9], v[38:39]
	v_add_f64 v[44:45], v[44:45], v[36:37]
	v_add_f64 v[46:47], v[38:39], v[46:47]
	ds_read_b128 v[36:39], v52 offset:3840
	s_waitcnt lgkmcnt(0)
	v_mul_f64 v[64:65], v[6:7], v[38:39]
	v_fma_f64 v[64:65], v[4:5], v[36:37], -v[64:65]
	v_mul_f64 v[4:5], v[4:5], v[38:39]
	v_add_f64 v[64:65], v[68:69], v[64:65]
	v_fma_f64 v[4:5], v[6:7], v[36:37], v[4:5]
	v_add_f64 v[66:67], v[4:5], v[70:71]
	ds_read_b128 v[4:7], v53 offset:8304
	s_waitcnt lgkmcnt(0)
	v_mul_f64 v[68:69], v[6:7], v[10:11]
	v_mul_f64 v[10:11], v[4:5], v[10:11]
	v_fma_f64 v[68:69], v[4:5], v[8:9], -v[68:69]
	v_fma_f64 v[8:9], v[6:7], v[8:9], v[10:11]
	v_add_f64 v[48:49], v[48:49], v[68:69]
	v_add_f64 v[50:51], v[8:9], v[50:51]
	v_mul_f64 v[8:9], v[6:7], v[38:39]
	v_fma_f64 v[8:9], v[4:5], v[36:37], -v[8:9]
	v_mul_f64 v[4:5], v[4:5], v[38:39]
	v_add_f64 v[40:41], v[40:41], v[8:9]
	v_fma_f64 v[4:5], v[6:7], v[36:37], v[4:5]
	v_add_f64 v[42:43], v[4:5], v[42:43]
	ds_read_b128 v[4:7], v53 offset:128
	ds_read_b128 v[8:11], v52 offset:4096
	s_waitcnt lgkmcnt(0)
	v_mul_f64 v[36:37], v[6:7], v[10:11]
	v_mul_f64 v[38:39], v[4:5], v[10:11]
	v_fma_f64 v[36:37], v[4:5], v[8:9], -v[36:37]
	v_fma_f64 v[38:39], v[6:7], v[8:9], v[38:39]
	v_add_f64 v[44:45], v[44:45], v[36:37]
	v_add_f64 v[46:47], v[38:39], v[46:47]
	ds_read_b128 v[36:39], v52 offset:4352
	s_waitcnt lgkmcnt(0)
	v_mul_f64 v[68:69], v[6:7], v[38:39]
	v_fma_f64 v[68:69], v[4:5], v[36:37], -v[68:69]
	v_mul_f64 v[4:5], v[4:5], v[38:39]
	v_add_f64 v[64:65], v[64:65], v[68:69]
	v_fma_f64 v[4:5], v[6:7], v[36:37], v[4:5]
	v_add_f64 v[66:67], v[4:5], v[66:67]
	ds_read_b128 v[4:7], v53 offset:8320
	s_waitcnt lgkmcnt(0)
	v_mul_f64 v[68:69], v[6:7], v[10:11]
	v_mul_f64 v[10:11], v[4:5], v[10:11]
	v_fma_f64 v[68:69], v[4:5], v[8:9], -v[68:69]
	v_fma_f64 v[8:9], v[6:7], v[8:9], v[10:11]
	v_add_f64 v[48:49], v[48:49], v[68:69]
	v_add_f64 v[50:51], v[8:9], v[50:51]
	v_mul_f64 v[8:9], v[6:7], v[38:39]
	v_fma_f64 v[8:9], v[4:5], v[36:37], -v[8:9]
	v_mul_f64 v[4:5], v[4:5], v[38:39]
	v_add_f64 v[40:41], v[40:41], v[8:9]
	v_fma_f64 v[4:5], v[6:7], v[36:37], v[4:5]
	;; [unrolled: 31-line block ×21, first 2 shown]
	v_add_f64 v[42:43], v[4:5], v[42:43]
	ds_read_b128 v[4:7], v53 offset:448
	ds_read_b128 v[8:11], v52 offset:14336
	s_waitcnt lgkmcnt(0)
	v_mul_f64 v[36:37], v[6:7], v[10:11]
	v_mul_f64 v[38:39], v[4:5], v[10:11]
	v_fma_f64 v[36:37], v[4:5], v[8:9], -v[36:37]
	v_fma_f64 v[38:39], v[6:7], v[8:9], v[38:39]
	v_add_f64 v[44:45], v[44:45], v[36:37]
	v_add_f64 v[46:47], v[38:39], v[46:47]
	ds_read_b128 v[36:39], v52 offset:14592
	s_waitcnt lgkmcnt(0)
	v_mul_f64 v[68:69], v[6:7], v[38:39]
	v_fma_f64 v[68:69], v[4:5], v[36:37], -v[68:69]
	v_mul_f64 v[4:5], v[4:5], v[38:39]
	v_add_f64 v[64:65], v[64:65], v[68:69]
	v_fma_f64 v[4:5], v[6:7], v[36:37], v[4:5]
	v_add_f64 v[66:67], v[4:5], v[66:67]
	ds_read_b128 v[4:7], v53 offset:8640
	s_waitcnt lgkmcnt(0)
	v_mul_f64 v[68:69], v[6:7], v[10:11]
	v_mul_f64 v[10:11], v[4:5], v[10:11]
	v_fma_f64 v[68:69], v[4:5], v[8:9], -v[68:69]
	v_fma_f64 v[8:9], v[6:7], v[8:9], v[10:11]
	v_add_f64 v[48:49], v[48:49], v[68:69]
	v_add_f64 v[50:51], v[8:9], v[50:51]
	v_mul_f64 v[8:9], v[6:7], v[38:39]
	v_fma_f64 v[8:9], v[4:5], v[36:37], -v[8:9]
	v_mul_f64 v[4:5], v[4:5], v[38:39]
	v_fma_f64 v[6:7], v[6:7], v[36:37], v[4:5]
	v_add_f64 v[4:5], v[40:41], v[8:9]
	ds_read_b128 v[8:11], v53 offset:464
	ds_read_b128 v[36:39], v52 offset:14848
	v_add_f64 v[6:7], v[6:7], v[42:43]
	s_waitcnt lgkmcnt(0)
	v_mul_f64 v[40:41], v[10:11], v[38:39]
	v_mul_f64 v[42:43], v[8:9], v[38:39]
	v_fma_f64 v[40:41], v[8:9], v[36:37], -v[40:41]
	v_fma_f64 v[42:43], v[10:11], v[36:37], v[42:43]
	v_add_f64 v[44:45], v[44:45], v[40:41]
	v_add_f64 v[46:47], v[42:43], v[46:47]
	ds_read_b128 v[40:43], v52 offset:15104
	s_waitcnt lgkmcnt(0)
	v_mul_f64 v[68:69], v[10:11], v[42:43]
	v_fma_f64 v[68:69], v[8:9], v[40:41], -v[68:69]
	v_mul_f64 v[8:9], v[8:9], v[42:43]
	v_add_f64 v[64:65], v[64:65], v[68:69]
	v_fma_f64 v[8:9], v[10:11], v[40:41], v[8:9]
	v_add_f64 v[66:67], v[8:9], v[66:67]
	ds_read_b128 v[8:11], v53 offset:8656
	s_waitcnt lgkmcnt(0)
	v_mul_f64 v[68:69], v[10:11], v[38:39]
	v_mul_f64 v[38:39], v[8:9], v[38:39]
	v_fma_f64 v[68:69], v[8:9], v[36:37], -v[68:69]
	v_fma_f64 v[36:37], v[10:11], v[36:37], v[38:39]
	v_add_f64 v[48:49], v[48:49], v[68:69]
	v_add_f64 v[50:51], v[36:37], v[50:51]
	v_mul_f64 v[36:37], v[10:11], v[42:43]
	v_fma_f64 v[36:37], v[8:9], v[40:41], -v[36:37]
	v_mul_f64 v[8:9], v[8:9], v[42:43]
	v_fma_f64 v[8:9], v[10:11], v[40:41], v[8:9]
	v_add_f64 v[40:41], v[4:5], v[36:37]
	v_add_f64 v[42:43], v[8:9], v[6:7]
	ds_read_b128 v[4:7], v53 offset:480
	ds_read_b128 v[8:11], v52 offset:15360
	s_waitcnt lgkmcnt(0)
	v_mul_f64 v[36:37], v[6:7], v[10:11]
	v_mul_f64 v[38:39], v[4:5], v[10:11]
	v_fma_f64 v[36:37], v[4:5], v[8:9], -v[36:37]
	v_fma_f64 v[38:39], v[6:7], v[8:9], v[38:39]
	v_add_f64 v[68:69], v[44:45], v[36:37]
	v_add_f64 v[70:71], v[38:39], v[46:47]
	ds_read_b128 v[36:39], v52 offset:15616
	s_waitcnt lgkmcnt(0)
	v_mul_f64 v[44:45], v[6:7], v[38:39]
	v_fma_f64 v[44:45], v[4:5], v[36:37], -v[44:45]
	v_mul_f64 v[4:5], v[4:5], v[38:39]
	v_add_f64 v[64:65], v[64:65], v[44:45]
	v_fma_f64 v[4:5], v[6:7], v[36:37], v[4:5]
	v_add_f64 v[66:67], v[4:5], v[66:67]
	ds_read_b128 v[4:7], v53 offset:8672
	s_waitcnt lgkmcnt(0)
	v_mul_f64 v[44:45], v[6:7], v[10:11]
	v_mul_f64 v[10:11], v[4:5], v[10:11]
	v_fma_f64 v[44:45], v[4:5], v[8:9], -v[44:45]
	v_fma_f64 v[8:9], v[6:7], v[8:9], v[10:11]
	v_add_f64 v[72:73], v[48:49], v[44:45]
	v_add_f64 v[74:75], v[8:9], v[50:51]
	v_mul_f64 v[8:9], v[6:7], v[38:39]
	v_fma_f64 v[8:9], v[4:5], v[36:37], -v[8:9]
	v_mul_f64 v[4:5], v[4:5], v[38:39]
	v_fma_f64 v[6:7], v[6:7], v[36:37], v[4:5]
	v_add_f64 v[4:5], v[40:41], v[8:9]
	ds_read_b128 v[8:11], v53 offset:496
	ds_read_b128 v[44:47], v52 offset:15872
	;; [unrolled: 1-line block ×3, first 2 shown]
	s_waitcnt lgkmcnt(1)
	v_mul_f64 v[36:37], v[10:11], v[46:47]
	v_mul_f64 v[38:39], v[8:9], v[46:47]
	v_add_f64 v[6:7], v[6:7], v[42:43]
	v_fma_f64 v[36:37], v[8:9], v[44:45], -v[36:37]
	v_fma_f64 v[38:39], v[10:11], v[44:45], v[38:39]
	v_add_f64 v[40:41], v[68:69], v[36:37]
	s_waitcnt lgkmcnt(0)
	v_mul_f64 v[36:37], v[10:11], v[50:51]
	v_add_f64 v[42:43], v[38:39], v[70:71]
	v_fma_f64 v[36:37], v[8:9], v[48:49], -v[36:37]
	v_mul_f64 v[8:9], v[8:9], v[50:51]
	v_add_f64 v[36:37], v[64:65], v[36:37]
	v_fma_f64 v[8:9], v[10:11], v[48:49], v[8:9]
	v_add_f64 v[38:39], v[8:9], v[66:67]
	ds_read_b128 v[8:11], v53 offset:8688
	s_waitcnt lgkmcnt(0)
	s_barrier
	buffer_gl0_inv
	v_mul_f64 v[64:65], v[10:11], v[46:47]
	v_mul_f64 v[46:47], v[8:9], v[46:47]
	v_fma_f64 v[64:65], v[8:9], v[44:45], -v[64:65]
	v_fma_f64 v[46:47], v[10:11], v[44:45], v[46:47]
	v_add_f64 v[44:45], v[72:73], v[64:65]
	v_mul_f64 v[64:65], v[10:11], v[50:51]
	v_add_f64 v[46:47], v[46:47], v[74:75]
	v_fma_f64 v[64:65], v[8:9], v[48:49], -v[64:65]
	v_mul_f64 v[8:9], v[8:9], v[50:51]
	v_add_f64 v[50:51], v[4:5], v[64:65]
	v_fma_f64 v[8:9], v[10:11], v[48:49], v[8:9]
	v_add_f64 v[48:49], v[8:9], v[6:7]
	s_cbranch_scc1 .LBB117_56
.LBB117_7:                              ;   Parent Loop BB117_4 Depth=1
                                        ; =>  This Inner Loop Header: Depth=2
	v_add_co_u32 v8, s5, v14, s16
	v_add_co_ci_u32_e64 v9, null, s17, v15, s5
	v_cmp_eq_u64_e64 s8, s[16:17], v[20:21]
	v_cmp_le_i64_e64 s6, s[10:11], v[8:9]
	v_cmp_lt_i64_e64 s5, v[8:9], v[12:13]
	s_and_b32 s22, s37, s8
	v_add_co_u32 v6, s8, v0, s12
	v_add_co_ci_u32_e64 v7, null, s13, v59, s8
	s_or_b32 s9, s6, s5
	s_or_b32 s8, s9, s22
	s_nor_b32 s8, s0, s8
	s_and_saveexec_b32 s9, s8
	s_xor_b32 s8, exec_lo, s9
	s_cbranch_execz .LBB117_9
; %bb.8:                                ;   in Loop: Header=BB117_7 Depth=2
	global_load_dwordx4 v[64:67], v[6:7], off
	s_waitcnt vmcnt(0)
	v_xor_b32_e32 v67, 0x80000000, v67
	ds_write_b128 v55, v[64:67]
.LBB117_9:                              ;   in Loop: Header=BB117_7 Depth=2
	s_or_saveexec_b32 s8, s8
	s_xor_b32 s21, s22, -1
	s_xor_b32 exec_lo, exec_lo, s8
	s_cbranch_execz .LBB117_15
; %bb.10:                               ;   in Loop: Header=BB117_7 Depth=2
	s_and_saveexec_b32 s9, s21
	s_xor_b32 s9, exec_lo, s9
	s_cbranch_execz .LBB117_12
; %bb.11:                               ;   in Loop: Header=BB117_7 Depth=2
	v_mov_b32_e32 v64, v2
	v_mov_b32_e32 v65, v2
	;; [unrolled: 1-line block ×4, first 2 shown]
	ds_write_b128 v55, v[64:67]
.LBB117_12:                             ;   in Loop: Header=BB117_7 Depth=2
	s_andn2_saveexec_b32 s9, s9
; %bb.13:                               ;   in Loop: Header=BB117_7 Depth=2
	v_mov_b32_e32 v4, v2
	v_mov_b32_e32 v5, v2
	ds_write_b128 v55, v[2:5]
; %bb.14:                               ;   in Loop: Header=BB117_7 Depth=2
	s_or_b32 exec_lo, exec_lo, s9
.LBB117_15:                             ;   in Loop: Header=BB117_7 Depth=2
	s_or_b32 exec_lo, exec_lo, s8
	v_cmp_eq_u64_e64 s8, s[16:17], v[22:23]
	v_cmp_gt_i64_e64 s9, v[18:19], v[8:9]
	s_and_b32 s8, s37, s8
	s_or_b32 s6, s6, s9
	s_or_b32 s6, s6, s8
	s_nor_b32 s6, s3, s6
	s_and_saveexec_b32 s9, s6
	s_xor_b32 s9, exec_lo, s9
	s_cbranch_execz .LBB117_17
; %bb.16:                               ;   in Loop: Header=BB117_7 Depth=2
	v_add_co_u32 v4, s6, v60, s12
	v_add_co_ci_u32_e64 v5, null, s13, v61, s6
	global_load_dwordx4 v[64:67], v[4:5], off
	s_waitcnt vmcnt(0)
	v_xor_b32_e32 v67, 0x80000000, v67
	ds_write_b128 v55, v[64:67] offset:256
.LBB117_17:                             ;   in Loop: Header=BB117_7 Depth=2
	s_andn2_saveexec_b32 s6, s9
	s_cbranch_execz .LBB117_23
; %bb.18:                               ;   in Loop: Header=BB117_7 Depth=2
	s_xor_b32 s8, s8, -1
	s_and_saveexec_b32 s9, s8
	s_xor_b32 s8, exec_lo, s9
	s_cbranch_execz .LBB117_20
; %bb.19:                               ;   in Loop: Header=BB117_7 Depth=2
	v_mov_b32_e32 v64, v2
	v_mov_b32_e32 v65, v2
	;; [unrolled: 1-line block ×4, first 2 shown]
	ds_write_b128 v55, v[64:67] offset:256
.LBB117_20:                             ;   in Loop: Header=BB117_7 Depth=2
	s_andn2_saveexec_b32 s8, s8
; %bb.21:                               ;   in Loop: Header=BB117_7 Depth=2
	v_mov_b32_e32 v4, v2
	v_mov_b32_e32 v5, v2
	ds_write_b128 v55, v[2:5] offset:256
; %bb.22:                               ;   in Loop: Header=BB117_7 Depth=2
	s_or_b32 exec_lo, exec_lo, s8
.LBB117_23:                             ;   in Loop: Header=BB117_7 Depth=2
	s_or_b32 exec_lo, exec_lo, s6
	v_add_co_u32 v4, s6, v8, 16
	v_add_co_ci_u32_e64 v5, null, 0, v9, s6
	v_cmp_eq_u64_e64 s8, s[16:17], v[26:27]
	v_cmp_le_i64_e64 s6, s[10:11], v[4:5]
	v_cmp_lt_i64_e64 s9, v[4:5], v[12:13]
	s_and_b32 s23, s37, s8
	s_or_b32 s8, s6, s9
	s_or_b32 s8, s8, s23
	s_nor_b32 s8, s0, s8
	s_and_saveexec_b32 s9, s8
	s_xor_b32 s8, exec_lo, s9
	s_cbranch_execz .LBB117_25
; %bb.24:                               ;   in Loop: Header=BB117_7 Depth=2
	global_load_dwordx4 v[4:7], v[6:7], off offset:256
	s_waitcnt vmcnt(0)
	v_xor_b32_e32 v7, 0x80000000, v7
	ds_write_b128 v55, v[4:7] offset:8192
.LBB117_25:                             ;   in Loop: Header=BB117_7 Depth=2
	s_andn2_saveexec_b32 s8, s8
	s_cbranch_execz .LBB117_31
; %bb.26:                               ;   in Loop: Header=BB117_7 Depth=2
	s_xor_b32 s9, s23, -1
	s_and_saveexec_b32 s23, s9
	s_xor_b32 s9, exec_lo, s23
	s_cbranch_execz .LBB117_28
; %bb.27:                               ;   in Loop: Header=BB117_7 Depth=2
	v_mov_b32_e32 v4, v2
	v_mov_b32_e32 v5, v2
	;; [unrolled: 1-line block ×4, first 2 shown]
	ds_write_b128 v55, v[4:7] offset:8192
.LBB117_28:                             ;   in Loop: Header=BB117_7 Depth=2
	s_andn2_saveexec_b32 s9, s9
; %bb.29:                               ;   in Loop: Header=BB117_7 Depth=2
	v_mov_b32_e32 v4, v2
	v_mov_b32_e32 v5, v2
	ds_write_b128 v55, v[2:5] offset:8192
; %bb.30:                               ;   in Loop: Header=BB117_7 Depth=2
	s_or_b32 exec_lo, exec_lo, s9
.LBB117_31:                             ;   in Loop: Header=BB117_7 Depth=2
	s_or_b32 exec_lo, exec_lo, s8
	s_or_b32 s5, s6, s5
	s_or_b32 s5, s5, s22
	s_nor_b32 s5, s3, s5
	s_and_saveexec_b32 s6, s5
	s_xor_b32 s6, exec_lo, s6
	s_cbranch_execz .LBB117_33
; %bb.32:                               ;   in Loop: Header=BB117_7 Depth=2
	v_add_co_u32 v4, s5, v60, s12
	v_add_co_ci_u32_e64 v5, null, s13, v61, s5
	global_load_dwordx4 v[4:7], v[4:5], off offset:256
	s_waitcnt vmcnt(0)
	v_xor_b32_e32 v7, 0x80000000, v7
	ds_write_b128 v55, v[4:7] offset:8448
.LBB117_33:                             ;   in Loop: Header=BB117_7 Depth=2
	s_andn2_saveexec_b32 s5, s6
	s_cbranch_execz .LBB117_39
; %bb.34:                               ;   in Loop: Header=BB117_7 Depth=2
	s_and_saveexec_b32 s6, s21
	s_xor_b32 s6, exec_lo, s6
	s_cbranch_execz .LBB117_36
; %bb.35:                               ;   in Loop: Header=BB117_7 Depth=2
	v_mov_b32_e32 v4, v2
	v_mov_b32_e32 v5, v2
	;; [unrolled: 1-line block ×4, first 2 shown]
	ds_write_b128 v55, v[4:7] offset:8448
.LBB117_36:                             ;   in Loop: Header=BB117_7 Depth=2
	s_andn2_saveexec_b32 s6, s6
; %bb.37:                               ;   in Loop: Header=BB117_7 Depth=2
	v_mov_b32_e32 v4, v2
	v_mov_b32_e32 v5, v2
	ds_write_b128 v55, v[2:5] offset:8448
; %bb.38:                               ;   in Loop: Header=BB117_7 Depth=2
	s_or_b32 exec_lo, exec_lo, s6
.LBB117_39:                             ;   in Loop: Header=BB117_7 Depth=2
	s_or_b32 exec_lo, exec_lo, s5
	v_add_co_u32 v4, s5, v12, s16
	v_add_co_ci_u32_e64 v5, null, s17, v13, s5
	v_cmp_gt_i64_e64 s5, s[10:11], v[4:5]
	s_and_b32 s6, vcc_lo, s5
	s_xor_b32 s6, s6, -1
	s_and_saveexec_b32 s8, s6
	s_xor_b32 s6, exec_lo, s8
	s_cbranch_execz .LBB117_41
; %bb.40:                               ;   in Loop: Header=BB117_7 Depth=2
	v_mov_b32_e32 v6, v2
	v_mov_b32_e32 v7, v2
	;; [unrolled: 1-line block ×4, first 2 shown]
	ds_write_b128 v54, v[6:9]
.LBB117_41:                             ;   in Loop: Header=BB117_7 Depth=2
	s_or_saveexec_b32 s8, s6
	v_add_co_u32 v6, s6, v32, s12
	v_add_co_ci_u32_e64 v7, null, s13, v33, s6
	s_xor_b32 exec_lo, exec_lo, s8
	s_cbranch_execz .LBB117_43
; %bb.42:                               ;   in Loop: Header=BB117_7 Depth=2
	global_load_dwordx4 v[8:11], v[6:7], off offset:-256
	s_waitcnt vmcnt(0)
	ds_write2_b64 v54, v[8:9], v[10:11] offset1:1
.LBB117_43:                             ;   in Loop: Header=BB117_7 Depth=2
	s_or_b32 exec_lo, exec_lo, s8
	v_cmp_gt_i64_e64 s6, s[14:15], v[4:5]
	s_and_b32 s8, vcc_lo, s6
	s_xor_b32 s8, s8, -1
	s_and_saveexec_b32 s9, s8
	s_xor_b32 s8, exec_lo, s9
	s_cbranch_execz .LBB117_45
; %bb.44:                               ;   in Loop: Header=BB117_7 Depth=2
	v_mov_b32_e32 v4, v2
	v_mov_b32_e32 v5, v2
	;; [unrolled: 1-line block ×4, first 2 shown]
	ds_write_b128 v54, v[4:7] offset:256
                                        ; implicit-def: $vgpr6_vgpr7
.LBB117_45:                             ;   in Loop: Header=BB117_7 Depth=2
	s_andn2_saveexec_b32 s8, s8
	s_cbranch_execz .LBB117_47
; %bb.46:                               ;   in Loop: Header=BB117_7 Depth=2
	global_load_dwordx4 v[4:7], v[6:7], off
	s_waitcnt vmcnt(0)
	ds_write2_b64 v56, v[4:5], v[6:7] offset1:1
.LBB117_47:                             ;   in Loop: Header=BB117_7 Depth=2
	s_or_b32 exec_lo, exec_lo, s8
	s_and_b32 s5, s4, s5
	s_xor_b32 s5, s5, -1
	s_and_saveexec_b32 s8, s5
	s_xor_b32 s5, exec_lo, s8
	s_cbranch_execz .LBB117_49
; %bb.48:                               ;   in Loop: Header=BB117_7 Depth=2
	v_mov_b32_e32 v4, v2
	v_mov_b32_e32 v5, v2
	;; [unrolled: 1-line block ×4, first 2 shown]
	ds_write_b128 v54, v[4:7] offset:8192
.LBB117_49:                             ;   in Loop: Header=BB117_7 Depth=2
	s_or_saveexec_b32 s8, s5
	v_add_co_u32 v4, s5, v34, s12
	v_add_co_ci_u32_e64 v5, null, s13, v35, s5
	s_xor_b32 exec_lo, exec_lo, s8
	s_cbranch_execz .LBB117_51
; %bb.50:                               ;   in Loop: Header=BB117_7 Depth=2
	global_load_dwordx4 v[6:9], v[4:5], off offset:-256
	s_waitcnt vmcnt(0)
	ds_write2_b64 v57, v[6:7], v[8:9] offset1:1
.LBB117_51:                             ;   in Loop: Header=BB117_7 Depth=2
	s_or_b32 exec_lo, exec_lo, s8
	s_and_b32 s5, s4, s6
	s_xor_b32 s5, s5, -1
	s_and_saveexec_b32 s6, s5
	s_xor_b32 s5, exec_lo, s6
	s_cbranch_execz .LBB117_53
; %bb.52:                               ;   in Loop: Header=BB117_7 Depth=2
	v_mov_b32_e32 v4, v2
	v_mov_b32_e32 v5, v2
	;; [unrolled: 1-line block ×4, first 2 shown]
	ds_write_b128 v54, v[4:7] offset:8448
                                        ; implicit-def: $vgpr4_vgpr5
.LBB117_53:                             ;   in Loop: Header=BB117_7 Depth=2
	s_andn2_saveexec_b32 s5, s5
	s_cbranch_execz .LBB117_6
; %bb.54:                               ;   in Loop: Header=BB117_7 Depth=2
	global_load_dwordx4 v[4:7], v[4:5], off
	s_waitcnt vmcnt(0)
	ds_write2_b64 v58, v[4:5], v[6:7] offset1:1
	s_branch .LBB117_6
.LBB117_55:                             ;   in Loop: Header=BB117_4 Depth=1
	v_mov_b32_e32 v40, 0
	v_mov_b32_e32 v42, 0
	;; [unrolled: 1-line block ×16, first 2 shown]
.LBB117_56:                             ;   in Loop: Header=BB117_4 Depth=1
	v_mul_lo_u32 v6, s41, v62
	v_mul_lo_u32 v7, s40, v63
	v_mad_u64_u32 v[4:5], null, s40, v62, 0
	v_cmp_gt_i32_e32 vcc_lo, s46, v62
	v_add3_u32 v5, v5, v7, v6
	v_lshlrev_b64 v[4:5], 4, v[4:5]
	v_add_co_u32 v4, s4, s27, v4
	v_add_co_ci_u32_e64 v5, null, s35, v5, s4
	s_and_b32 s4, s1, vcc_lo
	s_and_saveexec_b32 s5, s4
	s_cbranch_execz .LBB117_58
; %bb.57:                               ;   in Loop: Header=BB117_4 Depth=1
	v_add_co_u32 v10, s4, v4, v24
	v_add_co_ci_u32_e64 v11, null, v5, v25, s4
	v_mul_f64 v[31:32], s[30:31], v[42:43]
	v_mul_f64 v[33:34], s[28:29], v[42:43]
	global_load_dwordx4 v[6:9], v[10:11], off
	v_fma_f64 v[31:32], s[28:29], v[40:41], -v[31:32]
	v_fma_f64 v[33:34], s[30:31], v[40:41], v[33:34]
	s_waitcnt vmcnt(0)
	v_add_f64 v[6:7], v[6:7], v[31:32]
	v_add_f64 v[8:9], v[33:34], v[8:9]
	global_store_dwordx4 v[10:11], v[6:9], off
.LBB117_58:                             ;   in Loop: Header=BB117_4 Depth=1
	s_or_b32 exec_lo, exec_lo, s5
	s_and_b32 s5, s2, vcc_lo
	s_and_saveexec_b32 s4, s5
	s_cbranch_execz .LBB117_60
; %bb.59:                               ;   in Loop: Header=BB117_4 Depth=1
	v_lshlrev_b64 v[6:7], 4, v[16:17]
	v_mul_f64 v[10:11], s[30:31], v[38:39]
	v_mul_f64 v[31:32], s[28:29], v[38:39]
	v_add_co_u32 v8, vcc_lo, v4, v6
	v_add_co_ci_u32_e64 v9, null, v5, v7, vcc_lo
	global_load_dwordx4 v[4:7], v[8:9], off
	v_fma_f64 v[10:11], s[28:29], v[36:37], -v[10:11]
	v_fma_f64 v[31:32], s[30:31], v[36:37], v[31:32]
	s_waitcnt vmcnt(0)
	v_add_f64 v[4:5], v[4:5], v[10:11]
	v_add_f64 v[6:7], v[31:32], v[6:7]
	global_store_dwordx4 v[8:9], v[4:7], off
.LBB117_60:                             ;   in Loop: Header=BB117_4 Depth=1
	s_or_b32 exec_lo, exec_lo, s4
	v_add_nc_u32_e32 v6, 16, v62
	v_ashrrev_i32_e32 v7, 31, v6
	v_mul_lo_u32 v8, s41, v6
	v_mad_u64_u32 v[4:5], null, s40, v6, 0
	v_cmp_gt_i32_e32 vcc_lo, s46, v6
	v_mul_lo_u32 v7, s40, v7
	v_add3_u32 v5, v5, v7, v8
	v_lshlrev_b64 v[4:5], 4, v[4:5]
	v_add_co_u32 v4, s4, s27, v4
	v_add_co_ci_u32_e64 v5, null, s35, v5, s4
	s_and_b32 s4, s1, vcc_lo
	s_and_saveexec_b32 s5, s4
	s_cbranch_execz .LBB117_62
; %bb.61:                               ;   in Loop: Header=BB117_4 Depth=1
	v_add_co_u32 v10, s4, v4, v24
	v_add_co_ci_u32_e64 v11, null, v5, v25, s4
	v_mul_f64 v[31:32], s[30:31], v[46:47]
	v_mul_f64 v[33:34], s[28:29], v[46:47]
	global_load_dwordx4 v[6:9], v[10:11], off
	v_fma_f64 v[31:32], s[28:29], v[44:45], -v[31:32]
	v_fma_f64 v[33:34], s[30:31], v[44:45], v[33:34]
	s_waitcnt vmcnt(0)
	v_add_f64 v[6:7], v[6:7], v[31:32]
	v_add_f64 v[8:9], v[33:34], v[8:9]
	global_store_dwordx4 v[10:11], v[6:9], off
.LBB117_62:                             ;   in Loop: Header=BB117_4 Depth=1
	s_or_b32 exec_lo, exec_lo, s5
	s_and_b32 s5, s2, vcc_lo
	s_and_saveexec_b32 s4, s5
	s_cbranch_execz .LBB117_3
; %bb.63:                               ;   in Loop: Header=BB117_4 Depth=1
	v_lshlrev_b64 v[6:7], 4, v[16:17]
	v_mul_f64 v[10:11], s[30:31], v[48:49]
	v_mul_f64 v[31:32], s[28:29], v[48:49]
	v_add_co_u32 v8, vcc_lo, v4, v6
	v_add_co_ci_u32_e64 v9, null, v5, v7, vcc_lo
	global_load_dwordx4 v[4:7], v[8:9], off
	v_fma_f64 v[10:11], s[28:29], v[50:51], -v[10:11]
	v_fma_f64 v[31:32], s[30:31], v[50:51], v[31:32]
	s_waitcnt vmcnt(0)
	v_add_f64 v[4:5], v[4:5], v[10:11]
	v_add_f64 v[6:7], v[31:32], v[6:7]
	global_store_dwordx4 v[8:9], v[4:7], off
	s_branch .LBB117_3
.LBB117_64:
	s_endpgm
	.section	.rodata,"a",@progbits
	.p2align	6, 0x0
	.amdhsa_kernel _ZL30rocblas_trmm_outofplace_kernelI19rocblas_complex_numIdELi32ELi2ELb1ELb0ELb1ELb1ES1_KS1_S1_Ev17rocblas_diagonal_iiT6_lPT7_lllS6_lllPT8_llli
		.amdhsa_group_segment_fixed_size 32768
		.amdhsa_private_segment_fixed_size 0
		.amdhsa_kernarg_size 400
		.amdhsa_user_sgpr_count 6
		.amdhsa_user_sgpr_private_segment_buffer 1
		.amdhsa_user_sgpr_dispatch_ptr 0
		.amdhsa_user_sgpr_queue_ptr 0
		.amdhsa_user_sgpr_kernarg_segment_ptr 1
		.amdhsa_user_sgpr_dispatch_id 0
		.amdhsa_user_sgpr_flat_scratch_init 0
		.amdhsa_user_sgpr_private_segment_size 0
		.amdhsa_wavefront_size32 1
		.amdhsa_uses_dynamic_stack 0
		.amdhsa_system_sgpr_private_segment_wavefront_offset 0
		.amdhsa_system_sgpr_workgroup_id_x 1
		.amdhsa_system_sgpr_workgroup_id_y 1
		.amdhsa_system_sgpr_workgroup_id_z 1
		.amdhsa_system_sgpr_workgroup_info 0
		.amdhsa_system_vgpr_workitem_id 1
		.amdhsa_next_free_vgpr 82
		.amdhsa_next_free_sgpr 50
		.amdhsa_reserve_vcc 1
		.amdhsa_reserve_flat_scratch 0
		.amdhsa_float_round_mode_32 0
		.amdhsa_float_round_mode_16_64 0
		.amdhsa_float_denorm_mode_32 3
		.amdhsa_float_denorm_mode_16_64 3
		.amdhsa_dx10_clamp 1
		.amdhsa_ieee_mode 1
		.amdhsa_fp16_overflow 0
		.amdhsa_workgroup_processor_mode 1
		.amdhsa_memory_ordered 1
		.amdhsa_forward_progress 1
		.amdhsa_shared_vgpr_count 0
		.amdhsa_exception_fp_ieee_invalid_op 0
		.amdhsa_exception_fp_denorm_src 0
		.amdhsa_exception_fp_ieee_div_zero 0
		.amdhsa_exception_fp_ieee_overflow 0
		.amdhsa_exception_fp_ieee_underflow 0
		.amdhsa_exception_fp_ieee_inexact 0
		.amdhsa_exception_int_div_zero 0
	.end_amdhsa_kernel
	.section	.text._ZL30rocblas_trmm_outofplace_kernelI19rocblas_complex_numIdELi32ELi2ELb1ELb0ELb1ELb1ES1_KS1_S1_Ev17rocblas_diagonal_iiT6_lPT7_lllS6_lllPT8_llli,"axG",@progbits,_ZL30rocblas_trmm_outofplace_kernelI19rocblas_complex_numIdELi32ELi2ELb1ELb0ELb1ELb1ES1_KS1_S1_Ev17rocblas_diagonal_iiT6_lPT7_lllS6_lllPT8_llli,comdat
.Lfunc_end117:
	.size	_ZL30rocblas_trmm_outofplace_kernelI19rocblas_complex_numIdELi32ELi2ELb1ELb0ELb1ELb1ES1_KS1_S1_Ev17rocblas_diagonal_iiT6_lPT7_lllS6_lllPT8_llli, .Lfunc_end117-_ZL30rocblas_trmm_outofplace_kernelI19rocblas_complex_numIdELi32ELi2ELb1ELb0ELb1ELb1ES1_KS1_S1_Ev17rocblas_diagonal_iiT6_lPT7_lllS6_lllPT8_llli
                                        ; -- End function
	.set _ZL30rocblas_trmm_outofplace_kernelI19rocblas_complex_numIdELi32ELi2ELb1ELb0ELb1ELb1ES1_KS1_S1_Ev17rocblas_diagonal_iiT6_lPT7_lllS6_lllPT8_llli.num_vgpr, 82
	.set _ZL30rocblas_trmm_outofplace_kernelI19rocblas_complex_numIdELi32ELi2ELb1ELb0ELb1ELb1ES1_KS1_S1_Ev17rocblas_diagonal_iiT6_lPT7_lllS6_lllPT8_llli.num_agpr, 0
	.set _ZL30rocblas_trmm_outofplace_kernelI19rocblas_complex_numIdELi32ELi2ELb1ELb0ELb1ELb1ES1_KS1_S1_Ev17rocblas_diagonal_iiT6_lPT7_lllS6_lllPT8_llli.numbered_sgpr, 50
	.set _ZL30rocblas_trmm_outofplace_kernelI19rocblas_complex_numIdELi32ELi2ELb1ELb0ELb1ELb1ES1_KS1_S1_Ev17rocblas_diagonal_iiT6_lPT7_lllS6_lllPT8_llli.num_named_barrier, 0
	.set _ZL30rocblas_trmm_outofplace_kernelI19rocblas_complex_numIdELi32ELi2ELb1ELb0ELb1ELb1ES1_KS1_S1_Ev17rocblas_diagonal_iiT6_lPT7_lllS6_lllPT8_llli.private_seg_size, 0
	.set _ZL30rocblas_trmm_outofplace_kernelI19rocblas_complex_numIdELi32ELi2ELb1ELb0ELb1ELb1ES1_KS1_S1_Ev17rocblas_diagonal_iiT6_lPT7_lllS6_lllPT8_llli.uses_vcc, 1
	.set _ZL30rocblas_trmm_outofplace_kernelI19rocblas_complex_numIdELi32ELi2ELb1ELb0ELb1ELb1ES1_KS1_S1_Ev17rocblas_diagonal_iiT6_lPT7_lllS6_lllPT8_llli.uses_flat_scratch, 0
	.set _ZL30rocblas_trmm_outofplace_kernelI19rocblas_complex_numIdELi32ELi2ELb1ELb0ELb1ELb1ES1_KS1_S1_Ev17rocblas_diagonal_iiT6_lPT7_lllS6_lllPT8_llli.has_dyn_sized_stack, 0
	.set _ZL30rocblas_trmm_outofplace_kernelI19rocblas_complex_numIdELi32ELi2ELb1ELb0ELb1ELb1ES1_KS1_S1_Ev17rocblas_diagonal_iiT6_lPT7_lllS6_lllPT8_llli.has_recursion, 0
	.set _ZL30rocblas_trmm_outofplace_kernelI19rocblas_complex_numIdELi32ELi2ELb1ELb0ELb1ELb1ES1_KS1_S1_Ev17rocblas_diagonal_iiT6_lPT7_lllS6_lllPT8_llli.has_indirect_call, 0
	.section	.AMDGPU.csdata,"",@progbits
; Kernel info:
; codeLenInByte = 10200
; TotalNumSgprs: 52
; NumVgprs: 82
; ScratchSize: 0
; MemoryBound: 0
; FloatMode: 240
; IeeeMode: 1
; LDSByteSize: 32768 bytes/workgroup (compile time only)
; SGPRBlocks: 0
; VGPRBlocks: 10
; NumSGPRsForWavesPerEU: 52
; NumVGPRsForWavesPerEU: 82
; Occupancy: 10
; WaveLimiterHint : 0
; COMPUTE_PGM_RSRC2:SCRATCH_EN: 0
; COMPUTE_PGM_RSRC2:USER_SGPR: 6
; COMPUTE_PGM_RSRC2:TRAP_HANDLER: 0
; COMPUTE_PGM_RSRC2:TGID_X_EN: 1
; COMPUTE_PGM_RSRC2:TGID_Y_EN: 1
; COMPUTE_PGM_RSRC2:TGID_Z_EN: 1
; COMPUTE_PGM_RSRC2:TIDIG_COMP_CNT: 1
	.section	.text._ZL30rocblas_trmm_outofplace_kernelI19rocblas_complex_numIdELi32ELi2ELb1ELb1ELb1ELb1EPKS1_S2_S1_Ev17rocblas_diagonal_iiT6_lPT7_lllS7_lllPT8_llli,"axG",@progbits,_ZL30rocblas_trmm_outofplace_kernelI19rocblas_complex_numIdELi32ELi2ELb1ELb1ELb1ELb1EPKS1_S2_S1_Ev17rocblas_diagonal_iiT6_lPT7_lllS7_lllPT8_llli,comdat
	.globl	_ZL30rocblas_trmm_outofplace_kernelI19rocblas_complex_numIdELi32ELi2ELb1ELb1ELb1ELb1EPKS1_S2_S1_Ev17rocblas_diagonal_iiT6_lPT7_lllS7_lllPT8_llli ; -- Begin function _ZL30rocblas_trmm_outofplace_kernelI19rocblas_complex_numIdELi32ELi2ELb1ELb1ELb1ELb1EPKS1_S2_S1_Ev17rocblas_diagonal_iiT6_lPT7_lllS7_lllPT8_llli
	.p2align	8
	.type	_ZL30rocblas_trmm_outofplace_kernelI19rocblas_complex_numIdELi32ELi2ELb1ELb1ELb1ELb1EPKS1_S2_S1_Ev17rocblas_diagonal_iiT6_lPT7_lllS7_lllPT8_llli,@function
_ZL30rocblas_trmm_outofplace_kernelI19rocblas_complex_numIdELi32ELi2ELb1ELb1ELb1ELb1EPKS1_S2_S1_Ev17rocblas_diagonal_iiT6_lPT7_lllS7_lllPT8_llli: ; @_ZL30rocblas_trmm_outofplace_kernelI19rocblas_complex_numIdELi32ELi2ELb1ELb1ELb1ELb1EPKS1_S2_S1_Ev17rocblas_diagonal_iiT6_lPT7_lllS7_lllPT8_llli
; %bb.0:
	s_load_dwordx16 s[12:27], s[4:5], 0x10
	s_waitcnt lgkmcnt(0)
	s_mul_i32 s1, s15, s8
	s_mul_hi_u32 s2, s14, s8
	s_mul_i32 s0, s14, s8
	s_add_i32 s1, s2, s1
	s_lshl_b64 s[0:1], s[0:1], 4
	s_add_u32 s0, s12, s0
	s_addc_u32 s1, s13, s1
	s_load_dwordx4 s[12:15], s[0:1], 0x0
	s_waitcnt lgkmcnt(0)
	v_cmp_eq_f64_e64 s0, s[12:13], 0
	v_cmp_eq_f64_e64 s1, s[14:15], 0
	s_and_b32 s0, s0, s1
	s_and_b32 vcc_lo, exec_lo, s0
	s_cbranch_vccnz .LBB118_63
; %bb.1:
	s_load_dwordx4 s[28:31], s[4:5], 0x0
	s_waitcnt lgkmcnt(0)
	s_add_i32 s0, s30, -1
	s_ashr_i32 s1, s0, 31
	s_lshr_b32 s1, s1, 27
	s_add_i32 s0, s0, s1
	s_ashr_i32 s31, s0, 5
	s_cmp_gt_i32 s7, s31
	s_cbranch_scc1 .LBB118_63
; %bb.2:
	s_clause 0x1
	s_load_dwordx4 s[44:47], s[4:5], 0x70
	s_load_dwordx8 s[36:43], s[4:5], 0x50
	s_mul_i32 s1, s23, s8
	s_mul_hi_u32 s2, s22, s8
	s_mul_i32 s0, s22, s8
	s_add_i32 s1, s2, s1
	s_load_dword s33, s[4:5], 0x8c
	s_lshl_b64 s[34:35], s[0:1], 4
	v_lshlrev_b32_e32 v3, 9, v1
	s_add_u32 s0, s16, s34
	s_addc_u32 s1, s17, s35
	s_lshl_b64 s[48:49], s[18:19], 4
	v_lshlrev_b32_e32 v54, 4, v0
	s_add_u32 s3, s0, s48
	s_addc_u32 s4, s1, s49
	v_add_nc_u32_e32 v55, 0x4000, v3
	v_lshlrev_b32_e32 v7, 4, v1
	v_add_nc_u32_e32 v56, v54, v3
	s_mov_b32 s10, s29
	v_mov_b32_e32 v2, 0
	s_waitcnt lgkmcnt(0)
	s_mul_i32 s1, s47, s8
	s_mul_hi_u32 s2, s46, s8
	s_mul_i32 s0, s46, s8
	s_add_i32 s1, s2, s1
	v_add_nc_u32_e32 v57, v55, v54
	s_lshl_b64 s[0:1], s[0:1], 4
	v_lshl_add_u32 v30, s7, 5, v1
	s_add_u32 s2, s40, s0
	s_addc_u32 s5, s41, s1
	s_lshl_b64 s[0:1], s[42:43], 4
	s_add_u32 s40, s2, s0
	s_addc_u32 s41, s5, s1
	s_lshl_b32 s42, s6, 5
	s_cmp_gt_i32 s6, -1
	v_add_nc_u32_e32 v16, s42, v0
	s_mul_i32 s5, s39, s8
	s_cselect_b32 s39, -1, 0
	s_cmpk_eq_i32 s28, 0x84
	s_mul_hi_u32 s6, s38, s8
	v_ashrrev_i32_e32 v17, 31, v16
	v_mul_lo_u32 v5, s21, v16
	v_mad_u64_u32 v[3:4], null, s20, v16, 0
	v_add_co_u32 v18, vcc_lo, v16, 16
	v_mul_lo_u32 v6, s20, v17
	v_add_co_ci_u32_e64 v19, null, 0, v17, vcc_lo
	s_cselect_b32 s28, -1, 0
	s_ashr_i32 s11, s29, 31
	s_ashr_i32 s43, s30, 31
	v_lshlrev_b64 v[24:25], 4, v[16:17]
	s_add_u32 s18, s29, -16
	v_add3_u32 v4, v4, v6, v5
	s_addc_u32 s19, s11, -1
	s_add_i32 s5, s6, s5
	v_add_nc_u32_e32 v5, 16, v16
	v_cmp_le_i32_e64 s0, s29, v16
	v_lshlrev_b64 v[3:4], 4, v[3:4]
	v_cmp_gt_i32_e64 s1, s29, v16
	v_ashrrev_i32_e32 v6, 31, v5
	v_cmp_gt_i32_e64 s2, s29, v5
	v_add_co_u32 v3, vcc_lo, s3, v3
	v_add_co_ci_u32_e64 v4, null, s4, v4, vcc_lo
	s_mul_i32 s4, s38, s8
	v_add_co_u32 v58, vcc_lo, v3, v7
	v_add_co_ci_u32_e64 v59, null, 0, v4, vcc_lo
	v_sub_co_u32 v20, vcc_lo, v16, v1
	v_subrev_co_ci_u32_e64 v21, null, 0, v17, vcc_lo
	s_lshl_b64 s[4:5], s[4:5], 4
	s_lshl_b64 s[8:9], s[26:27], 4
	v_add_co_u32 v22, vcc_lo, v20, 16
	v_add_co_ci_u32_e64 v23, null, 0, v21, vcc_lo
	s_add_u32 s4, s4, s8
	v_add_co_u32 v8, vcc_lo, 0x100, v24
	s_addc_u32 s5, s5, s9
	s_add_u32 s6, s24, s4
	v_add_co_ci_u32_e64 v9, null, 0, v25, vcc_lo
	s_addc_u32 s8, s25, s5
	s_lshl_b64 s[22:23], s[36:37], 4
	s_lshl_b32 s24, s33, 5
	s_add_u32 s4, s48, s34
	s_addc_u32 s5, s49, s35
	v_mul_lo_u32 v9, s20, v9
	v_mad_u64_u32 v[3:4], null, s20, v8, s[4:5]
	v_mul_lo_u32 v8, s21, v8
	v_add_co_u32 v10, s4, s6, v54
	v_add_co_ci_u32_e64 v11, null, s8, 0, s4
	v_add_co_u32 v26, vcc_lo, v20, -16
	v_add_co_ci_u32_e64 v27, null, -1, v21, vcc_lo
	v_add3_u32 v4, v8, v4, v9
	v_add_co_u32 v28, vcc_lo, 0x100, v10
	v_add_co_ci_u32_e64 v29, null, 0, v11, vcc_lo
	v_add_co_u32 v3, vcc_lo, v3, v7
	v_add_co_ci_u32_e64 v4, null, 0, v4, vcc_lo
	v_cmp_le_i64_e64 s3, s[10:11], v[18:19]
	v_add_co_u32 v60, vcc_lo, s16, v3
	v_lshlrev_b64 v[32:33], 4, v[5:6]
	v_add_co_ci_u32_e64 v61, null, s17, v4, vcc_lo
	v_mov_b32_e32 v3, 0x3ff00000
	s_branch .LBB118_4
.LBB118_3:                              ;   in Loop: Header=BB118_4 Depth=1
	s_or_b32 exec_lo, exec_lo, s4
	v_add_nc_u32_e32 v30, s24, v30
	s_add_i32 s7, s33, s7
	s_cmp_le_i32 s7, s31
	s_cbranch_scc0 .LBB118_63
.LBB118_4:                              ; =>This Loop Header: Depth=1
                                        ;     Child Loop BB118_7 Depth 2
	v_lshl_add_u32 v62, s7, 5, v1
	v_mov_b32_e32 v38, 0
	v_mov_b32_e32 v40, 0
	;; [unrolled: 1-line block ×16, first 2 shown]
	v_ashrrev_i32_e32 v63, 31, v62
	s_andn2_b32 vcc_lo, exec_lo, s39
	s_cbranch_vccnz .LBB118_55
; %bb.5:                                ;   in Loop: Header=BB118_4 Depth=1
	v_ashrrev_i32_e32 v31, 31, v30
	v_mad_u64_u32 v[34:35], null, s22, v30, v[28:29]
	v_mul_lo_u32 v6, s23, v30
	v_mov_b32_e32 v46, 0
	v_lshlrev_b64 v[4:5], 4, v[30:31]
	v_mul_lo_u32 v7, s22, v31
	v_mov_b32_e32 v48, 0
	v_mov_b32_e32 v44, 0
	;; [unrolled: 1-line block ×4, first 2 shown]
	v_add_co_u32 v8, vcc_lo, 0x100, v4
	v_add_co_ci_u32_e64 v9, null, 0, v5, vcc_lo
	v_sub_co_u32 v4, vcc_lo, s30, v62
	v_add3_u32 v35, v6, v35, v7
	v_mul_lo_u32 v6, s36, v9
	v_mul_lo_u32 v7, s37, v8
	v_mad_u64_u32 v[36:37], null, s36, v8, v[28:29]
	v_sub_co_ci_u32_e64 v5, null, s43, v63, vcc_lo
	v_mov_b32_e32 v12, 0
	v_mov_b32_e32 v40, 0
	;; [unrolled: 1-line block ×3, first 2 shown]
	v_cmp_lt_i64_e64 s4, 16, v[4:5]
	v_mov_b32_e32 v47, 0
	v_mov_b32_e32 v49, 0
	v_mov_b32_e32 v45, 0
	v_mov_b32_e32 v43, 0
	v_mov_b32_e32 v15, 0
	v_mov_b32_e32 v13, 0
	v_mov_b32_e32 v41, 0
	v_mov_b32_e32 v39, 0
	v_add3_u32 v37, v7, v37, v6
	s_mov_b64 s[16:17], 0
	s_mov_b64 s[20:21], 0
	v_cmp_lt_i64_e32 vcc_lo, 0, v[4:5]
	s_branch .LBB118_7
.LBB118_6:                              ;   in Loop: Header=BB118_7 Depth=2
	s_or_b32 exec_lo, exec_lo, s5
	s_waitcnt lgkmcnt(0)
	s_barrier
	buffer_gl0_inv
	ds_read_b128 v[50:53], v55
	ds_read_b128 v[64:67], v55 offset:16
	ds_read_b128 v[8:11], v55 offset:32
	;; [unrolled: 1-line block ×3, first 2 shown]
	ds_read_b128 v[68:71], v54
	s_add_u32 s20, s20, 32
	s_addc_u32 s21, s21, 0
	s_sub_i32 s5, s20, 32
	s_add_u32 s16, s16, 0x200
	s_addc_u32 s17, s17, 0
	s_cmp_ge_i32 s5, s42
	s_waitcnt lgkmcnt(0)
	v_mul_f64 v[72:73], v[52:53], v[70:71]
	v_mul_f64 v[74:75], v[50:51], v[70:71]
	v_fma_f64 v[72:73], v[50:51], v[68:69], -v[72:73]
	v_fma_f64 v[74:75], v[52:53], v[68:69], v[74:75]
	v_add_f64 v[72:73], v[38:39], v[72:73]
	v_add_f64 v[74:75], v[74:75], v[40:41]
	ds_read_b128 v[38:41], v54 offset:256
	s_waitcnt lgkmcnt(0)
	v_mul_f64 v[76:77], v[52:53], v[40:41]
	v_fma_f64 v[76:77], v[50:51], v[38:39], -v[76:77]
	v_mul_f64 v[50:51], v[50:51], v[40:41]
	v_fma_f64 v[50:51], v[52:53], v[38:39], v[50:51]
	v_add_f64 v[52:53], v[12:13], v[76:77]
	v_add_f64 v[50:51], v[50:51], v[14:15]
	ds_read_b128 v[12:15], v55 offset:8192
	s_waitcnt lgkmcnt(0)
	v_mul_f64 v[76:77], v[14:15], v[70:71]
	v_mul_f64 v[70:71], v[12:13], v[70:71]
	v_fma_f64 v[76:77], v[12:13], v[68:69], -v[76:77]
	v_fma_f64 v[68:69], v[14:15], v[68:69], v[70:71]
	v_add_f64 v[70:71], v[42:43], v[76:77]
	v_mul_f64 v[42:43], v[14:15], v[40:41]
	v_add_f64 v[68:69], v[68:69], v[44:45]
	v_fma_f64 v[42:43], v[12:13], v[38:39], -v[42:43]
	v_mul_f64 v[12:13], v[12:13], v[40:41]
	v_add_f64 v[76:77], v[48:49], v[42:43]
	v_fma_f64 v[12:13], v[14:15], v[38:39], v[12:13]
	ds_read_b128 v[42:45], v54 offset:512
	v_add_f64 v[78:79], v[12:13], v[46:47]
	ds_read_b128 v[46:49], v54 offset:768
	s_waitcnt lgkmcnt(1)
	v_mul_f64 v[12:13], v[66:67], v[44:45]
	v_mul_f64 v[14:15], v[64:65], v[44:45]
	v_fma_f64 v[12:13], v[64:65], v[42:43], -v[12:13]
	v_fma_f64 v[14:15], v[66:67], v[42:43], v[14:15]
	v_add_f64 v[38:39], v[72:73], v[12:13]
	v_add_f64 v[40:41], v[14:15], v[74:75]
	s_waitcnt lgkmcnt(0)
	v_mul_f64 v[12:13], v[66:67], v[48:49]
	v_mul_f64 v[14:15], v[64:65], v[48:49]
	v_fma_f64 v[12:13], v[64:65], v[46:47], -v[12:13]
	v_fma_f64 v[14:15], v[66:67], v[46:47], v[14:15]
	v_add_f64 v[12:13], v[52:53], v[12:13]
	v_add_f64 v[14:15], v[14:15], v[50:51]
	ds_read_b128 v[50:53], v55 offset:8208
	s_waitcnt lgkmcnt(0)
	v_mul_f64 v[64:65], v[52:53], v[44:45]
	v_mul_f64 v[44:45], v[50:51], v[44:45]
	v_fma_f64 v[64:65], v[50:51], v[42:43], -v[64:65]
	v_fma_f64 v[42:43], v[52:53], v[42:43], v[44:45]
	v_mul_f64 v[44:45], v[50:51], v[48:49]
	v_add_f64 v[64:65], v[70:71], v[64:65]
	v_add_f64 v[66:67], v[42:43], v[68:69]
	v_mul_f64 v[42:43], v[52:53], v[48:49]
	v_fma_f64 v[44:45], v[52:53], v[46:47], v[44:45]
	v_fma_f64 v[42:43], v[50:51], v[46:47], -v[42:43]
	v_add_f64 v[48:49], v[44:45], v[78:79]
	v_add_f64 v[46:47], v[76:77], v[42:43]
	ds_read_b128 v[42:45], v54 offset:1024
	s_waitcnt lgkmcnt(0)
	v_mul_f64 v[50:51], v[10:11], v[44:45]
	v_mul_f64 v[52:53], v[8:9], v[44:45]
	v_fma_f64 v[50:51], v[8:9], v[42:43], -v[50:51]
	v_fma_f64 v[52:53], v[10:11], v[42:43], v[52:53]
	v_add_f64 v[50:51], v[38:39], v[50:51]
	v_add_f64 v[52:53], v[52:53], v[40:41]
	ds_read_b128 v[38:41], v54 offset:1280
	s_waitcnt lgkmcnt(0)
	v_mul_f64 v[68:69], v[10:11], v[40:41]
	v_fma_f64 v[68:69], v[8:9], v[38:39], -v[68:69]
	v_mul_f64 v[8:9], v[8:9], v[40:41]
	v_add_f64 v[68:69], v[12:13], v[68:69]
	v_fma_f64 v[8:9], v[10:11], v[38:39], v[8:9]
	v_add_f64 v[70:71], v[8:9], v[14:15]
	ds_read_b128 v[8:11], v55 offset:8224
	s_waitcnt lgkmcnt(0)
	v_mul_f64 v[12:13], v[10:11], v[44:45]
	v_mul_f64 v[14:15], v[8:9], v[44:45]
	v_fma_f64 v[12:13], v[8:9], v[42:43], -v[12:13]
	v_fma_f64 v[14:15], v[10:11], v[42:43], v[14:15]
	v_add_f64 v[64:65], v[64:65], v[12:13]
	v_mul_f64 v[12:13], v[10:11], v[40:41]
	v_add_f64 v[66:67], v[14:15], v[66:67]
	v_fma_f64 v[12:13], v[8:9], v[38:39], -v[12:13]
	v_mul_f64 v[8:9], v[8:9], v[40:41]
	v_add_f64 v[46:47], v[46:47], v[12:13]
	v_fma_f64 v[8:9], v[10:11], v[38:39], v[8:9]
	ds_read_b128 v[12:15], v54 offset:1536
	ds_read_b128 v[38:41], v54 offset:1792
	s_waitcnt lgkmcnt(1)
	v_mul_f64 v[10:11], v[4:5], v[14:15]
	v_add_f64 v[48:49], v[8:9], v[48:49]
	v_mul_f64 v[8:9], v[6:7], v[14:15]
	s_waitcnt lgkmcnt(0)
	v_mul_f64 v[42:43], v[6:7], v[40:41]
	v_fma_f64 v[10:11], v[6:7], v[12:13], v[10:11]
	v_fma_f64 v[8:9], v[4:5], v[12:13], -v[8:9]
	v_fma_f64 v[42:43], v[4:5], v[38:39], -v[42:43]
	v_mul_f64 v[4:5], v[4:5], v[40:41]
	v_add_f64 v[10:11], v[10:11], v[52:53]
	v_add_f64 v[8:9], v[50:51], v[8:9]
	v_fma_f64 v[6:7], v[6:7], v[38:39], v[4:5]
	v_add_f64 v[4:5], v[68:69], v[42:43]
	ds_read_b128 v[42:45], v55 offset:8240
	s_waitcnt lgkmcnt(0)
	v_mul_f64 v[50:51], v[44:45], v[14:15]
	v_mul_f64 v[14:15], v[42:43], v[14:15]
	v_add_f64 v[6:7], v[6:7], v[70:71]
	v_fma_f64 v[50:51], v[42:43], v[12:13], -v[50:51]
	v_fma_f64 v[12:13], v[44:45], v[12:13], v[14:15]
	v_mul_f64 v[14:15], v[42:43], v[40:41]
	v_add_f64 v[50:51], v[64:65], v[50:51]
	v_add_f64 v[52:53], v[12:13], v[66:67]
	v_mul_f64 v[12:13], v[44:45], v[40:41]
	v_fma_f64 v[14:15], v[44:45], v[38:39], v[14:15]
	v_fma_f64 v[12:13], v[42:43], v[38:39], -v[12:13]
	v_add_f64 v[44:45], v[14:15], v[48:49]
	v_add_f64 v[42:43], v[46:47], v[12:13]
	ds_read_b128 v[12:15], v55 offset:64
	ds_read_b128 v[38:41], v54 offset:2048
	s_waitcnt lgkmcnt(0)
	v_mul_f64 v[46:47], v[14:15], v[40:41]
	v_mul_f64 v[48:49], v[12:13], v[40:41]
	v_fma_f64 v[46:47], v[12:13], v[38:39], -v[46:47]
	v_fma_f64 v[48:49], v[14:15], v[38:39], v[48:49]
	v_add_f64 v[46:47], v[8:9], v[46:47]
	v_add_f64 v[48:49], v[48:49], v[10:11]
	ds_read_b128 v[8:11], v54 offset:2304
	s_waitcnt lgkmcnt(0)
	v_mul_f64 v[64:65], v[14:15], v[10:11]
	v_fma_f64 v[64:65], v[12:13], v[8:9], -v[64:65]
	v_mul_f64 v[12:13], v[12:13], v[10:11]
	v_add_f64 v[64:65], v[4:5], v[64:65]
	v_fma_f64 v[12:13], v[14:15], v[8:9], v[12:13]
	v_add_f64 v[66:67], v[12:13], v[6:7]
	ds_read_b128 v[4:7], v55 offset:8256
	s_waitcnt lgkmcnt(0)
	v_mul_f64 v[12:13], v[6:7], v[40:41]
	v_mul_f64 v[14:15], v[4:5], v[40:41]
	v_fma_f64 v[12:13], v[4:5], v[38:39], -v[12:13]
	v_fma_f64 v[14:15], v[6:7], v[38:39], v[14:15]
	v_mul_f64 v[38:39], v[6:7], v[10:11]
	v_add_f64 v[12:13], v[50:51], v[12:13]
	v_add_f64 v[14:15], v[14:15], v[52:53]
	v_fma_f64 v[38:39], v[4:5], v[8:9], -v[38:39]
	v_mul_f64 v[4:5], v[4:5], v[10:11]
	v_fma_f64 v[4:5], v[6:7], v[8:9], v[4:5]
	v_add_f64 v[8:9], v[42:43], v[38:39]
	v_add_f64 v[10:11], v[4:5], v[44:45]
	ds_read_b128 v[4:7], v55 offset:80
	ds_read_b128 v[42:45], v54 offset:2560
	s_waitcnt lgkmcnt(0)
	v_mul_f64 v[38:39], v[6:7], v[44:45]
	v_mul_f64 v[40:41], v[4:5], v[44:45]
	v_fma_f64 v[38:39], v[4:5], v[42:43], -v[38:39]
	v_fma_f64 v[40:41], v[6:7], v[42:43], v[40:41]
	v_add_f64 v[38:39], v[46:47], v[38:39]
	v_add_f64 v[40:41], v[40:41], v[48:49]
	ds_read_b128 v[46:49], v54 offset:2816
	s_waitcnt lgkmcnt(0)
	v_mul_f64 v[50:51], v[6:7], v[48:49]
	v_fma_f64 v[50:51], v[4:5], v[46:47], -v[50:51]
	v_mul_f64 v[4:5], v[4:5], v[48:49]
	v_fma_f64 v[6:7], v[6:7], v[46:47], v[4:5]
	v_add_f64 v[4:5], v[64:65], v[50:51]
	ds_read_b128 v[50:53], v55 offset:8272
	s_waitcnt lgkmcnt(0)
	v_mul_f64 v[64:65], v[52:53], v[44:45]
	v_mul_f64 v[44:45], v[50:51], v[44:45]
	v_add_f64 v[6:7], v[6:7], v[66:67]
	v_fma_f64 v[64:65], v[50:51], v[42:43], -v[64:65]
	v_fma_f64 v[42:43], v[52:53], v[42:43], v[44:45]
	v_add_f64 v[44:45], v[12:13], v[64:65]
	v_add_f64 v[42:43], v[42:43], v[14:15]
	v_mul_f64 v[12:13], v[52:53], v[48:49]
	v_mul_f64 v[14:15], v[50:51], v[48:49]
	v_fma_f64 v[12:13], v[50:51], v[46:47], -v[12:13]
	v_fma_f64 v[14:15], v[52:53], v[46:47], v[14:15]
	v_add_f64 v[46:47], v[8:9], v[12:13]
	v_add_f64 v[48:49], v[14:15], v[10:11]
	ds_read_b128 v[8:11], v55 offset:96
	ds_read_b128 v[12:15], v54 offset:3072
	s_waitcnt lgkmcnt(0)
	v_mul_f64 v[50:51], v[10:11], v[14:15]
	v_mul_f64 v[52:53], v[8:9], v[14:15]
	v_fma_f64 v[50:51], v[8:9], v[12:13], -v[50:51]
	v_fma_f64 v[52:53], v[10:11], v[12:13], v[52:53]
	v_add_f64 v[50:51], v[38:39], v[50:51]
	v_add_f64 v[52:53], v[52:53], v[40:41]
	ds_read_b128 v[38:41], v54 offset:3328
	s_waitcnt lgkmcnt(0)
	v_mul_f64 v[64:65], v[10:11], v[40:41]
	v_fma_f64 v[64:65], v[8:9], v[38:39], -v[64:65]
	v_mul_f64 v[8:9], v[8:9], v[40:41]
	v_add_f64 v[64:65], v[4:5], v[64:65]
	v_fma_f64 v[8:9], v[10:11], v[38:39], v[8:9]
	v_add_f64 v[66:67], v[8:9], v[6:7]
	ds_read_b128 v[4:7], v55 offset:8288
	s_waitcnt lgkmcnt(0)
	v_mul_f64 v[8:9], v[6:7], v[14:15]
	v_mul_f64 v[10:11], v[4:5], v[14:15]
	v_fma_f64 v[8:9], v[4:5], v[12:13], -v[8:9]
	v_fma_f64 v[10:11], v[6:7], v[12:13], v[10:11]
	v_mul_f64 v[12:13], v[6:7], v[40:41]
	v_add_f64 v[8:9], v[44:45], v[8:9]
	v_add_f64 v[10:11], v[10:11], v[42:43]
	v_fma_f64 v[12:13], v[4:5], v[38:39], -v[12:13]
	v_mul_f64 v[4:5], v[4:5], v[40:41]
	v_fma_f64 v[6:7], v[6:7], v[38:39], v[4:5]
	v_add_f64 v[4:5], v[46:47], v[12:13]
	ds_read_b128 v[12:15], v55 offset:112
	ds_read_b128 v[42:45], v54 offset:3584
	s_waitcnt lgkmcnt(0)
	v_mul_f64 v[38:39], v[14:15], v[44:45]
	v_add_f64 v[6:7], v[6:7], v[48:49]
	ds_read_b128 v[46:49], v54 offset:3840
	v_mul_f64 v[40:41], v[12:13], v[44:45]
	v_fma_f64 v[38:39], v[12:13], v[42:43], -v[38:39]
	v_fma_f64 v[40:41], v[14:15], v[42:43], v[40:41]
	v_add_f64 v[38:39], v[50:51], v[38:39]
	s_waitcnt lgkmcnt(0)
	v_mul_f64 v[50:51], v[14:15], v[48:49]
	v_add_f64 v[40:41], v[40:41], v[52:53]
	v_fma_f64 v[50:51], v[12:13], v[46:47], -v[50:51]
	v_mul_f64 v[12:13], v[12:13], v[48:49]
	v_fma_f64 v[14:15], v[14:15], v[46:47], v[12:13]
	v_add_f64 v[12:13], v[64:65], v[50:51]
	ds_read_b128 v[50:53], v55 offset:8304
	s_waitcnt lgkmcnt(0)
	v_mul_f64 v[64:65], v[52:53], v[44:45]
	v_mul_f64 v[44:45], v[50:51], v[44:45]
	v_add_f64 v[14:15], v[14:15], v[66:67]
	v_fma_f64 v[64:65], v[50:51], v[42:43], -v[64:65]
	v_fma_f64 v[42:43], v[52:53], v[42:43], v[44:45]
	v_add_f64 v[44:45], v[8:9], v[64:65]
	v_add_f64 v[42:43], v[42:43], v[10:11]
	v_mul_f64 v[8:9], v[52:53], v[48:49]
	v_mul_f64 v[10:11], v[50:51], v[48:49]
	v_fma_f64 v[8:9], v[50:51], v[46:47], -v[8:9]
	v_fma_f64 v[10:11], v[52:53], v[46:47], v[10:11]
	v_add_f64 v[46:47], v[4:5], v[8:9]
	v_add_f64 v[48:49], v[10:11], v[6:7]
	ds_read_b128 v[4:7], v55 offset:128
	ds_read_b128 v[8:11], v54 offset:4096
	s_waitcnt lgkmcnt(0)
	v_mul_f64 v[50:51], v[6:7], v[10:11]
	v_mul_f64 v[52:53], v[4:5], v[10:11]
	v_fma_f64 v[50:51], v[4:5], v[8:9], -v[50:51]
	v_fma_f64 v[52:53], v[6:7], v[8:9], v[52:53]
	v_add_f64 v[50:51], v[38:39], v[50:51]
	v_add_f64 v[52:53], v[52:53], v[40:41]
	ds_read_b128 v[38:41], v54 offset:4352
	s_waitcnt lgkmcnt(0)
	v_mul_f64 v[64:65], v[6:7], v[40:41]
	v_fma_f64 v[64:65], v[4:5], v[38:39], -v[64:65]
	v_mul_f64 v[4:5], v[4:5], v[40:41]
	v_add_f64 v[64:65], v[12:13], v[64:65]
	v_fma_f64 v[4:5], v[6:7], v[38:39], v[4:5]
	v_add_f64 v[66:67], v[4:5], v[14:15]
	ds_read_b128 v[4:7], v55 offset:8320
	s_waitcnt lgkmcnt(0)
	v_mul_f64 v[12:13], v[6:7], v[10:11]
	v_mul_f64 v[10:11], v[4:5], v[10:11]
	v_fma_f64 v[12:13], v[4:5], v[8:9], -v[12:13]
	v_fma_f64 v[10:11], v[6:7], v[8:9], v[10:11]
	v_add_f64 v[8:9], v[44:45], v[12:13]
	v_mul_f64 v[12:13], v[6:7], v[40:41]
	v_add_f64 v[10:11], v[10:11], v[42:43]
	v_fma_f64 v[12:13], v[4:5], v[38:39], -v[12:13]
	v_mul_f64 v[4:5], v[4:5], v[40:41]
	v_fma_f64 v[6:7], v[6:7], v[38:39], v[4:5]
	v_add_f64 v[4:5], v[46:47], v[12:13]
	ds_read_b128 v[12:15], v55 offset:144
	ds_read_b128 v[38:41], v54 offset:4608
	s_waitcnt lgkmcnt(0)
	v_mul_f64 v[42:43], v[14:15], v[40:41]
	v_mul_f64 v[44:45], v[12:13], v[40:41]
	v_add_f64 v[6:7], v[6:7], v[48:49]
	v_fma_f64 v[42:43], v[12:13], v[38:39], -v[42:43]
	v_fma_f64 v[44:45], v[14:15], v[38:39], v[44:45]
	v_add_f64 v[50:51], v[50:51], v[42:43]
	v_add_f64 v[52:53], v[44:45], v[52:53]
	ds_read_b128 v[42:45], v54 offset:4864
	s_waitcnt lgkmcnt(0)
	v_mul_f64 v[46:47], v[14:15], v[44:45]
	v_fma_f64 v[46:47], v[12:13], v[42:43], -v[46:47]
	v_mul_f64 v[12:13], v[12:13], v[44:45]
	v_fma_f64 v[14:15], v[14:15], v[42:43], v[12:13]
	v_add_f64 v[12:13], v[64:65], v[46:47]
	ds_read_b128 v[46:49], v55 offset:8336
	s_waitcnt lgkmcnt(0)
	v_mul_f64 v[64:65], v[48:49], v[40:41]
	v_mul_f64 v[40:41], v[46:47], v[40:41]
	v_add_f64 v[14:15], v[14:15], v[66:67]
	v_fma_f64 v[64:65], v[46:47], v[38:39], -v[64:65]
	v_fma_f64 v[38:39], v[48:49], v[38:39], v[40:41]
	v_add_f64 v[64:65], v[8:9], v[64:65]
	v_add_f64 v[66:67], v[38:39], v[10:11]
	v_mul_f64 v[8:9], v[48:49], v[44:45]
	v_mul_f64 v[10:11], v[46:47], v[44:45]
	v_fma_f64 v[8:9], v[46:47], v[42:43], -v[8:9]
	v_fma_f64 v[10:11], v[48:49], v[42:43], v[10:11]
	v_add_f64 v[42:43], v[4:5], v[8:9]
	v_add_f64 v[44:45], v[10:11], v[6:7]
	ds_read_b128 v[4:7], v55 offset:160
	ds_read_b128 v[8:11], v54 offset:5120
	s_waitcnt lgkmcnt(0)
	v_mul_f64 v[38:39], v[6:7], v[10:11]
	v_mul_f64 v[40:41], v[4:5], v[10:11]
	v_fma_f64 v[38:39], v[4:5], v[8:9], -v[38:39]
	v_fma_f64 v[40:41], v[6:7], v[8:9], v[40:41]
	v_add_f64 v[46:47], v[50:51], v[38:39]
	v_add_f64 v[48:49], v[40:41], v[52:53]
	ds_read_b128 v[38:41], v54 offset:5376
	s_waitcnt lgkmcnt(0)
	v_mul_f64 v[50:51], v[6:7], v[40:41]
	v_fma_f64 v[50:51], v[4:5], v[38:39], -v[50:51]
	v_mul_f64 v[4:5], v[4:5], v[40:41]
	v_add_f64 v[50:51], v[12:13], v[50:51]
	v_fma_f64 v[4:5], v[6:7], v[38:39], v[4:5]
	v_add_f64 v[52:53], v[4:5], v[14:15]
	ds_read_b128 v[4:7], v55 offset:8352
	s_waitcnt lgkmcnt(0)
	v_mul_f64 v[12:13], v[6:7], v[10:11]
	v_mul_f64 v[10:11], v[4:5], v[10:11]
	v_fma_f64 v[12:13], v[4:5], v[8:9], -v[12:13]
	v_fma_f64 v[10:11], v[6:7], v[8:9], v[10:11]
	v_add_f64 v[8:9], v[64:65], v[12:13]
	v_mul_f64 v[12:13], v[6:7], v[40:41]
	v_add_f64 v[10:11], v[10:11], v[66:67]
	v_fma_f64 v[12:13], v[4:5], v[38:39], -v[12:13]
	v_mul_f64 v[4:5], v[4:5], v[40:41]
	v_fma_f64 v[6:7], v[6:7], v[38:39], v[4:5]
	v_add_f64 v[4:5], v[42:43], v[12:13]
	ds_read_b128 v[12:15], v55 offset:176
	ds_read_b128 v[38:41], v54 offset:5632
	v_add_f64 v[6:7], v[6:7], v[44:45]
	s_waitcnt lgkmcnt(0)
	v_mul_f64 v[42:43], v[14:15], v[40:41]
	v_mul_f64 v[44:45], v[12:13], v[40:41]
	v_fma_f64 v[42:43], v[12:13], v[38:39], -v[42:43]
	v_fma_f64 v[44:45], v[14:15], v[38:39], v[44:45]
	v_add_f64 v[64:65], v[46:47], v[42:43]
	v_add_f64 v[66:67], v[44:45], v[48:49]
	ds_read_b128 v[42:45], v54 offset:5888
	s_waitcnt lgkmcnt(0)
	v_mul_f64 v[46:47], v[14:15], v[44:45]
	v_fma_f64 v[46:47], v[12:13], v[42:43], -v[46:47]
	v_mul_f64 v[12:13], v[12:13], v[44:45]
	v_fma_f64 v[14:15], v[14:15], v[42:43], v[12:13]
	v_add_f64 v[12:13], v[50:51], v[46:47]
	ds_read_b128 v[46:49], v55 offset:8368
	s_waitcnt lgkmcnt(0)
	v_mul_f64 v[50:51], v[48:49], v[40:41]
	v_mul_f64 v[40:41], v[46:47], v[40:41]
	v_add_f64 v[14:15], v[14:15], v[52:53]
	v_fma_f64 v[50:51], v[46:47], v[38:39], -v[50:51]
	v_fma_f64 v[38:39], v[48:49], v[38:39], v[40:41]
	v_add_f64 v[50:51], v[8:9], v[50:51]
	v_add_f64 v[52:53], v[38:39], v[10:11]
	v_mul_f64 v[8:9], v[48:49], v[44:45]
	v_mul_f64 v[10:11], v[46:47], v[44:45]
	v_fma_f64 v[8:9], v[46:47], v[42:43], -v[8:9]
	v_fma_f64 v[10:11], v[48:49], v[42:43], v[10:11]
	v_add_f64 v[42:43], v[4:5], v[8:9]
	v_add_f64 v[44:45], v[10:11], v[6:7]
	ds_read_b128 v[4:7], v55 offset:192
	ds_read_b128 v[8:11], v54 offset:6144
	s_waitcnt lgkmcnt(0)
	v_mul_f64 v[38:39], v[6:7], v[10:11]
	v_mul_f64 v[40:41], v[4:5], v[10:11]
	v_fma_f64 v[38:39], v[4:5], v[8:9], -v[38:39]
	v_fma_f64 v[40:41], v[6:7], v[8:9], v[40:41]
	v_add_f64 v[46:47], v[64:65], v[38:39]
	v_add_f64 v[48:49], v[40:41], v[66:67]
	ds_read_b128 v[38:41], v54 offset:6400
	s_waitcnt lgkmcnt(0)
	v_mul_f64 v[64:65], v[6:7], v[40:41]
	v_fma_f64 v[64:65], v[4:5], v[38:39], -v[64:65]
	v_mul_f64 v[4:5], v[4:5], v[40:41]
	v_add_f64 v[64:65], v[12:13], v[64:65]
	v_fma_f64 v[4:5], v[6:7], v[38:39], v[4:5]
	v_add_f64 v[66:67], v[4:5], v[14:15]
	ds_read_b128 v[4:7], v55 offset:8384
	s_waitcnt lgkmcnt(0)
	v_mul_f64 v[12:13], v[6:7], v[10:11]
	v_mul_f64 v[10:11], v[4:5], v[10:11]
	v_fma_f64 v[12:13], v[4:5], v[8:9], -v[12:13]
	v_fma_f64 v[10:11], v[6:7], v[8:9], v[10:11]
	v_add_f64 v[8:9], v[50:51], v[12:13]
	v_mul_f64 v[12:13], v[6:7], v[40:41]
	v_add_f64 v[10:11], v[10:11], v[52:53]
	v_fma_f64 v[12:13], v[4:5], v[38:39], -v[12:13]
	v_mul_f64 v[4:5], v[4:5], v[40:41]
	v_fma_f64 v[6:7], v[6:7], v[38:39], v[4:5]
	v_add_f64 v[4:5], v[42:43], v[12:13]
	ds_read_b128 v[12:15], v55 offset:208
	ds_read_b128 v[38:41], v54 offset:6656
	v_add_f64 v[6:7], v[6:7], v[44:45]
	s_waitcnt lgkmcnt(0)
	v_mul_f64 v[42:43], v[14:15], v[40:41]
	v_mul_f64 v[44:45], v[12:13], v[40:41]
	;; [unrolled: 62-line block ×4, first 2 shown]
	v_fma_f64 v[42:43], v[12:13], v[38:39], -v[42:43]
	v_fma_f64 v[44:45], v[14:15], v[38:39], v[44:45]
	v_add_f64 v[50:51], v[46:47], v[42:43]
	v_add_f64 v[52:53], v[44:45], v[48:49]
	ds_read_b128 v[42:45], v54 offset:8960
	s_waitcnt lgkmcnt(0)
	v_mul_f64 v[46:47], v[14:15], v[44:45]
	v_fma_f64 v[46:47], v[12:13], v[42:43], -v[46:47]
	v_mul_f64 v[12:13], v[12:13], v[44:45]
	v_fma_f64 v[14:15], v[14:15], v[42:43], v[12:13]
	v_add_f64 v[12:13], v[64:65], v[46:47]
	ds_read_b128 v[46:49], v55 offset:8464
	s_waitcnt lgkmcnt(0)
	v_mul_f64 v[64:65], v[48:49], v[40:41]
	v_mul_f64 v[40:41], v[46:47], v[40:41]
	v_add_f64 v[14:15], v[14:15], v[66:67]
	v_fma_f64 v[64:65], v[46:47], v[38:39], -v[64:65]
	v_fma_f64 v[38:39], v[48:49], v[38:39], v[40:41]
	v_add_f64 v[64:65], v[8:9], v[64:65]
	v_add_f64 v[66:67], v[38:39], v[10:11]
	v_mul_f64 v[8:9], v[48:49], v[44:45]
	v_mul_f64 v[10:11], v[46:47], v[44:45]
	v_fma_f64 v[8:9], v[46:47], v[42:43], -v[8:9]
	v_fma_f64 v[10:11], v[48:49], v[42:43], v[10:11]
	v_add_f64 v[42:43], v[4:5], v[8:9]
	v_add_f64 v[44:45], v[10:11], v[6:7]
	ds_read_b128 v[4:7], v55 offset:288
	ds_read_b128 v[8:11], v54 offset:9216
	s_waitcnt lgkmcnt(0)
	v_mul_f64 v[38:39], v[6:7], v[10:11]
	v_mul_f64 v[40:41], v[4:5], v[10:11]
	v_fma_f64 v[38:39], v[4:5], v[8:9], -v[38:39]
	v_fma_f64 v[40:41], v[6:7], v[8:9], v[40:41]
	v_add_f64 v[46:47], v[50:51], v[38:39]
	v_add_f64 v[48:49], v[40:41], v[52:53]
	ds_read_b128 v[38:41], v54 offset:9472
	s_waitcnt lgkmcnt(0)
	v_mul_f64 v[50:51], v[6:7], v[40:41]
	v_fma_f64 v[50:51], v[4:5], v[38:39], -v[50:51]
	v_mul_f64 v[4:5], v[4:5], v[40:41]
	v_add_f64 v[50:51], v[12:13], v[50:51]
	v_fma_f64 v[4:5], v[6:7], v[38:39], v[4:5]
	v_add_f64 v[52:53], v[4:5], v[14:15]
	ds_read_b128 v[4:7], v55 offset:8480
	s_waitcnt lgkmcnt(0)
	v_mul_f64 v[12:13], v[6:7], v[10:11]
	v_mul_f64 v[10:11], v[4:5], v[10:11]
	v_fma_f64 v[12:13], v[4:5], v[8:9], -v[12:13]
	v_fma_f64 v[10:11], v[6:7], v[8:9], v[10:11]
	v_add_f64 v[8:9], v[64:65], v[12:13]
	v_mul_f64 v[12:13], v[6:7], v[40:41]
	v_add_f64 v[10:11], v[10:11], v[66:67]
	v_fma_f64 v[12:13], v[4:5], v[38:39], -v[12:13]
	v_mul_f64 v[4:5], v[4:5], v[40:41]
	v_fma_f64 v[6:7], v[6:7], v[38:39], v[4:5]
	v_add_f64 v[4:5], v[42:43], v[12:13]
	v_add_f64 v[6:7], v[6:7], v[44:45]
	ds_read_b128 v[12:15], v55 offset:304
	ds_read_b128 v[42:45], v54 offset:9728
	s_waitcnt lgkmcnt(0)
	v_mul_f64 v[38:39], v[14:15], v[44:45]
	v_mul_f64 v[40:41], v[12:13], v[44:45]
	v_fma_f64 v[38:39], v[12:13], v[42:43], -v[38:39]
	v_fma_f64 v[40:41], v[14:15], v[42:43], v[40:41]
	v_add_f64 v[38:39], v[46:47], v[38:39]
	v_add_f64 v[40:41], v[40:41], v[48:49]
	ds_read_b128 v[46:49], v54 offset:9984
	s_waitcnt lgkmcnt(0)
	v_mul_f64 v[64:65], v[14:15], v[48:49]
	v_fma_f64 v[64:65], v[12:13], v[46:47], -v[64:65]
	v_mul_f64 v[12:13], v[12:13], v[48:49]
	v_fma_f64 v[14:15], v[14:15], v[46:47], v[12:13]
	v_add_f64 v[12:13], v[50:51], v[64:65]
	v_add_f64 v[14:15], v[14:15], v[52:53]
	ds_read_b128 v[50:53], v55 offset:8496
	s_waitcnt lgkmcnt(0)
	v_mul_f64 v[64:65], v[52:53], v[44:45]
	v_mul_f64 v[44:45], v[50:51], v[44:45]
	v_fma_f64 v[64:65], v[50:51], v[42:43], -v[64:65]
	v_fma_f64 v[42:43], v[52:53], v[42:43], v[44:45]
	v_add_f64 v[44:45], v[8:9], v[64:65]
	v_add_f64 v[42:43], v[42:43], v[10:11]
	v_mul_f64 v[8:9], v[52:53], v[48:49]
	v_mul_f64 v[10:11], v[50:51], v[48:49]
	v_fma_f64 v[8:9], v[50:51], v[46:47], -v[8:9]
	v_fma_f64 v[10:11], v[52:53], v[46:47], v[10:11]
	v_add_f64 v[46:47], v[4:5], v[8:9]
	v_add_f64 v[48:49], v[10:11], v[6:7]
	ds_read_b128 v[4:7], v55 offset:320
	ds_read_b128 v[8:11], v54 offset:10240
	s_waitcnt lgkmcnt(0)
	v_mul_f64 v[50:51], v[6:7], v[10:11]
	v_mul_f64 v[52:53], v[4:5], v[10:11]
	v_fma_f64 v[50:51], v[4:5], v[8:9], -v[50:51]
	v_fma_f64 v[52:53], v[6:7], v[8:9], v[52:53]
	v_add_f64 v[50:51], v[38:39], v[50:51]
	v_add_f64 v[52:53], v[52:53], v[40:41]
	ds_read_b128 v[38:41], v54 offset:10496
	s_waitcnt lgkmcnt(0)
	v_mul_f64 v[64:65], v[6:7], v[40:41]
	v_fma_f64 v[64:65], v[4:5], v[38:39], -v[64:65]
	v_mul_f64 v[4:5], v[4:5], v[40:41]
	v_add_f64 v[64:65], v[12:13], v[64:65]
	v_fma_f64 v[4:5], v[6:7], v[38:39], v[4:5]
	v_add_f64 v[66:67], v[4:5], v[14:15]
	ds_read_b128 v[4:7], v55 offset:8512
	s_waitcnt lgkmcnt(0)
	v_mul_f64 v[12:13], v[6:7], v[10:11]
	v_mul_f64 v[10:11], v[4:5], v[10:11]
	v_fma_f64 v[12:13], v[4:5], v[8:9], -v[12:13]
	v_fma_f64 v[10:11], v[6:7], v[8:9], v[10:11]
	v_add_f64 v[8:9], v[44:45], v[12:13]
	v_mul_f64 v[12:13], v[6:7], v[40:41]
	v_add_f64 v[10:11], v[10:11], v[42:43]
	v_fma_f64 v[12:13], v[4:5], v[38:39], -v[12:13]
	v_mul_f64 v[4:5], v[4:5], v[40:41]
	v_fma_f64 v[6:7], v[6:7], v[38:39], v[4:5]
	v_add_f64 v[4:5], v[46:47], v[12:13]
	ds_read_b128 v[12:15], v55 offset:336
	ds_read_b128 v[38:41], v54 offset:10752
	s_waitcnt lgkmcnt(0)
	v_mul_f64 v[42:43], v[14:15], v[40:41]
	v_mul_f64 v[44:45], v[12:13], v[40:41]
	v_add_f64 v[6:7], v[6:7], v[48:49]
	v_fma_f64 v[42:43], v[12:13], v[38:39], -v[42:43]
	v_fma_f64 v[44:45], v[14:15], v[38:39], v[44:45]
	v_add_f64 v[50:51], v[50:51], v[42:43]
	v_add_f64 v[52:53], v[44:45], v[52:53]
	ds_read_b128 v[42:45], v54 offset:11008
	s_waitcnt lgkmcnt(0)
	v_mul_f64 v[46:47], v[14:15], v[44:45]
	v_fma_f64 v[46:47], v[12:13], v[42:43], -v[46:47]
	v_mul_f64 v[12:13], v[12:13], v[44:45]
	v_fma_f64 v[14:15], v[14:15], v[42:43], v[12:13]
	v_add_f64 v[12:13], v[64:65], v[46:47]
	ds_read_b128 v[46:49], v55 offset:8528
	s_waitcnt lgkmcnt(0)
	v_mul_f64 v[64:65], v[48:49], v[40:41]
	v_mul_f64 v[40:41], v[46:47], v[40:41]
	v_add_f64 v[14:15], v[14:15], v[66:67]
	v_fma_f64 v[64:65], v[46:47], v[38:39], -v[64:65]
	v_fma_f64 v[38:39], v[48:49], v[38:39], v[40:41]
	v_add_f64 v[64:65], v[8:9], v[64:65]
	v_add_f64 v[66:67], v[38:39], v[10:11]
	v_mul_f64 v[8:9], v[48:49], v[44:45]
	v_mul_f64 v[10:11], v[46:47], v[44:45]
	v_fma_f64 v[8:9], v[46:47], v[42:43], -v[8:9]
	v_fma_f64 v[10:11], v[48:49], v[42:43], v[10:11]
	v_add_f64 v[42:43], v[4:5], v[8:9]
	v_add_f64 v[44:45], v[10:11], v[6:7]
	ds_read_b128 v[4:7], v55 offset:352
	ds_read_b128 v[8:11], v54 offset:11264
	s_waitcnt lgkmcnt(0)
	v_mul_f64 v[38:39], v[6:7], v[10:11]
	v_mul_f64 v[40:41], v[4:5], v[10:11]
	v_fma_f64 v[38:39], v[4:5], v[8:9], -v[38:39]
	v_fma_f64 v[40:41], v[6:7], v[8:9], v[40:41]
	v_add_f64 v[46:47], v[50:51], v[38:39]
	v_add_f64 v[48:49], v[40:41], v[52:53]
	ds_read_b128 v[38:41], v54 offset:11520
	s_waitcnt lgkmcnt(0)
	v_mul_f64 v[50:51], v[6:7], v[40:41]
	v_fma_f64 v[50:51], v[4:5], v[38:39], -v[50:51]
	v_mul_f64 v[4:5], v[4:5], v[40:41]
	v_add_f64 v[50:51], v[12:13], v[50:51]
	v_fma_f64 v[4:5], v[6:7], v[38:39], v[4:5]
	v_add_f64 v[52:53], v[4:5], v[14:15]
	ds_read_b128 v[4:7], v55 offset:8544
	s_waitcnt lgkmcnt(0)
	v_mul_f64 v[12:13], v[6:7], v[10:11]
	v_mul_f64 v[10:11], v[4:5], v[10:11]
	v_fma_f64 v[12:13], v[4:5], v[8:9], -v[12:13]
	v_fma_f64 v[10:11], v[6:7], v[8:9], v[10:11]
	v_add_f64 v[8:9], v[64:65], v[12:13]
	v_mul_f64 v[12:13], v[6:7], v[40:41]
	v_add_f64 v[10:11], v[10:11], v[66:67]
	v_fma_f64 v[12:13], v[4:5], v[38:39], -v[12:13]
	v_mul_f64 v[4:5], v[4:5], v[40:41]
	v_fma_f64 v[6:7], v[6:7], v[38:39], v[4:5]
	v_add_f64 v[4:5], v[42:43], v[12:13]
	ds_read_b128 v[12:15], v55 offset:368
	ds_read_b128 v[38:41], v54 offset:11776
	v_add_f64 v[6:7], v[6:7], v[44:45]
	s_waitcnt lgkmcnt(0)
	v_mul_f64 v[42:43], v[14:15], v[40:41]
	v_mul_f64 v[44:45], v[12:13], v[40:41]
	v_fma_f64 v[42:43], v[12:13], v[38:39], -v[42:43]
	v_fma_f64 v[44:45], v[14:15], v[38:39], v[44:45]
	v_add_f64 v[64:65], v[46:47], v[42:43]
	v_add_f64 v[66:67], v[44:45], v[48:49]
	ds_read_b128 v[42:45], v54 offset:12032
	s_waitcnt lgkmcnt(0)
	v_mul_f64 v[46:47], v[14:15], v[44:45]
	v_fma_f64 v[46:47], v[12:13], v[42:43], -v[46:47]
	v_mul_f64 v[12:13], v[12:13], v[44:45]
	v_fma_f64 v[14:15], v[14:15], v[42:43], v[12:13]
	v_add_f64 v[12:13], v[50:51], v[46:47]
	ds_read_b128 v[46:49], v55 offset:8560
	s_waitcnt lgkmcnt(0)
	v_mul_f64 v[50:51], v[48:49], v[40:41]
	v_mul_f64 v[40:41], v[46:47], v[40:41]
	v_add_f64 v[14:15], v[14:15], v[52:53]
	v_fma_f64 v[50:51], v[46:47], v[38:39], -v[50:51]
	v_fma_f64 v[38:39], v[48:49], v[38:39], v[40:41]
	v_add_f64 v[50:51], v[8:9], v[50:51]
	v_add_f64 v[52:53], v[38:39], v[10:11]
	v_mul_f64 v[8:9], v[48:49], v[44:45]
	v_mul_f64 v[10:11], v[46:47], v[44:45]
	v_fma_f64 v[8:9], v[46:47], v[42:43], -v[8:9]
	v_fma_f64 v[10:11], v[48:49], v[42:43], v[10:11]
	v_add_f64 v[42:43], v[4:5], v[8:9]
	v_add_f64 v[44:45], v[10:11], v[6:7]
	ds_read_b128 v[4:7], v55 offset:384
	ds_read_b128 v[8:11], v54 offset:12288
	s_waitcnt lgkmcnt(0)
	v_mul_f64 v[38:39], v[6:7], v[10:11]
	v_mul_f64 v[40:41], v[4:5], v[10:11]
	v_fma_f64 v[38:39], v[4:5], v[8:9], -v[38:39]
	v_fma_f64 v[40:41], v[6:7], v[8:9], v[40:41]
	v_add_f64 v[46:47], v[64:65], v[38:39]
	v_add_f64 v[48:49], v[40:41], v[66:67]
	ds_read_b128 v[38:41], v54 offset:12544
	s_waitcnt lgkmcnt(0)
	v_mul_f64 v[64:65], v[6:7], v[40:41]
	v_fma_f64 v[64:65], v[4:5], v[38:39], -v[64:65]
	v_mul_f64 v[4:5], v[4:5], v[40:41]
	v_add_f64 v[64:65], v[12:13], v[64:65]
	v_fma_f64 v[4:5], v[6:7], v[38:39], v[4:5]
	v_add_f64 v[66:67], v[4:5], v[14:15]
	ds_read_b128 v[4:7], v55 offset:8576
	s_waitcnt lgkmcnt(0)
	v_mul_f64 v[12:13], v[6:7], v[10:11]
	v_mul_f64 v[10:11], v[4:5], v[10:11]
	v_fma_f64 v[12:13], v[4:5], v[8:9], -v[12:13]
	v_fma_f64 v[10:11], v[6:7], v[8:9], v[10:11]
	v_add_f64 v[8:9], v[50:51], v[12:13]
	v_mul_f64 v[12:13], v[6:7], v[40:41]
	v_add_f64 v[10:11], v[10:11], v[52:53]
	v_fma_f64 v[12:13], v[4:5], v[38:39], -v[12:13]
	v_mul_f64 v[4:5], v[4:5], v[40:41]
	v_fma_f64 v[6:7], v[6:7], v[38:39], v[4:5]
	v_add_f64 v[4:5], v[42:43], v[12:13]
	v_add_f64 v[6:7], v[6:7], v[44:45]
	ds_read_b128 v[12:15], v55 offset:400
	ds_read_b128 v[42:45], v54 offset:12800
	s_waitcnt lgkmcnt(0)
	v_mul_f64 v[38:39], v[14:15], v[44:45]
	v_mul_f64 v[40:41], v[12:13], v[44:45]
	v_fma_f64 v[38:39], v[12:13], v[42:43], -v[38:39]
	v_fma_f64 v[40:41], v[14:15], v[42:43], v[40:41]
	v_add_f64 v[38:39], v[46:47], v[38:39]
	v_add_f64 v[40:41], v[40:41], v[48:49]
	ds_read_b128 v[46:49], v54 offset:13056
	s_waitcnt lgkmcnt(0)
	v_mul_f64 v[50:51], v[14:15], v[48:49]
	v_fma_f64 v[50:51], v[12:13], v[46:47], -v[50:51]
	v_mul_f64 v[12:13], v[12:13], v[48:49]
	v_fma_f64 v[14:15], v[14:15], v[46:47], v[12:13]
	v_add_f64 v[12:13], v[64:65], v[50:51]
	ds_read_b128 v[50:53], v55 offset:8592
	s_waitcnt lgkmcnt(0)
	v_mul_f64 v[64:65], v[52:53], v[44:45]
	v_mul_f64 v[44:45], v[50:51], v[44:45]
	v_add_f64 v[14:15], v[14:15], v[66:67]
	v_fma_f64 v[64:65], v[50:51], v[42:43], -v[64:65]
	v_fma_f64 v[42:43], v[52:53], v[42:43], v[44:45]
	v_add_f64 v[44:45], v[8:9], v[64:65]
	v_add_f64 v[42:43], v[42:43], v[10:11]
	v_mul_f64 v[8:9], v[52:53], v[48:49]
	v_mul_f64 v[10:11], v[50:51], v[48:49]
	v_fma_f64 v[8:9], v[50:51], v[46:47], -v[8:9]
	v_fma_f64 v[10:11], v[52:53], v[46:47], v[10:11]
	v_add_f64 v[50:51], v[4:5], v[8:9]
	v_add_f64 v[52:53], v[10:11], v[6:7]
	ds_read_b128 v[4:7], v55 offset:416
	ds_read_b128 v[8:11], v54 offset:13312
	s_waitcnt lgkmcnt(0)
	v_mul_f64 v[46:47], v[6:7], v[10:11]
	v_mul_f64 v[48:49], v[4:5], v[10:11]
	v_fma_f64 v[46:47], v[4:5], v[8:9], -v[46:47]
	v_fma_f64 v[48:49], v[6:7], v[8:9], v[48:49]
	v_add_f64 v[64:65], v[38:39], v[46:47]
	v_add_f64 v[66:67], v[48:49], v[40:41]
	ds_read_b128 v[38:41], v54 offset:13568
	s_waitcnt lgkmcnt(0)
	v_mul_f64 v[46:47], v[6:7], v[40:41]
	v_fma_f64 v[46:47], v[4:5], v[38:39], -v[46:47]
	v_mul_f64 v[4:5], v[4:5], v[40:41]
	v_add_f64 v[68:69], v[12:13], v[46:47]
	v_fma_f64 v[4:5], v[6:7], v[38:39], v[4:5]
	v_add_f64 v[70:71], v[4:5], v[14:15]
	ds_read_b128 v[4:7], v55 offset:8608
	s_waitcnt lgkmcnt(0)
	v_mul_f64 v[12:13], v[6:7], v[10:11]
	v_mul_f64 v[10:11], v[4:5], v[10:11]
	v_fma_f64 v[12:13], v[4:5], v[8:9], -v[12:13]
	v_fma_f64 v[8:9], v[6:7], v[8:9], v[10:11]
	v_add_f64 v[46:47], v[44:45], v[12:13]
	v_add_f64 v[48:49], v[8:9], v[42:43]
	v_mul_f64 v[8:9], v[6:7], v[40:41]
	v_fma_f64 v[8:9], v[4:5], v[38:39], -v[8:9]
	v_mul_f64 v[4:5], v[4:5], v[40:41]
	v_fma_f64 v[4:5], v[6:7], v[38:39], v[4:5]
	v_add_f64 v[38:39], v[50:51], v[8:9]
	ds_read_b128 v[12:15], v55 offset:432
	ds_read_b128 v[8:11], v54 offset:13824
	v_add_f64 v[40:41], v[4:5], v[52:53]
	s_waitcnt lgkmcnt(0)
	v_mul_f64 v[4:5], v[14:15], v[10:11]
	v_mul_f64 v[6:7], v[12:13], v[10:11]
	v_fma_f64 v[4:5], v[12:13], v[8:9], -v[4:5]
	v_fma_f64 v[6:7], v[14:15], v[8:9], v[6:7]
	v_add_f64 v[50:51], v[64:65], v[4:5]
	v_add_f64 v[52:53], v[6:7], v[66:67]
	ds_read_b128 v[4:7], v54 offset:14080
	s_waitcnt lgkmcnt(0)
	v_mul_f64 v[42:43], v[14:15], v[6:7]
	v_fma_f64 v[42:43], v[12:13], v[4:5], -v[42:43]
	v_mul_f64 v[12:13], v[12:13], v[6:7]
	v_add_f64 v[42:43], v[68:69], v[42:43]
	v_fma_f64 v[12:13], v[14:15], v[4:5], v[12:13]
	v_add_f64 v[44:45], v[12:13], v[70:71]
	ds_read_b128 v[12:15], v55 offset:8624
	s_waitcnt lgkmcnt(0)
	v_mul_f64 v[64:65], v[14:15], v[10:11]
	v_mul_f64 v[10:11], v[12:13], v[10:11]
	v_fma_f64 v[64:65], v[12:13], v[8:9], -v[64:65]
	v_fma_f64 v[8:9], v[14:15], v[8:9], v[10:11]
	v_add_f64 v[46:47], v[46:47], v[64:65]
	v_add_f64 v[48:49], v[8:9], v[48:49]
	v_mul_f64 v[8:9], v[14:15], v[6:7]
	v_mul_f64 v[6:7], v[12:13], v[6:7]
	v_fma_f64 v[8:9], v[12:13], v[4:5], -v[8:9]
	v_fma_f64 v[4:5], v[14:15], v[4:5], v[6:7]
	v_add_f64 v[38:39], v[38:39], v[8:9]
	v_add_f64 v[40:41], v[4:5], v[40:41]
	ds_read_b128 v[4:7], v55 offset:448
	ds_read_b128 v[8:11], v54 offset:14336
	s_waitcnt lgkmcnt(0)
	v_mul_f64 v[12:13], v[6:7], v[10:11]
	v_mul_f64 v[14:15], v[4:5], v[10:11]
	v_fma_f64 v[12:13], v[4:5], v[8:9], -v[12:13]
	v_fma_f64 v[14:15], v[6:7], v[8:9], v[14:15]
	v_add_f64 v[50:51], v[50:51], v[12:13]
	v_add_f64 v[52:53], v[14:15], v[52:53]
	ds_read_b128 v[12:15], v54 offset:14592
	s_waitcnt lgkmcnt(0)
	v_mul_f64 v[64:65], v[6:7], v[14:15]
	v_fma_f64 v[64:65], v[4:5], v[12:13], -v[64:65]
	v_mul_f64 v[4:5], v[4:5], v[14:15]
	v_add_f64 v[64:65], v[42:43], v[64:65]
	v_fma_f64 v[4:5], v[6:7], v[12:13], v[4:5]
	v_add_f64 v[66:67], v[4:5], v[44:45]
	ds_read_b128 v[4:7], v55 offset:8640
	s_waitcnt lgkmcnt(0)
	v_mul_f64 v[42:43], v[6:7], v[10:11]
	v_mul_f64 v[10:11], v[4:5], v[10:11]
	v_fma_f64 v[42:43], v[4:5], v[8:9], -v[42:43]
	v_fma_f64 v[10:11], v[6:7], v[8:9], v[10:11]
	v_add_f64 v[8:9], v[46:47], v[42:43]
	v_mul_f64 v[42:43], v[6:7], v[14:15]
	v_add_f64 v[10:11], v[10:11], v[48:49]
	v_fma_f64 v[42:43], v[4:5], v[12:13], -v[42:43]
	v_mul_f64 v[4:5], v[4:5], v[14:15]
	v_fma_f64 v[6:7], v[6:7], v[12:13], v[4:5]
	v_add_f64 v[4:5], v[38:39], v[42:43]
	v_add_f64 v[6:7], v[6:7], v[40:41]
	ds_read_b128 v[12:15], v55 offset:464
	ds_read_b128 v[38:41], v54 offset:14848
	s_waitcnt lgkmcnt(0)
	v_mul_f64 v[42:43], v[14:15], v[40:41]
	v_mul_f64 v[44:45], v[12:13], v[40:41]
	v_fma_f64 v[42:43], v[12:13], v[38:39], -v[42:43]
	v_fma_f64 v[44:45], v[14:15], v[38:39], v[44:45]
	v_add_f64 v[50:51], v[50:51], v[42:43]
	v_add_f64 v[52:53], v[44:45], v[52:53]
	ds_read_b128 v[42:45], v54 offset:15104
	s_waitcnt lgkmcnt(0)
	v_mul_f64 v[46:47], v[14:15], v[44:45]
	v_fma_f64 v[46:47], v[12:13], v[42:43], -v[46:47]
	v_mul_f64 v[12:13], v[12:13], v[44:45]
	v_fma_f64 v[14:15], v[14:15], v[42:43], v[12:13]
	v_add_f64 v[12:13], v[64:65], v[46:47]
	ds_read_b128 v[46:49], v55 offset:8656
	s_waitcnt lgkmcnt(0)
	v_mul_f64 v[64:65], v[48:49], v[40:41]
	v_mul_f64 v[40:41], v[46:47], v[40:41]
	v_add_f64 v[14:15], v[14:15], v[66:67]
	v_fma_f64 v[64:65], v[46:47], v[38:39], -v[64:65]
	v_fma_f64 v[38:39], v[48:49], v[38:39], v[40:41]
	v_add_f64 v[64:65], v[8:9], v[64:65]
	v_add_f64 v[66:67], v[38:39], v[10:11]
	v_mul_f64 v[8:9], v[48:49], v[44:45]
	v_mul_f64 v[10:11], v[46:47], v[44:45]
	v_fma_f64 v[8:9], v[46:47], v[42:43], -v[8:9]
	v_fma_f64 v[10:11], v[48:49], v[42:43], v[10:11]
	v_add_f64 v[46:47], v[4:5], v[8:9]
	v_add_f64 v[48:49], v[10:11], v[6:7]
	ds_read_b128 v[4:7], v55 offset:480
	ds_read_b128 v[8:11], v54 offset:15360
	s_waitcnt lgkmcnt(0)
	v_mul_f64 v[38:39], v[6:7], v[10:11]
	v_mul_f64 v[40:41], v[4:5], v[10:11]
	v_fma_f64 v[38:39], v[4:5], v[8:9], -v[38:39]
	v_fma_f64 v[40:41], v[6:7], v[8:9], v[40:41]
	v_add_f64 v[50:51], v[50:51], v[38:39]
	v_add_f64 v[52:53], v[40:41], v[52:53]
	ds_read_b128 v[38:41], v54 offset:15616
	s_waitcnt lgkmcnt(0)
	v_mul_f64 v[42:43], v[6:7], v[40:41]
	v_fma_f64 v[42:43], v[4:5], v[38:39], -v[42:43]
	v_mul_f64 v[4:5], v[4:5], v[40:41]
	v_add_f64 v[68:69], v[12:13], v[42:43]
	v_fma_f64 v[4:5], v[6:7], v[38:39], v[4:5]
	v_add_f64 v[70:71], v[4:5], v[14:15]
	ds_read_b128 v[4:7], v55 offset:8672
	s_waitcnt lgkmcnt(0)
	v_mul_f64 v[12:13], v[6:7], v[10:11]
	v_mul_f64 v[10:11], v[4:5], v[10:11]
	v_fma_f64 v[12:13], v[4:5], v[8:9], -v[12:13]
	v_fma_f64 v[8:9], v[6:7], v[8:9], v[10:11]
	v_add_f64 v[42:43], v[64:65], v[12:13]
	v_add_f64 v[44:45], v[8:9], v[66:67]
	v_mul_f64 v[8:9], v[6:7], v[40:41]
	v_fma_f64 v[8:9], v[4:5], v[38:39], -v[8:9]
	v_mul_f64 v[4:5], v[4:5], v[40:41]
	v_add_f64 v[8:9], v[46:47], v[8:9]
	v_fma_f64 v[4:5], v[6:7], v[38:39], v[4:5]
	v_add_f64 v[10:11], v[4:5], v[48:49]
	ds_read_b128 v[12:15], v55 offset:496
	ds_read_b128 v[46:49], v54 offset:15872
	s_waitcnt lgkmcnt(0)
	v_mul_f64 v[4:5], v[14:15], v[48:49]
	v_mul_f64 v[6:7], v[12:13], v[48:49]
	v_fma_f64 v[4:5], v[12:13], v[46:47], -v[4:5]
	v_fma_f64 v[6:7], v[14:15], v[46:47], v[6:7]
	v_add_f64 v[38:39], v[50:51], v[4:5]
	v_add_f64 v[40:41], v[6:7], v[52:53]
	ds_read_b128 v[4:7], v54 offset:16128
	s_waitcnt lgkmcnt(0)
	v_mul_f64 v[50:51], v[14:15], v[6:7]
	v_fma_f64 v[50:51], v[12:13], v[4:5], -v[50:51]
	v_mul_f64 v[12:13], v[12:13], v[6:7]
	v_fma_f64 v[14:15], v[14:15], v[4:5], v[12:13]
	v_add_f64 v[12:13], v[68:69], v[50:51]
	ds_read_b128 v[50:53], v55 offset:8688
	s_waitcnt lgkmcnt(0)
	s_barrier
	buffer_gl0_inv
	v_mul_f64 v[64:65], v[52:53], v[48:49]
	v_mul_f64 v[48:49], v[50:51], v[48:49]
	v_add_f64 v[14:15], v[14:15], v[70:71]
	v_fma_f64 v[64:65], v[50:51], v[46:47], -v[64:65]
	v_fma_f64 v[46:47], v[52:53], v[46:47], v[48:49]
	v_add_f64 v[42:43], v[42:43], v[64:65]
	v_add_f64 v[44:45], v[46:47], v[44:45]
	v_mul_f64 v[46:47], v[52:53], v[6:7]
	v_mul_f64 v[6:7], v[50:51], v[6:7]
	v_fma_f64 v[46:47], v[50:51], v[4:5], -v[46:47]
	v_fma_f64 v[4:5], v[52:53], v[4:5], v[6:7]
	v_add_f64 v[48:49], v[8:9], v[46:47]
	v_add_f64 v[46:47], v[4:5], v[10:11]
	s_cbranch_scc1 .LBB118_55
.LBB118_7:                              ;   Parent Loop BB118_4 Depth=1
                                        ; =>  This Inner Loop Header: Depth=2
	v_add_co_u32 v8, s5, v1, s20
	v_add_co_ci_u32_e64 v9, null, 0, s21, s5
	v_cmp_eq_u64_e64 s8, s[20:21], v[20:21]
	v_cmp_le_i64_e64 s6, s[10:11], v[8:9]
	v_cmp_gt_i64_e64 s5, v[8:9], v[16:17]
	s_and_b32 s26, s28, s8
	v_add_co_u32 v6, s8, v58, s16
	v_add_co_ci_u32_e64 v7, null, s17, v59, s8
	s_or_b32 s9, s6, s5
	s_or_b32 s8, s9, s26
	s_nor_b32 s8, s0, s8
	s_and_saveexec_b32 s9, s8
	s_xor_b32 s8, exec_lo, s9
	s_cbranch_execz .LBB118_9
; %bb.8:                                ;   in Loop: Header=BB118_7 Depth=2
	global_load_dwordx4 v[50:53], v[6:7], off
	s_waitcnt vmcnt(0)
	v_xor_b32_e32 v53, 0x80000000, v53
	ds_write_b128 v56, v[50:53]
.LBB118_9:                              ;   in Loop: Header=BB118_7 Depth=2
	s_or_saveexec_b32 s8, s8
	s_xor_b32 s25, s26, -1
	s_xor_b32 exec_lo, exec_lo, s8
	s_cbranch_execz .LBB118_15
; %bb.10:                               ;   in Loop: Header=BB118_7 Depth=2
	s_and_saveexec_b32 s9, s25
	s_xor_b32 s9, exec_lo, s9
	s_cbranch_execz .LBB118_12
; %bb.11:                               ;   in Loop: Header=BB118_7 Depth=2
	v_mov_b32_e32 v50, v2
	v_mov_b32_e32 v51, v2
	;; [unrolled: 1-line block ×4, first 2 shown]
	ds_write_b128 v56, v[50:53]
.LBB118_12:                             ;   in Loop: Header=BB118_7 Depth=2
	s_andn2_saveexec_b32 s9, s9
; %bb.13:                               ;   in Loop: Header=BB118_7 Depth=2
	v_mov_b32_e32 v4, v2
	v_mov_b32_e32 v5, v2
	ds_write_b128 v56, v[2:5]
; %bb.14:                               ;   in Loop: Header=BB118_7 Depth=2
	s_or_b32 exec_lo, exec_lo, s9
.LBB118_15:                             ;   in Loop: Header=BB118_7 Depth=2
	s_or_b32 exec_lo, exec_lo, s8
	v_cmp_eq_u64_e64 s8, s[20:21], v[22:23]
	v_cmp_lt_i64_e64 s9, v[18:19], v[8:9]
	s_and_b32 s8, s28, s8
	s_or_b32 s6, s6, s9
	s_or_b32 s6, s6, s8
	s_nor_b32 s6, s3, s6
	s_and_saveexec_b32 s9, s6
	s_xor_b32 s9, exec_lo, s9
	s_cbranch_execz .LBB118_17
; %bb.16:                               ;   in Loop: Header=BB118_7 Depth=2
	v_add_co_u32 v4, s6, v60, s16
	v_add_co_ci_u32_e64 v5, null, s17, v61, s6
	global_load_dwordx4 v[50:53], v[4:5], off
	s_waitcnt vmcnt(0)
	v_xor_b32_e32 v53, 0x80000000, v53
	ds_write_b128 v56, v[50:53] offset:256
.LBB118_17:                             ;   in Loop: Header=BB118_7 Depth=2
	s_andn2_saveexec_b32 s6, s9
	s_cbranch_execz .LBB118_23
; %bb.18:                               ;   in Loop: Header=BB118_7 Depth=2
	s_xor_b32 s8, s8, -1
	s_and_saveexec_b32 s9, s8
	s_xor_b32 s8, exec_lo, s9
	s_cbranch_execz .LBB118_20
; %bb.19:                               ;   in Loop: Header=BB118_7 Depth=2
	v_mov_b32_e32 v50, v2
	v_mov_b32_e32 v51, v2
	v_mov_b32_e32 v52, v2
	v_mov_b32_e32 v53, v2
	ds_write_b128 v56, v[50:53] offset:256
.LBB118_20:                             ;   in Loop: Header=BB118_7 Depth=2
	s_andn2_saveexec_b32 s8, s8
; %bb.21:                               ;   in Loop: Header=BB118_7 Depth=2
	v_mov_b32_e32 v4, v2
	v_mov_b32_e32 v5, v2
	ds_write_b128 v56, v[2:5] offset:256
; %bb.22:                               ;   in Loop: Header=BB118_7 Depth=2
	s_or_b32 exec_lo, exec_lo, s8
.LBB118_23:                             ;   in Loop: Header=BB118_7 Depth=2
	s_or_b32 exec_lo, exec_lo, s6
	v_add_co_u32 v4, s6, v8, 16
	v_add_co_ci_u32_e64 v5, null, 0, v9, s6
	v_cmp_eq_u64_e64 s8, s[20:21], v[26:27]
	v_cmp_le_i64_e64 s6, s[10:11], v[4:5]
	v_cmp_gt_i64_e64 s9, v[4:5], v[16:17]
	s_and_b32 s27, s28, s8
	s_or_b32 s8, s6, s9
	s_or_b32 s8, s8, s27
	s_nor_b32 s8, s0, s8
	s_and_saveexec_b32 s9, s8
	s_xor_b32 s8, exec_lo, s9
	s_cbranch_execz .LBB118_25
; %bb.24:                               ;   in Loop: Header=BB118_7 Depth=2
	global_load_dwordx4 v[4:7], v[6:7], off offset:256
	s_waitcnt vmcnt(0)
	v_xor_b32_e32 v7, 0x80000000, v7
	ds_write_b128 v56, v[4:7] offset:8192
.LBB118_25:                             ;   in Loop: Header=BB118_7 Depth=2
	s_andn2_saveexec_b32 s8, s8
	s_cbranch_execz .LBB118_31
; %bb.26:                               ;   in Loop: Header=BB118_7 Depth=2
	s_xor_b32 s9, s27, -1
	s_and_saveexec_b32 s27, s9
	s_xor_b32 s9, exec_lo, s27
	s_cbranch_execz .LBB118_28
; %bb.27:                               ;   in Loop: Header=BB118_7 Depth=2
	v_mov_b32_e32 v4, v2
	v_mov_b32_e32 v5, v2
	;; [unrolled: 1-line block ×4, first 2 shown]
	ds_write_b128 v56, v[4:7] offset:8192
.LBB118_28:                             ;   in Loop: Header=BB118_7 Depth=2
	s_andn2_saveexec_b32 s9, s9
; %bb.29:                               ;   in Loop: Header=BB118_7 Depth=2
	v_mov_b32_e32 v4, v2
	v_mov_b32_e32 v5, v2
	ds_write_b128 v56, v[2:5] offset:8192
; %bb.30:                               ;   in Loop: Header=BB118_7 Depth=2
	s_or_b32 exec_lo, exec_lo, s9
.LBB118_31:                             ;   in Loop: Header=BB118_7 Depth=2
	s_or_b32 exec_lo, exec_lo, s8
	s_or_b32 s5, s6, s5
	s_or_b32 s5, s5, s26
	s_nor_b32 s5, s3, s5
	s_and_saveexec_b32 s6, s5
	s_xor_b32 s6, exec_lo, s6
	s_cbranch_execz .LBB118_33
; %bb.32:                               ;   in Loop: Header=BB118_7 Depth=2
	v_add_co_u32 v4, s5, v60, s16
	v_add_co_ci_u32_e64 v5, null, s17, v61, s5
	global_load_dwordx4 v[4:7], v[4:5], off offset:256
	s_waitcnt vmcnt(0)
	v_xor_b32_e32 v7, 0x80000000, v7
	ds_write_b128 v56, v[4:7] offset:8448
.LBB118_33:                             ;   in Loop: Header=BB118_7 Depth=2
	s_andn2_saveexec_b32 s5, s6
	s_cbranch_execz .LBB118_39
; %bb.34:                               ;   in Loop: Header=BB118_7 Depth=2
	s_and_saveexec_b32 s6, s25
	s_xor_b32 s6, exec_lo, s6
	s_cbranch_execz .LBB118_36
; %bb.35:                               ;   in Loop: Header=BB118_7 Depth=2
	v_mov_b32_e32 v4, v2
	v_mov_b32_e32 v5, v2
	;; [unrolled: 1-line block ×4, first 2 shown]
	ds_write_b128 v56, v[4:7] offset:8448
.LBB118_36:                             ;   in Loop: Header=BB118_7 Depth=2
	s_andn2_saveexec_b32 s6, s6
; %bb.37:                               ;   in Loop: Header=BB118_7 Depth=2
	v_mov_b32_e32 v4, v2
	v_mov_b32_e32 v5, v2
	ds_write_b128 v56, v[2:5] offset:8448
; %bb.38:                               ;   in Loop: Header=BB118_7 Depth=2
	s_or_b32 exec_lo, exec_lo, s6
.LBB118_39:                             ;   in Loop: Header=BB118_7 Depth=2
	s_or_b32 exec_lo, exec_lo, s5
	v_add_co_u32 v4, s5, v0, s20
	v_add_co_ci_u32_e64 v5, null, 0, s21, s5
	v_cmp_gt_i64_e64 s5, s[10:11], v[4:5]
	s_and_b32 s6, vcc_lo, s5
	s_xor_b32 s6, s6, -1
	s_and_saveexec_b32 s8, s6
	s_xor_b32 s6, exec_lo, s8
	s_cbranch_execz .LBB118_41
; %bb.40:                               ;   in Loop: Header=BB118_7 Depth=2
	v_mov_b32_e32 v6, v2
	v_mov_b32_e32 v7, v2
	;; [unrolled: 1-line block ×4, first 2 shown]
	ds_write_b128 v57, v[6:9]
.LBB118_41:                             ;   in Loop: Header=BB118_7 Depth=2
	s_or_saveexec_b32 s8, s6
	v_add_co_u32 v6, s6, v34, s16
	v_add_co_ci_u32_e64 v7, null, s17, v35, s6
	s_xor_b32 exec_lo, exec_lo, s8
	s_cbranch_execz .LBB118_43
; %bb.42:                               ;   in Loop: Header=BB118_7 Depth=2
	global_load_dwordx4 v[8:11], v[6:7], off offset:-256
	s_waitcnt vmcnt(0)
	ds_write2_b64 v57, v[8:9], v[10:11] offset1:1
.LBB118_43:                             ;   in Loop: Header=BB118_7 Depth=2
	s_or_b32 exec_lo, exec_lo, s8
	v_cmp_gt_i64_e64 s6, s[18:19], v[4:5]
	s_and_b32 s8, vcc_lo, s6
	s_xor_b32 s8, s8, -1
	s_and_saveexec_b32 s9, s8
	s_xor_b32 s8, exec_lo, s9
	s_cbranch_execz .LBB118_45
; %bb.44:                               ;   in Loop: Header=BB118_7 Depth=2
	v_mov_b32_e32 v4, v2
	v_mov_b32_e32 v5, v2
	;; [unrolled: 1-line block ×4, first 2 shown]
	ds_write_b128 v57, v[4:7] offset:256
                                        ; implicit-def: $vgpr6_vgpr7
.LBB118_45:                             ;   in Loop: Header=BB118_7 Depth=2
	s_andn2_saveexec_b32 s8, s8
	s_cbranch_execz .LBB118_47
; %bb.46:                               ;   in Loop: Header=BB118_7 Depth=2
	global_load_dwordx4 v[4:7], v[6:7], off
	v_add_nc_u32_e32 v8, 0x100, v57
	s_waitcnt vmcnt(0)
	ds_write2_b64 v8, v[4:5], v[6:7] offset1:1
.LBB118_47:                             ;   in Loop: Header=BB118_7 Depth=2
	s_or_b32 exec_lo, exec_lo, s8
	s_and_b32 s5, s4, s5
	s_xor_b32 s5, s5, -1
	s_and_saveexec_b32 s8, s5
	s_xor_b32 s5, exec_lo, s8
	s_cbranch_execz .LBB118_49
; %bb.48:                               ;   in Loop: Header=BB118_7 Depth=2
	v_mov_b32_e32 v4, v2
	v_mov_b32_e32 v5, v2
	;; [unrolled: 1-line block ×4, first 2 shown]
	ds_write_b128 v57, v[4:7] offset:8192
.LBB118_49:                             ;   in Loop: Header=BB118_7 Depth=2
	s_or_saveexec_b32 s8, s5
	v_add_co_u32 v4, s5, v36, s16
	v_add_co_ci_u32_e64 v5, null, s17, v37, s5
	s_xor_b32 exec_lo, exec_lo, s8
	s_cbranch_execz .LBB118_51
; %bb.50:                               ;   in Loop: Header=BB118_7 Depth=2
	global_load_dwordx4 v[6:9], v[4:5], off offset:-256
	v_add_nc_u32_e32 v10, 0x2000, v57
	s_waitcnt vmcnt(0)
	ds_write2_b64 v10, v[6:7], v[8:9] offset1:1
.LBB118_51:                             ;   in Loop: Header=BB118_7 Depth=2
	s_or_b32 exec_lo, exec_lo, s8
	s_and_b32 s5, s4, s6
	s_xor_b32 s5, s5, -1
	s_and_saveexec_b32 s6, s5
	s_xor_b32 s5, exec_lo, s6
	s_cbranch_execz .LBB118_53
; %bb.52:                               ;   in Loop: Header=BB118_7 Depth=2
	v_mov_b32_e32 v4, v2
	v_mov_b32_e32 v5, v2
	;; [unrolled: 1-line block ×4, first 2 shown]
	ds_write_b128 v57, v[4:7] offset:8448
                                        ; implicit-def: $vgpr4_vgpr5
.LBB118_53:                             ;   in Loop: Header=BB118_7 Depth=2
	s_andn2_saveexec_b32 s5, s5
	s_cbranch_execz .LBB118_6
; %bb.54:                               ;   in Loop: Header=BB118_7 Depth=2
	global_load_dwordx4 v[4:7], v[4:5], off
	v_add_nc_u32_e32 v8, 0x2100, v57
	s_waitcnt vmcnt(0)
	ds_write2_b64 v8, v[4:5], v[6:7] offset1:1
	s_branch .LBB118_6
.LBB118_55:                             ;   in Loop: Header=BB118_4 Depth=1
	v_mul_lo_u32 v6, s45, v62
	v_mul_lo_u32 v7, s44, v63
	v_mad_u64_u32 v[4:5], null, s44, v62, 0
	v_cmp_gt_i32_e32 vcc_lo, s30, v62
	v_add3_u32 v5, v5, v7, v6
	v_lshlrev_b64 v[4:5], 4, v[4:5]
	v_add_co_u32 v4, s4, s40, v4
	v_add_co_ci_u32_e64 v5, null, s41, v5, s4
	s_and_b32 s4, s1, vcc_lo
	s_and_saveexec_b32 s5, s4
	s_cbranch_execz .LBB118_57
; %bb.56:                               ;   in Loop: Header=BB118_4 Depth=1
	v_add_co_u32 v10, s4, v4, v24
	v_add_co_ci_u32_e64 v11, null, v5, v25, s4
	v_mul_f64 v[34:35], s[14:15], v[40:41]
	v_mul_f64 v[36:37], s[12:13], v[40:41]
	global_load_dwordx4 v[6:9], v[10:11], off
	v_fma_f64 v[34:35], s[12:13], v[38:39], -v[34:35]
	v_fma_f64 v[36:37], s[14:15], v[38:39], v[36:37]
	s_waitcnt vmcnt(0)
	v_add_f64 v[6:7], v[6:7], v[34:35]
	v_add_f64 v[8:9], v[36:37], v[8:9]
	global_store_dwordx4 v[10:11], v[6:9], off
.LBB118_57:                             ;   in Loop: Header=BB118_4 Depth=1
	s_or_b32 exec_lo, exec_lo, s5
	s_and_b32 s5, s2, vcc_lo
	s_and_saveexec_b32 s4, s5
	s_cbranch_execz .LBB118_59
; %bb.58:                               ;   in Loop: Header=BB118_4 Depth=1
	v_add_co_u32 v8, vcc_lo, v4, v32
	v_add_co_ci_u32_e64 v9, null, v5, v33, vcc_lo
	v_mul_f64 v[10:11], s[14:15], v[14:15]
	v_mul_f64 v[14:15], s[12:13], v[14:15]
	global_load_dwordx4 v[4:7], v[8:9], off
	v_fma_f64 v[10:11], s[12:13], v[12:13], -v[10:11]
	v_fma_f64 v[12:13], s[14:15], v[12:13], v[14:15]
	s_waitcnt vmcnt(0)
	v_add_f64 v[4:5], v[4:5], v[10:11]
	v_add_f64 v[6:7], v[12:13], v[6:7]
	global_store_dwordx4 v[8:9], v[4:7], off
.LBB118_59:                             ;   in Loop: Header=BB118_4 Depth=1
	s_or_b32 exec_lo, exec_lo, s4
	v_add_nc_u32_e32 v6, 16, v62
	v_ashrrev_i32_e32 v7, 31, v6
	v_mul_lo_u32 v8, s45, v6
	v_mad_u64_u32 v[4:5], null, s44, v6, 0
	v_cmp_gt_i32_e32 vcc_lo, s30, v6
	v_mul_lo_u32 v7, s44, v7
	v_add3_u32 v5, v5, v7, v8
	v_lshlrev_b64 v[4:5], 4, v[4:5]
	v_add_co_u32 v4, s4, s40, v4
	v_add_co_ci_u32_e64 v5, null, s41, v5, s4
	s_and_b32 s4, s1, vcc_lo
	s_and_saveexec_b32 s5, s4
	s_cbranch_execz .LBB118_61
; %bb.60:                               ;   in Loop: Header=BB118_4 Depth=1
	v_add_co_u32 v10, s4, v4, v24
	v_add_co_ci_u32_e64 v11, null, v5, v25, s4
	v_mul_f64 v[12:13], s[14:15], v[44:45]
	v_mul_f64 v[14:15], s[12:13], v[44:45]
	global_load_dwordx4 v[6:9], v[10:11], off
	v_fma_f64 v[12:13], s[12:13], v[42:43], -v[12:13]
	v_fma_f64 v[14:15], s[14:15], v[42:43], v[14:15]
	s_waitcnt vmcnt(0)
	v_add_f64 v[6:7], v[6:7], v[12:13]
	v_add_f64 v[8:9], v[14:15], v[8:9]
	global_store_dwordx4 v[10:11], v[6:9], off
.LBB118_61:                             ;   in Loop: Header=BB118_4 Depth=1
	s_or_b32 exec_lo, exec_lo, s5
	s_and_b32 s5, s2, vcc_lo
	s_and_saveexec_b32 s4, s5
	s_cbranch_execz .LBB118_3
; %bb.62:                               ;   in Loop: Header=BB118_4 Depth=1
	v_add_co_u32 v8, vcc_lo, v4, v32
	v_add_co_ci_u32_e64 v9, null, v5, v33, vcc_lo
	v_mul_f64 v[10:11], s[14:15], v[46:47]
	v_mul_f64 v[12:13], s[12:13], v[46:47]
	global_load_dwordx4 v[4:7], v[8:9], off
	v_fma_f64 v[10:11], s[12:13], v[48:49], -v[10:11]
	v_fma_f64 v[12:13], s[14:15], v[48:49], v[12:13]
	s_waitcnt vmcnt(0)
	v_add_f64 v[4:5], v[4:5], v[10:11]
	v_add_f64 v[6:7], v[12:13], v[6:7]
	global_store_dwordx4 v[8:9], v[4:7], off
	s_branch .LBB118_3
.LBB118_63:
	s_endpgm
	.section	.rodata,"a",@progbits
	.p2align	6, 0x0
	.amdhsa_kernel _ZL30rocblas_trmm_outofplace_kernelI19rocblas_complex_numIdELi32ELi2ELb1ELb1ELb1ELb1EPKS1_S2_S1_Ev17rocblas_diagonal_iiT6_lPT7_lllS7_lllPT8_llli
		.amdhsa_group_segment_fixed_size 32768
		.amdhsa_private_segment_fixed_size 0
		.amdhsa_kernarg_size 392
		.amdhsa_user_sgpr_count 6
		.amdhsa_user_sgpr_private_segment_buffer 1
		.amdhsa_user_sgpr_dispatch_ptr 0
		.amdhsa_user_sgpr_queue_ptr 0
		.amdhsa_user_sgpr_kernarg_segment_ptr 1
		.amdhsa_user_sgpr_dispatch_id 0
		.amdhsa_user_sgpr_flat_scratch_init 0
		.amdhsa_user_sgpr_private_segment_size 0
		.amdhsa_wavefront_size32 1
		.amdhsa_uses_dynamic_stack 0
		.amdhsa_system_sgpr_private_segment_wavefront_offset 0
		.amdhsa_system_sgpr_workgroup_id_x 1
		.amdhsa_system_sgpr_workgroup_id_y 1
		.amdhsa_system_sgpr_workgroup_id_z 1
		.amdhsa_system_sgpr_workgroup_info 0
		.amdhsa_system_vgpr_workitem_id 1
		.amdhsa_next_free_vgpr 80
		.amdhsa_next_free_sgpr 50
		.amdhsa_reserve_vcc 1
		.amdhsa_reserve_flat_scratch 0
		.amdhsa_float_round_mode_32 0
		.amdhsa_float_round_mode_16_64 0
		.amdhsa_float_denorm_mode_32 3
		.amdhsa_float_denorm_mode_16_64 3
		.amdhsa_dx10_clamp 1
		.amdhsa_ieee_mode 1
		.amdhsa_fp16_overflow 0
		.amdhsa_workgroup_processor_mode 1
		.amdhsa_memory_ordered 1
		.amdhsa_forward_progress 1
		.amdhsa_shared_vgpr_count 0
		.amdhsa_exception_fp_ieee_invalid_op 0
		.amdhsa_exception_fp_denorm_src 0
		.amdhsa_exception_fp_ieee_div_zero 0
		.amdhsa_exception_fp_ieee_overflow 0
		.amdhsa_exception_fp_ieee_underflow 0
		.amdhsa_exception_fp_ieee_inexact 0
		.amdhsa_exception_int_div_zero 0
	.end_amdhsa_kernel
	.section	.text._ZL30rocblas_trmm_outofplace_kernelI19rocblas_complex_numIdELi32ELi2ELb1ELb1ELb1ELb1EPKS1_S2_S1_Ev17rocblas_diagonal_iiT6_lPT7_lllS7_lllPT8_llli,"axG",@progbits,_ZL30rocblas_trmm_outofplace_kernelI19rocblas_complex_numIdELi32ELi2ELb1ELb1ELb1ELb1EPKS1_S2_S1_Ev17rocblas_diagonal_iiT6_lPT7_lllS7_lllPT8_llli,comdat
.Lfunc_end118:
	.size	_ZL30rocblas_trmm_outofplace_kernelI19rocblas_complex_numIdELi32ELi2ELb1ELb1ELb1ELb1EPKS1_S2_S1_Ev17rocblas_diagonal_iiT6_lPT7_lllS7_lllPT8_llli, .Lfunc_end118-_ZL30rocblas_trmm_outofplace_kernelI19rocblas_complex_numIdELi32ELi2ELb1ELb1ELb1ELb1EPKS1_S2_S1_Ev17rocblas_diagonal_iiT6_lPT7_lllS7_lllPT8_llli
                                        ; -- End function
	.set _ZL30rocblas_trmm_outofplace_kernelI19rocblas_complex_numIdELi32ELi2ELb1ELb1ELb1ELb1EPKS1_S2_S1_Ev17rocblas_diagonal_iiT6_lPT7_lllS7_lllPT8_llli.num_vgpr, 80
	.set _ZL30rocblas_trmm_outofplace_kernelI19rocblas_complex_numIdELi32ELi2ELb1ELb1ELb1ELb1EPKS1_S2_S1_Ev17rocblas_diagonal_iiT6_lPT7_lllS7_lllPT8_llli.num_agpr, 0
	.set _ZL30rocblas_trmm_outofplace_kernelI19rocblas_complex_numIdELi32ELi2ELb1ELb1ELb1ELb1EPKS1_S2_S1_Ev17rocblas_diagonal_iiT6_lPT7_lllS7_lllPT8_llli.numbered_sgpr, 50
	.set _ZL30rocblas_trmm_outofplace_kernelI19rocblas_complex_numIdELi32ELi2ELb1ELb1ELb1ELb1EPKS1_S2_S1_Ev17rocblas_diagonal_iiT6_lPT7_lllS7_lllPT8_llli.num_named_barrier, 0
	.set _ZL30rocblas_trmm_outofplace_kernelI19rocblas_complex_numIdELi32ELi2ELb1ELb1ELb1ELb1EPKS1_S2_S1_Ev17rocblas_diagonal_iiT6_lPT7_lllS7_lllPT8_llli.private_seg_size, 0
	.set _ZL30rocblas_trmm_outofplace_kernelI19rocblas_complex_numIdELi32ELi2ELb1ELb1ELb1ELb1EPKS1_S2_S1_Ev17rocblas_diagonal_iiT6_lPT7_lllS7_lllPT8_llli.uses_vcc, 1
	.set _ZL30rocblas_trmm_outofplace_kernelI19rocblas_complex_numIdELi32ELi2ELb1ELb1ELb1ELb1EPKS1_S2_S1_Ev17rocblas_diagonal_iiT6_lPT7_lllS7_lllPT8_llli.uses_flat_scratch, 0
	.set _ZL30rocblas_trmm_outofplace_kernelI19rocblas_complex_numIdELi32ELi2ELb1ELb1ELb1ELb1EPKS1_S2_S1_Ev17rocblas_diagonal_iiT6_lPT7_lllS7_lllPT8_llli.has_dyn_sized_stack, 0
	.set _ZL30rocblas_trmm_outofplace_kernelI19rocblas_complex_numIdELi32ELi2ELb1ELb1ELb1ELb1EPKS1_S2_S1_Ev17rocblas_diagonal_iiT6_lPT7_lllS7_lllPT8_llli.has_recursion, 0
	.set _ZL30rocblas_trmm_outofplace_kernelI19rocblas_complex_numIdELi32ELi2ELb1ELb1ELb1ELb1EPKS1_S2_S1_Ev17rocblas_diagonal_iiT6_lPT7_lllS7_lllPT8_llli.has_indirect_call, 0
	.section	.AMDGPU.csdata,"",@progbits
; Kernel info:
; codeLenInByte = 10220
; TotalNumSgprs: 52
; NumVgprs: 80
; ScratchSize: 0
; MemoryBound: 0
; FloatMode: 240
; IeeeMode: 1
; LDSByteSize: 32768 bytes/workgroup (compile time only)
; SGPRBlocks: 0
; VGPRBlocks: 9
; NumSGPRsForWavesPerEU: 52
; NumVGPRsForWavesPerEU: 80
; Occupancy: 12
; WaveLimiterHint : 0
; COMPUTE_PGM_RSRC2:SCRATCH_EN: 0
; COMPUTE_PGM_RSRC2:USER_SGPR: 6
; COMPUTE_PGM_RSRC2:TRAP_HANDLER: 0
; COMPUTE_PGM_RSRC2:TGID_X_EN: 1
; COMPUTE_PGM_RSRC2:TGID_Y_EN: 1
; COMPUTE_PGM_RSRC2:TGID_Z_EN: 1
; COMPUTE_PGM_RSRC2:TIDIG_COMP_CNT: 1
	.section	.text._ZL30rocblas_trmm_outofplace_kernelI19rocblas_complex_numIdELi32ELi2ELb1ELb1ELb1ELb1ES1_KS1_S1_Ev17rocblas_diagonal_iiT6_lPT7_lllS6_lllPT8_llli,"axG",@progbits,_ZL30rocblas_trmm_outofplace_kernelI19rocblas_complex_numIdELi32ELi2ELb1ELb1ELb1ELb1ES1_KS1_S1_Ev17rocblas_diagonal_iiT6_lPT7_lllS6_lllPT8_llli,comdat
	.globl	_ZL30rocblas_trmm_outofplace_kernelI19rocblas_complex_numIdELi32ELi2ELb1ELb1ELb1ELb1ES1_KS1_S1_Ev17rocblas_diagonal_iiT6_lPT7_lllS6_lllPT8_llli ; -- Begin function _ZL30rocblas_trmm_outofplace_kernelI19rocblas_complex_numIdELi32ELi2ELb1ELb1ELb1ELb1ES1_KS1_S1_Ev17rocblas_diagonal_iiT6_lPT7_lllS6_lllPT8_llli
	.p2align	8
	.type	_ZL30rocblas_trmm_outofplace_kernelI19rocblas_complex_numIdELi32ELi2ELb1ELb1ELb1ELb1ES1_KS1_S1_Ev17rocblas_diagonal_iiT6_lPT7_lllS6_lllPT8_llli,@function
_ZL30rocblas_trmm_outofplace_kernelI19rocblas_complex_numIdELi32ELi2ELb1ELb1ELb1ELb1ES1_KS1_S1_Ev17rocblas_diagonal_iiT6_lPT7_lllS6_lllPT8_llli: ; @_ZL30rocblas_trmm_outofplace_kernelI19rocblas_complex_numIdELi32ELi2ELb1ELb1ELb1ELb1ES1_KS1_S1_Ev17rocblas_diagonal_iiT6_lPT7_lllS6_lllPT8_llli
; %bb.0:
	s_load_dwordx4 s[28:31], s[4:5], 0x10
	s_waitcnt lgkmcnt(0)
	v_cmp_eq_f64_e64 s0, s[28:29], 0
	v_cmp_eq_f64_e64 s1, s[30:31], 0
	s_and_b32 s0, s0, s1
	s_and_b32 vcc_lo, exec_lo, s0
	s_cbranch_vccnz .LBB119_63
; %bb.1:
	s_load_dwordx4 s[44:47], s[4:5], 0x0
	s_waitcnt lgkmcnt(0)
	s_add_i32 s0, s46, -1
	s_ashr_i32 s1, s0, 31
	s_lshr_b32 s1, s1, 27
	s_add_i32 s0, s0, s1
	s_ashr_i32 s33, s0, 5
	s_cmp_gt_i32 s7, s33
	s_cbranch_scc1 .LBB119_63
; %bb.2:
	s_clause 0x2
	s_load_dwordx16 s[12:27], s[4:5], 0x28
	s_load_dwordx8 s[36:43], s[4:5], 0x68
	s_load_dword s47, s[4:5], 0x94
	v_lshlrev_b32_e32 v3, 9, v1
	v_lshlrev_b32_e32 v54, 4, v0
	;; [unrolled: 1-line block ×3, first 2 shown]
	s_mov_b32 s10, s45
	v_mov_b32_e32 v2, 0
	v_add_nc_u32_e32 v55, 0x4000, v3
	v_add_nc_u32_e32 v56, v54, v3
	v_lshl_add_u32 v30, s7, 5, v1
	v_add_nc_u32_e32 v57, v55, v54
	s_waitcnt lgkmcnt(0)
	s_mul_i32 s1, s19, s8
	s_mul_hi_u32 s2, s18, s8
	s_mul_i32 s0, s18, s8
	s_add_i32 s1, s2, s1
	s_mul_i32 s2, s43, s8
	s_lshl_b64 s[4:5], s[0:1], 4
	s_mul_hi_u32 s1, s42, s8
	s_add_u32 s3, s12, s4
	s_addc_u32 s9, s13, s5
	s_lshl_b64 s[34:35], s[14:15], 4
	s_mul_i32 s0, s42, s8
	s_add_u32 s18, s3, s34
	s_addc_u32 s19, s9, s35
	s_add_i32 s1, s1, s2
	s_mul_i32 s3, s27, s8
	s_lshl_b64 s[0:1], s[0:1], 4
	s_mul_hi_u32 s42, s26, s8
	s_add_u32 s2, s36, s0
	s_addc_u32 s9, s37, s1
	s_lshl_b64 s[0:1], s[38:39], 4
	s_add_u32 s27, s2, s0
	s_addc_u32 s36, s9, s1
	s_lshl_b32 s37, s6, 5
	s_cmp_gt_i32 s6, -1
	v_add_nc_u32_e32 v16, s37, v0
	s_cselect_b32 s38, -1, 0
	s_cmpk_eq_i32 s44, 0x84
	s_mul_i32 s2, s26, s8
	s_cselect_b32 s26, -1, 0
	v_ashrrev_i32_e32 v17, 31, v16
	v_mul_lo_u32 v6, s17, v16
	v_mad_u64_u32 v[3:4], null, s16, v16, 0
	v_add_co_u32 v18, vcc_lo, v16, 16
	v_mul_lo_u32 v8, s16, v17
	v_add_co_ci_u32_e64 v19, null, 0, v17, vcc_lo
	v_sub_co_u32 v20, vcc_lo, v16, v1
	v_subrev_co_ci_u32_e64 v21, null, 0, v17, vcc_lo
	s_ashr_i32 s11, s45, 31
	v_add3_u32 v4, v4, v8, v6
	s_ashr_i32 s39, s46, 31
	v_lshlrev_b64 v[24:25], 4, v[16:17]
	s_add_u32 s14, s45, -16
	s_addc_u32 s15, s11, -1
	v_lshlrev_b64 v[3:4], 4, v[3:4]
	s_add_i32 s3, s42, s3
	v_add_nc_u32_e32 v5, 16, v16
	s_lshl_b64 s[8:9], s[2:3], 4
	v_cmp_le_i64_e64 s3, s[10:11], v[18:19]
	v_cmp_le_i32_e64 s0, s45, v16
	v_add_co_u32 v3, vcc_lo, s18, v3
	v_add_co_ci_u32_e64 v4, null, s19, v4, vcc_lo
	s_lshl_b64 s[18:19], s[22:23], 4
	v_add_co_u32 v58, vcc_lo, v3, v7
	v_add_co_ci_u32_e64 v59, null, 0, v4, vcc_lo
	v_add_co_u32 v22, vcc_lo, v20, 16
	v_add_co_ci_u32_e64 v23, null, 0, v21, vcc_lo
	s_add_u32 s6, s8, s18
	v_add_co_u32 v8, vcc_lo, 0x100, v24
	s_addc_u32 s8, s9, s19
	s_add_u32 s6, s20, s6
	v_add_co_ci_u32_e64 v9, null, 0, v25, vcc_lo
	s_addc_u32 s8, s21, s8
	s_lshl_b64 s[18:19], s[24:25], 4
	s_lshl_b32 s20, s47, 5
	s_add_u32 s4, s34, s4
	s_addc_u32 s5, s35, s5
	v_mul_lo_u32 v9, s16, v9
	v_mad_u64_u32 v[3:4], null, s16, v8, s[4:5]
	v_mul_lo_u32 v8, s17, v8
	v_add_co_u32 v10, s4, s6, v54
	v_add_co_ci_u32_e64 v11, null, s8, 0, s4
	v_add_co_u32 v26, vcc_lo, v20, -16
	v_add_co_ci_u32_e64 v27, null, -1, v21, vcc_lo
	v_add3_u32 v4, v8, v4, v9
	v_add_co_u32 v28, vcc_lo, 0x100, v10
	v_add_co_ci_u32_e64 v29, null, 0, v11, vcc_lo
	v_add_co_u32 v3, vcc_lo, v3, v7
	v_ashrrev_i32_e32 v6, 31, v5
	v_add_co_ci_u32_e64 v4, null, 0, v4, vcc_lo
	v_add_co_u32 v60, vcc_lo, s12, v3
	v_lshlrev_b64 v[32:33], 4, v[5:6]
	v_cmp_gt_i32_e64 s1, s45, v16
	v_cmp_gt_i32_e64 s2, s45, v5
	v_add_co_ci_u32_e64 v61, null, s13, v4, vcc_lo
	v_mov_b32_e32 v3, 0x3ff00000
	s_branch .LBB119_4
.LBB119_3:                              ;   in Loop: Header=BB119_4 Depth=1
	s_or_b32 exec_lo, exec_lo, s4
	v_add_nc_u32_e32 v30, s20, v30
	s_add_i32 s7, s47, s7
	s_cmp_le_i32 s7, s33
	s_cbranch_scc0 .LBB119_63
.LBB119_4:                              ; =>This Loop Header: Depth=1
                                        ;     Child Loop BB119_7 Depth 2
	v_lshl_add_u32 v62, s7, 5, v1
	v_mov_b32_e32 v38, 0
	v_mov_b32_e32 v40, 0
	;; [unrolled: 1-line block ×16, first 2 shown]
	v_ashrrev_i32_e32 v63, 31, v62
	s_andn2_b32 vcc_lo, exec_lo, s38
	s_cbranch_vccnz .LBB119_55
; %bb.5:                                ;   in Loop: Header=BB119_4 Depth=1
	v_ashrrev_i32_e32 v31, 31, v30
	v_mad_u64_u32 v[34:35], null, s18, v30, v[28:29]
	v_mul_lo_u32 v6, s19, v30
	v_mov_b32_e32 v46, 0
	v_lshlrev_b64 v[4:5], 4, v[30:31]
	v_mul_lo_u32 v7, s18, v31
	v_mov_b32_e32 v48, 0
	v_mov_b32_e32 v44, 0
	;; [unrolled: 1-line block ×4, first 2 shown]
	v_add_co_u32 v8, vcc_lo, 0x100, v4
	v_add_co_ci_u32_e64 v9, null, 0, v5, vcc_lo
	v_sub_co_u32 v4, vcc_lo, s46, v62
	v_add3_u32 v35, v6, v35, v7
	v_mul_lo_u32 v6, s24, v9
	v_mul_lo_u32 v7, s25, v8
	v_mad_u64_u32 v[36:37], null, s24, v8, v[28:29]
	v_sub_co_ci_u32_e64 v5, null, s39, v63, vcc_lo
	v_mov_b32_e32 v12, 0
	v_mov_b32_e32 v40, 0
	;; [unrolled: 1-line block ×3, first 2 shown]
	v_cmp_lt_i64_e64 s4, 16, v[4:5]
	v_mov_b32_e32 v47, 0
	v_mov_b32_e32 v49, 0
	;; [unrolled: 1-line block ×8, first 2 shown]
	v_add3_u32 v37, v7, v37, v6
	s_mov_b64 s[12:13], 0
	s_mov_b64 s[16:17], 0
	v_cmp_lt_i64_e32 vcc_lo, 0, v[4:5]
	s_branch .LBB119_7
.LBB119_6:                              ;   in Loop: Header=BB119_7 Depth=2
	s_or_b32 exec_lo, exec_lo, s5
	s_waitcnt lgkmcnt(0)
	s_barrier
	buffer_gl0_inv
	ds_read_b128 v[50:53], v55
	ds_read_b128 v[64:67], v55 offset:16
	ds_read_b128 v[8:11], v55 offset:32
	;; [unrolled: 1-line block ×3, first 2 shown]
	ds_read_b128 v[68:71], v54
	s_add_u32 s16, s16, 32
	s_addc_u32 s17, s17, 0
	s_sub_i32 s5, s16, 32
	s_add_u32 s12, s12, 0x200
	s_addc_u32 s13, s13, 0
	s_cmp_ge_i32 s5, s37
	s_waitcnt lgkmcnt(0)
	v_mul_f64 v[72:73], v[52:53], v[70:71]
	v_mul_f64 v[74:75], v[50:51], v[70:71]
	v_fma_f64 v[72:73], v[50:51], v[68:69], -v[72:73]
	v_fma_f64 v[74:75], v[52:53], v[68:69], v[74:75]
	v_add_f64 v[72:73], v[38:39], v[72:73]
	v_add_f64 v[74:75], v[74:75], v[40:41]
	ds_read_b128 v[38:41], v54 offset:256
	s_waitcnt lgkmcnt(0)
	v_mul_f64 v[76:77], v[52:53], v[40:41]
	v_fma_f64 v[76:77], v[50:51], v[38:39], -v[76:77]
	v_mul_f64 v[50:51], v[50:51], v[40:41]
	v_fma_f64 v[50:51], v[52:53], v[38:39], v[50:51]
	v_add_f64 v[52:53], v[12:13], v[76:77]
	v_add_f64 v[50:51], v[50:51], v[14:15]
	ds_read_b128 v[12:15], v55 offset:8192
	s_waitcnt lgkmcnt(0)
	v_mul_f64 v[76:77], v[14:15], v[70:71]
	v_mul_f64 v[70:71], v[12:13], v[70:71]
	v_fma_f64 v[76:77], v[12:13], v[68:69], -v[76:77]
	v_fma_f64 v[68:69], v[14:15], v[68:69], v[70:71]
	v_add_f64 v[70:71], v[42:43], v[76:77]
	v_mul_f64 v[42:43], v[14:15], v[40:41]
	v_add_f64 v[68:69], v[68:69], v[44:45]
	v_fma_f64 v[42:43], v[12:13], v[38:39], -v[42:43]
	v_mul_f64 v[12:13], v[12:13], v[40:41]
	v_add_f64 v[76:77], v[48:49], v[42:43]
	v_fma_f64 v[12:13], v[14:15], v[38:39], v[12:13]
	ds_read_b128 v[42:45], v54 offset:512
	v_add_f64 v[78:79], v[12:13], v[46:47]
	ds_read_b128 v[46:49], v54 offset:768
	s_waitcnt lgkmcnt(1)
	v_mul_f64 v[12:13], v[66:67], v[44:45]
	v_mul_f64 v[14:15], v[64:65], v[44:45]
	v_fma_f64 v[12:13], v[64:65], v[42:43], -v[12:13]
	v_fma_f64 v[14:15], v[66:67], v[42:43], v[14:15]
	v_add_f64 v[38:39], v[72:73], v[12:13]
	v_add_f64 v[40:41], v[14:15], v[74:75]
	s_waitcnt lgkmcnt(0)
	v_mul_f64 v[12:13], v[66:67], v[48:49]
	v_mul_f64 v[14:15], v[64:65], v[48:49]
	v_fma_f64 v[12:13], v[64:65], v[46:47], -v[12:13]
	v_fma_f64 v[14:15], v[66:67], v[46:47], v[14:15]
	v_add_f64 v[12:13], v[52:53], v[12:13]
	v_add_f64 v[14:15], v[14:15], v[50:51]
	ds_read_b128 v[50:53], v55 offset:8208
	s_waitcnt lgkmcnt(0)
	v_mul_f64 v[64:65], v[52:53], v[44:45]
	v_mul_f64 v[44:45], v[50:51], v[44:45]
	v_fma_f64 v[64:65], v[50:51], v[42:43], -v[64:65]
	v_fma_f64 v[42:43], v[52:53], v[42:43], v[44:45]
	v_mul_f64 v[44:45], v[50:51], v[48:49]
	v_add_f64 v[64:65], v[70:71], v[64:65]
	v_add_f64 v[66:67], v[42:43], v[68:69]
	v_mul_f64 v[42:43], v[52:53], v[48:49]
	v_fma_f64 v[44:45], v[52:53], v[46:47], v[44:45]
	v_fma_f64 v[42:43], v[50:51], v[46:47], -v[42:43]
	v_add_f64 v[48:49], v[44:45], v[78:79]
	v_add_f64 v[46:47], v[76:77], v[42:43]
	ds_read_b128 v[42:45], v54 offset:1024
	s_waitcnt lgkmcnt(0)
	v_mul_f64 v[50:51], v[10:11], v[44:45]
	v_mul_f64 v[52:53], v[8:9], v[44:45]
	v_fma_f64 v[50:51], v[8:9], v[42:43], -v[50:51]
	v_fma_f64 v[52:53], v[10:11], v[42:43], v[52:53]
	v_add_f64 v[50:51], v[38:39], v[50:51]
	v_add_f64 v[52:53], v[52:53], v[40:41]
	ds_read_b128 v[38:41], v54 offset:1280
	s_waitcnt lgkmcnt(0)
	v_mul_f64 v[68:69], v[10:11], v[40:41]
	v_fma_f64 v[68:69], v[8:9], v[38:39], -v[68:69]
	v_mul_f64 v[8:9], v[8:9], v[40:41]
	v_add_f64 v[68:69], v[12:13], v[68:69]
	v_fma_f64 v[8:9], v[10:11], v[38:39], v[8:9]
	v_add_f64 v[70:71], v[8:9], v[14:15]
	ds_read_b128 v[8:11], v55 offset:8224
	s_waitcnt lgkmcnt(0)
	v_mul_f64 v[12:13], v[10:11], v[44:45]
	v_mul_f64 v[14:15], v[8:9], v[44:45]
	v_fma_f64 v[12:13], v[8:9], v[42:43], -v[12:13]
	v_fma_f64 v[14:15], v[10:11], v[42:43], v[14:15]
	v_add_f64 v[64:65], v[64:65], v[12:13]
	v_mul_f64 v[12:13], v[10:11], v[40:41]
	v_add_f64 v[66:67], v[14:15], v[66:67]
	v_fma_f64 v[12:13], v[8:9], v[38:39], -v[12:13]
	v_mul_f64 v[8:9], v[8:9], v[40:41]
	v_add_f64 v[46:47], v[46:47], v[12:13]
	v_fma_f64 v[8:9], v[10:11], v[38:39], v[8:9]
	ds_read_b128 v[12:15], v54 offset:1536
	ds_read_b128 v[38:41], v54 offset:1792
	s_waitcnt lgkmcnt(1)
	v_mul_f64 v[10:11], v[4:5], v[14:15]
	v_add_f64 v[48:49], v[8:9], v[48:49]
	v_mul_f64 v[8:9], v[6:7], v[14:15]
	s_waitcnt lgkmcnt(0)
	v_mul_f64 v[42:43], v[6:7], v[40:41]
	v_fma_f64 v[10:11], v[6:7], v[12:13], v[10:11]
	v_fma_f64 v[8:9], v[4:5], v[12:13], -v[8:9]
	v_fma_f64 v[42:43], v[4:5], v[38:39], -v[42:43]
	v_mul_f64 v[4:5], v[4:5], v[40:41]
	v_add_f64 v[10:11], v[10:11], v[52:53]
	v_add_f64 v[8:9], v[50:51], v[8:9]
	v_fma_f64 v[6:7], v[6:7], v[38:39], v[4:5]
	v_add_f64 v[4:5], v[68:69], v[42:43]
	ds_read_b128 v[42:45], v55 offset:8240
	s_waitcnt lgkmcnt(0)
	v_mul_f64 v[50:51], v[44:45], v[14:15]
	v_mul_f64 v[14:15], v[42:43], v[14:15]
	v_add_f64 v[6:7], v[6:7], v[70:71]
	v_fma_f64 v[50:51], v[42:43], v[12:13], -v[50:51]
	v_fma_f64 v[12:13], v[44:45], v[12:13], v[14:15]
	v_mul_f64 v[14:15], v[42:43], v[40:41]
	v_add_f64 v[50:51], v[64:65], v[50:51]
	v_add_f64 v[52:53], v[12:13], v[66:67]
	v_mul_f64 v[12:13], v[44:45], v[40:41]
	v_fma_f64 v[14:15], v[44:45], v[38:39], v[14:15]
	v_fma_f64 v[12:13], v[42:43], v[38:39], -v[12:13]
	v_add_f64 v[44:45], v[14:15], v[48:49]
	v_add_f64 v[42:43], v[46:47], v[12:13]
	ds_read_b128 v[12:15], v55 offset:64
	ds_read_b128 v[38:41], v54 offset:2048
	s_waitcnt lgkmcnt(0)
	v_mul_f64 v[46:47], v[14:15], v[40:41]
	v_mul_f64 v[48:49], v[12:13], v[40:41]
	v_fma_f64 v[46:47], v[12:13], v[38:39], -v[46:47]
	v_fma_f64 v[48:49], v[14:15], v[38:39], v[48:49]
	v_add_f64 v[46:47], v[8:9], v[46:47]
	v_add_f64 v[48:49], v[48:49], v[10:11]
	ds_read_b128 v[8:11], v54 offset:2304
	s_waitcnt lgkmcnt(0)
	v_mul_f64 v[64:65], v[14:15], v[10:11]
	v_fma_f64 v[64:65], v[12:13], v[8:9], -v[64:65]
	v_mul_f64 v[12:13], v[12:13], v[10:11]
	v_add_f64 v[64:65], v[4:5], v[64:65]
	v_fma_f64 v[12:13], v[14:15], v[8:9], v[12:13]
	v_add_f64 v[66:67], v[12:13], v[6:7]
	ds_read_b128 v[4:7], v55 offset:8256
	s_waitcnt lgkmcnt(0)
	v_mul_f64 v[12:13], v[6:7], v[40:41]
	v_mul_f64 v[14:15], v[4:5], v[40:41]
	v_fma_f64 v[12:13], v[4:5], v[38:39], -v[12:13]
	v_fma_f64 v[14:15], v[6:7], v[38:39], v[14:15]
	v_mul_f64 v[38:39], v[6:7], v[10:11]
	v_add_f64 v[12:13], v[50:51], v[12:13]
	v_add_f64 v[14:15], v[14:15], v[52:53]
	v_fma_f64 v[38:39], v[4:5], v[8:9], -v[38:39]
	v_mul_f64 v[4:5], v[4:5], v[10:11]
	v_fma_f64 v[4:5], v[6:7], v[8:9], v[4:5]
	v_add_f64 v[8:9], v[42:43], v[38:39]
	v_add_f64 v[10:11], v[4:5], v[44:45]
	ds_read_b128 v[4:7], v55 offset:80
	ds_read_b128 v[42:45], v54 offset:2560
	s_waitcnt lgkmcnt(0)
	v_mul_f64 v[38:39], v[6:7], v[44:45]
	v_mul_f64 v[40:41], v[4:5], v[44:45]
	v_fma_f64 v[38:39], v[4:5], v[42:43], -v[38:39]
	v_fma_f64 v[40:41], v[6:7], v[42:43], v[40:41]
	v_add_f64 v[38:39], v[46:47], v[38:39]
	v_add_f64 v[40:41], v[40:41], v[48:49]
	ds_read_b128 v[46:49], v54 offset:2816
	s_waitcnt lgkmcnt(0)
	v_mul_f64 v[50:51], v[6:7], v[48:49]
	v_fma_f64 v[50:51], v[4:5], v[46:47], -v[50:51]
	v_mul_f64 v[4:5], v[4:5], v[48:49]
	v_fma_f64 v[6:7], v[6:7], v[46:47], v[4:5]
	v_add_f64 v[4:5], v[64:65], v[50:51]
	ds_read_b128 v[50:53], v55 offset:8272
	s_waitcnt lgkmcnt(0)
	v_mul_f64 v[64:65], v[52:53], v[44:45]
	v_mul_f64 v[44:45], v[50:51], v[44:45]
	v_add_f64 v[6:7], v[6:7], v[66:67]
	v_fma_f64 v[64:65], v[50:51], v[42:43], -v[64:65]
	v_fma_f64 v[42:43], v[52:53], v[42:43], v[44:45]
	v_add_f64 v[44:45], v[12:13], v[64:65]
	v_add_f64 v[42:43], v[42:43], v[14:15]
	v_mul_f64 v[12:13], v[52:53], v[48:49]
	v_mul_f64 v[14:15], v[50:51], v[48:49]
	v_fma_f64 v[12:13], v[50:51], v[46:47], -v[12:13]
	v_fma_f64 v[14:15], v[52:53], v[46:47], v[14:15]
	v_add_f64 v[46:47], v[8:9], v[12:13]
	v_add_f64 v[48:49], v[14:15], v[10:11]
	ds_read_b128 v[8:11], v55 offset:96
	ds_read_b128 v[12:15], v54 offset:3072
	s_waitcnt lgkmcnt(0)
	v_mul_f64 v[50:51], v[10:11], v[14:15]
	v_mul_f64 v[52:53], v[8:9], v[14:15]
	v_fma_f64 v[50:51], v[8:9], v[12:13], -v[50:51]
	v_fma_f64 v[52:53], v[10:11], v[12:13], v[52:53]
	v_add_f64 v[50:51], v[38:39], v[50:51]
	v_add_f64 v[52:53], v[52:53], v[40:41]
	ds_read_b128 v[38:41], v54 offset:3328
	s_waitcnt lgkmcnt(0)
	v_mul_f64 v[64:65], v[10:11], v[40:41]
	v_fma_f64 v[64:65], v[8:9], v[38:39], -v[64:65]
	v_mul_f64 v[8:9], v[8:9], v[40:41]
	v_add_f64 v[64:65], v[4:5], v[64:65]
	v_fma_f64 v[8:9], v[10:11], v[38:39], v[8:9]
	v_add_f64 v[66:67], v[8:9], v[6:7]
	ds_read_b128 v[4:7], v55 offset:8288
	s_waitcnt lgkmcnt(0)
	v_mul_f64 v[8:9], v[6:7], v[14:15]
	v_mul_f64 v[10:11], v[4:5], v[14:15]
	v_fma_f64 v[8:9], v[4:5], v[12:13], -v[8:9]
	v_fma_f64 v[10:11], v[6:7], v[12:13], v[10:11]
	v_mul_f64 v[12:13], v[6:7], v[40:41]
	v_add_f64 v[8:9], v[44:45], v[8:9]
	v_add_f64 v[10:11], v[10:11], v[42:43]
	v_fma_f64 v[12:13], v[4:5], v[38:39], -v[12:13]
	v_mul_f64 v[4:5], v[4:5], v[40:41]
	v_fma_f64 v[6:7], v[6:7], v[38:39], v[4:5]
	v_add_f64 v[4:5], v[46:47], v[12:13]
	ds_read_b128 v[12:15], v55 offset:112
	ds_read_b128 v[42:45], v54 offset:3584
	s_waitcnt lgkmcnt(0)
	v_mul_f64 v[38:39], v[14:15], v[44:45]
	v_add_f64 v[6:7], v[6:7], v[48:49]
	ds_read_b128 v[46:49], v54 offset:3840
	v_mul_f64 v[40:41], v[12:13], v[44:45]
	v_fma_f64 v[38:39], v[12:13], v[42:43], -v[38:39]
	v_fma_f64 v[40:41], v[14:15], v[42:43], v[40:41]
	v_add_f64 v[38:39], v[50:51], v[38:39]
	s_waitcnt lgkmcnt(0)
	v_mul_f64 v[50:51], v[14:15], v[48:49]
	v_add_f64 v[40:41], v[40:41], v[52:53]
	v_fma_f64 v[50:51], v[12:13], v[46:47], -v[50:51]
	v_mul_f64 v[12:13], v[12:13], v[48:49]
	v_fma_f64 v[14:15], v[14:15], v[46:47], v[12:13]
	v_add_f64 v[12:13], v[64:65], v[50:51]
	ds_read_b128 v[50:53], v55 offset:8304
	s_waitcnt lgkmcnt(0)
	v_mul_f64 v[64:65], v[52:53], v[44:45]
	v_mul_f64 v[44:45], v[50:51], v[44:45]
	v_add_f64 v[14:15], v[14:15], v[66:67]
	v_fma_f64 v[64:65], v[50:51], v[42:43], -v[64:65]
	v_fma_f64 v[42:43], v[52:53], v[42:43], v[44:45]
	v_add_f64 v[44:45], v[8:9], v[64:65]
	v_add_f64 v[42:43], v[42:43], v[10:11]
	v_mul_f64 v[8:9], v[52:53], v[48:49]
	v_mul_f64 v[10:11], v[50:51], v[48:49]
	v_fma_f64 v[8:9], v[50:51], v[46:47], -v[8:9]
	v_fma_f64 v[10:11], v[52:53], v[46:47], v[10:11]
	v_add_f64 v[46:47], v[4:5], v[8:9]
	v_add_f64 v[48:49], v[10:11], v[6:7]
	ds_read_b128 v[4:7], v55 offset:128
	ds_read_b128 v[8:11], v54 offset:4096
	s_waitcnt lgkmcnt(0)
	v_mul_f64 v[50:51], v[6:7], v[10:11]
	v_mul_f64 v[52:53], v[4:5], v[10:11]
	v_fma_f64 v[50:51], v[4:5], v[8:9], -v[50:51]
	v_fma_f64 v[52:53], v[6:7], v[8:9], v[52:53]
	v_add_f64 v[50:51], v[38:39], v[50:51]
	v_add_f64 v[52:53], v[52:53], v[40:41]
	ds_read_b128 v[38:41], v54 offset:4352
	s_waitcnt lgkmcnt(0)
	v_mul_f64 v[64:65], v[6:7], v[40:41]
	v_fma_f64 v[64:65], v[4:5], v[38:39], -v[64:65]
	v_mul_f64 v[4:5], v[4:5], v[40:41]
	v_add_f64 v[64:65], v[12:13], v[64:65]
	v_fma_f64 v[4:5], v[6:7], v[38:39], v[4:5]
	v_add_f64 v[66:67], v[4:5], v[14:15]
	ds_read_b128 v[4:7], v55 offset:8320
	s_waitcnt lgkmcnt(0)
	v_mul_f64 v[12:13], v[6:7], v[10:11]
	v_mul_f64 v[10:11], v[4:5], v[10:11]
	v_fma_f64 v[12:13], v[4:5], v[8:9], -v[12:13]
	v_fma_f64 v[10:11], v[6:7], v[8:9], v[10:11]
	v_add_f64 v[8:9], v[44:45], v[12:13]
	v_mul_f64 v[12:13], v[6:7], v[40:41]
	v_add_f64 v[10:11], v[10:11], v[42:43]
	v_fma_f64 v[12:13], v[4:5], v[38:39], -v[12:13]
	v_mul_f64 v[4:5], v[4:5], v[40:41]
	v_fma_f64 v[6:7], v[6:7], v[38:39], v[4:5]
	v_add_f64 v[4:5], v[46:47], v[12:13]
	ds_read_b128 v[12:15], v55 offset:144
	ds_read_b128 v[38:41], v54 offset:4608
	s_waitcnt lgkmcnt(0)
	v_mul_f64 v[42:43], v[14:15], v[40:41]
	v_mul_f64 v[44:45], v[12:13], v[40:41]
	v_add_f64 v[6:7], v[6:7], v[48:49]
	v_fma_f64 v[42:43], v[12:13], v[38:39], -v[42:43]
	v_fma_f64 v[44:45], v[14:15], v[38:39], v[44:45]
	v_add_f64 v[50:51], v[50:51], v[42:43]
	v_add_f64 v[52:53], v[44:45], v[52:53]
	ds_read_b128 v[42:45], v54 offset:4864
	s_waitcnt lgkmcnt(0)
	v_mul_f64 v[46:47], v[14:15], v[44:45]
	v_fma_f64 v[46:47], v[12:13], v[42:43], -v[46:47]
	v_mul_f64 v[12:13], v[12:13], v[44:45]
	v_fma_f64 v[14:15], v[14:15], v[42:43], v[12:13]
	v_add_f64 v[12:13], v[64:65], v[46:47]
	ds_read_b128 v[46:49], v55 offset:8336
	s_waitcnt lgkmcnt(0)
	v_mul_f64 v[64:65], v[48:49], v[40:41]
	v_mul_f64 v[40:41], v[46:47], v[40:41]
	v_add_f64 v[14:15], v[14:15], v[66:67]
	v_fma_f64 v[64:65], v[46:47], v[38:39], -v[64:65]
	v_fma_f64 v[38:39], v[48:49], v[38:39], v[40:41]
	v_add_f64 v[64:65], v[8:9], v[64:65]
	v_add_f64 v[66:67], v[38:39], v[10:11]
	v_mul_f64 v[8:9], v[48:49], v[44:45]
	v_mul_f64 v[10:11], v[46:47], v[44:45]
	v_fma_f64 v[8:9], v[46:47], v[42:43], -v[8:9]
	v_fma_f64 v[10:11], v[48:49], v[42:43], v[10:11]
	v_add_f64 v[42:43], v[4:5], v[8:9]
	v_add_f64 v[44:45], v[10:11], v[6:7]
	ds_read_b128 v[4:7], v55 offset:160
	ds_read_b128 v[8:11], v54 offset:5120
	s_waitcnt lgkmcnt(0)
	v_mul_f64 v[38:39], v[6:7], v[10:11]
	v_mul_f64 v[40:41], v[4:5], v[10:11]
	v_fma_f64 v[38:39], v[4:5], v[8:9], -v[38:39]
	v_fma_f64 v[40:41], v[6:7], v[8:9], v[40:41]
	v_add_f64 v[46:47], v[50:51], v[38:39]
	v_add_f64 v[48:49], v[40:41], v[52:53]
	ds_read_b128 v[38:41], v54 offset:5376
	s_waitcnt lgkmcnt(0)
	v_mul_f64 v[50:51], v[6:7], v[40:41]
	v_fma_f64 v[50:51], v[4:5], v[38:39], -v[50:51]
	v_mul_f64 v[4:5], v[4:5], v[40:41]
	v_add_f64 v[50:51], v[12:13], v[50:51]
	v_fma_f64 v[4:5], v[6:7], v[38:39], v[4:5]
	v_add_f64 v[52:53], v[4:5], v[14:15]
	ds_read_b128 v[4:7], v55 offset:8352
	s_waitcnt lgkmcnt(0)
	v_mul_f64 v[12:13], v[6:7], v[10:11]
	v_mul_f64 v[10:11], v[4:5], v[10:11]
	v_fma_f64 v[12:13], v[4:5], v[8:9], -v[12:13]
	v_fma_f64 v[10:11], v[6:7], v[8:9], v[10:11]
	v_add_f64 v[8:9], v[64:65], v[12:13]
	v_mul_f64 v[12:13], v[6:7], v[40:41]
	v_add_f64 v[10:11], v[10:11], v[66:67]
	v_fma_f64 v[12:13], v[4:5], v[38:39], -v[12:13]
	v_mul_f64 v[4:5], v[4:5], v[40:41]
	v_fma_f64 v[6:7], v[6:7], v[38:39], v[4:5]
	v_add_f64 v[4:5], v[42:43], v[12:13]
	ds_read_b128 v[12:15], v55 offset:176
	ds_read_b128 v[38:41], v54 offset:5632
	v_add_f64 v[6:7], v[6:7], v[44:45]
	s_waitcnt lgkmcnt(0)
	v_mul_f64 v[42:43], v[14:15], v[40:41]
	v_mul_f64 v[44:45], v[12:13], v[40:41]
	v_fma_f64 v[42:43], v[12:13], v[38:39], -v[42:43]
	v_fma_f64 v[44:45], v[14:15], v[38:39], v[44:45]
	v_add_f64 v[64:65], v[46:47], v[42:43]
	v_add_f64 v[66:67], v[44:45], v[48:49]
	ds_read_b128 v[42:45], v54 offset:5888
	s_waitcnt lgkmcnt(0)
	v_mul_f64 v[46:47], v[14:15], v[44:45]
	v_fma_f64 v[46:47], v[12:13], v[42:43], -v[46:47]
	v_mul_f64 v[12:13], v[12:13], v[44:45]
	v_fma_f64 v[14:15], v[14:15], v[42:43], v[12:13]
	v_add_f64 v[12:13], v[50:51], v[46:47]
	ds_read_b128 v[46:49], v55 offset:8368
	s_waitcnt lgkmcnt(0)
	v_mul_f64 v[50:51], v[48:49], v[40:41]
	v_mul_f64 v[40:41], v[46:47], v[40:41]
	v_add_f64 v[14:15], v[14:15], v[52:53]
	v_fma_f64 v[50:51], v[46:47], v[38:39], -v[50:51]
	v_fma_f64 v[38:39], v[48:49], v[38:39], v[40:41]
	v_add_f64 v[50:51], v[8:9], v[50:51]
	v_add_f64 v[52:53], v[38:39], v[10:11]
	v_mul_f64 v[8:9], v[48:49], v[44:45]
	v_mul_f64 v[10:11], v[46:47], v[44:45]
	v_fma_f64 v[8:9], v[46:47], v[42:43], -v[8:9]
	v_fma_f64 v[10:11], v[48:49], v[42:43], v[10:11]
	v_add_f64 v[42:43], v[4:5], v[8:9]
	v_add_f64 v[44:45], v[10:11], v[6:7]
	ds_read_b128 v[4:7], v55 offset:192
	ds_read_b128 v[8:11], v54 offset:6144
	s_waitcnt lgkmcnt(0)
	v_mul_f64 v[38:39], v[6:7], v[10:11]
	v_mul_f64 v[40:41], v[4:5], v[10:11]
	v_fma_f64 v[38:39], v[4:5], v[8:9], -v[38:39]
	v_fma_f64 v[40:41], v[6:7], v[8:9], v[40:41]
	v_add_f64 v[46:47], v[64:65], v[38:39]
	v_add_f64 v[48:49], v[40:41], v[66:67]
	ds_read_b128 v[38:41], v54 offset:6400
	s_waitcnt lgkmcnt(0)
	v_mul_f64 v[64:65], v[6:7], v[40:41]
	v_fma_f64 v[64:65], v[4:5], v[38:39], -v[64:65]
	v_mul_f64 v[4:5], v[4:5], v[40:41]
	v_add_f64 v[64:65], v[12:13], v[64:65]
	v_fma_f64 v[4:5], v[6:7], v[38:39], v[4:5]
	v_add_f64 v[66:67], v[4:5], v[14:15]
	ds_read_b128 v[4:7], v55 offset:8384
	s_waitcnt lgkmcnt(0)
	v_mul_f64 v[12:13], v[6:7], v[10:11]
	v_mul_f64 v[10:11], v[4:5], v[10:11]
	v_fma_f64 v[12:13], v[4:5], v[8:9], -v[12:13]
	v_fma_f64 v[10:11], v[6:7], v[8:9], v[10:11]
	v_add_f64 v[8:9], v[50:51], v[12:13]
	v_mul_f64 v[12:13], v[6:7], v[40:41]
	v_add_f64 v[10:11], v[10:11], v[52:53]
	v_fma_f64 v[12:13], v[4:5], v[38:39], -v[12:13]
	v_mul_f64 v[4:5], v[4:5], v[40:41]
	v_fma_f64 v[6:7], v[6:7], v[38:39], v[4:5]
	v_add_f64 v[4:5], v[42:43], v[12:13]
	ds_read_b128 v[12:15], v55 offset:208
	ds_read_b128 v[38:41], v54 offset:6656
	v_add_f64 v[6:7], v[6:7], v[44:45]
	s_waitcnt lgkmcnt(0)
	v_mul_f64 v[42:43], v[14:15], v[40:41]
	v_mul_f64 v[44:45], v[12:13], v[40:41]
	;; [unrolled: 62-line block ×4, first 2 shown]
	v_fma_f64 v[42:43], v[12:13], v[38:39], -v[42:43]
	v_fma_f64 v[44:45], v[14:15], v[38:39], v[44:45]
	v_add_f64 v[50:51], v[46:47], v[42:43]
	v_add_f64 v[52:53], v[44:45], v[48:49]
	ds_read_b128 v[42:45], v54 offset:8960
	s_waitcnt lgkmcnt(0)
	v_mul_f64 v[46:47], v[14:15], v[44:45]
	v_fma_f64 v[46:47], v[12:13], v[42:43], -v[46:47]
	v_mul_f64 v[12:13], v[12:13], v[44:45]
	v_fma_f64 v[14:15], v[14:15], v[42:43], v[12:13]
	v_add_f64 v[12:13], v[64:65], v[46:47]
	ds_read_b128 v[46:49], v55 offset:8464
	s_waitcnt lgkmcnt(0)
	v_mul_f64 v[64:65], v[48:49], v[40:41]
	v_mul_f64 v[40:41], v[46:47], v[40:41]
	v_add_f64 v[14:15], v[14:15], v[66:67]
	v_fma_f64 v[64:65], v[46:47], v[38:39], -v[64:65]
	v_fma_f64 v[38:39], v[48:49], v[38:39], v[40:41]
	v_add_f64 v[64:65], v[8:9], v[64:65]
	v_add_f64 v[66:67], v[38:39], v[10:11]
	v_mul_f64 v[8:9], v[48:49], v[44:45]
	v_mul_f64 v[10:11], v[46:47], v[44:45]
	v_fma_f64 v[8:9], v[46:47], v[42:43], -v[8:9]
	v_fma_f64 v[10:11], v[48:49], v[42:43], v[10:11]
	v_add_f64 v[42:43], v[4:5], v[8:9]
	v_add_f64 v[44:45], v[10:11], v[6:7]
	ds_read_b128 v[4:7], v55 offset:288
	ds_read_b128 v[8:11], v54 offset:9216
	s_waitcnt lgkmcnt(0)
	v_mul_f64 v[38:39], v[6:7], v[10:11]
	v_mul_f64 v[40:41], v[4:5], v[10:11]
	v_fma_f64 v[38:39], v[4:5], v[8:9], -v[38:39]
	v_fma_f64 v[40:41], v[6:7], v[8:9], v[40:41]
	v_add_f64 v[46:47], v[50:51], v[38:39]
	v_add_f64 v[48:49], v[40:41], v[52:53]
	ds_read_b128 v[38:41], v54 offset:9472
	s_waitcnt lgkmcnt(0)
	v_mul_f64 v[50:51], v[6:7], v[40:41]
	v_fma_f64 v[50:51], v[4:5], v[38:39], -v[50:51]
	v_mul_f64 v[4:5], v[4:5], v[40:41]
	v_add_f64 v[50:51], v[12:13], v[50:51]
	v_fma_f64 v[4:5], v[6:7], v[38:39], v[4:5]
	v_add_f64 v[52:53], v[4:5], v[14:15]
	ds_read_b128 v[4:7], v55 offset:8480
	s_waitcnt lgkmcnt(0)
	v_mul_f64 v[12:13], v[6:7], v[10:11]
	v_mul_f64 v[10:11], v[4:5], v[10:11]
	v_fma_f64 v[12:13], v[4:5], v[8:9], -v[12:13]
	v_fma_f64 v[10:11], v[6:7], v[8:9], v[10:11]
	v_add_f64 v[8:9], v[64:65], v[12:13]
	v_mul_f64 v[12:13], v[6:7], v[40:41]
	v_add_f64 v[10:11], v[10:11], v[66:67]
	v_fma_f64 v[12:13], v[4:5], v[38:39], -v[12:13]
	v_mul_f64 v[4:5], v[4:5], v[40:41]
	v_fma_f64 v[6:7], v[6:7], v[38:39], v[4:5]
	v_add_f64 v[4:5], v[42:43], v[12:13]
	v_add_f64 v[6:7], v[6:7], v[44:45]
	ds_read_b128 v[12:15], v55 offset:304
	ds_read_b128 v[42:45], v54 offset:9728
	s_waitcnt lgkmcnt(0)
	v_mul_f64 v[38:39], v[14:15], v[44:45]
	v_mul_f64 v[40:41], v[12:13], v[44:45]
	v_fma_f64 v[38:39], v[12:13], v[42:43], -v[38:39]
	v_fma_f64 v[40:41], v[14:15], v[42:43], v[40:41]
	v_add_f64 v[38:39], v[46:47], v[38:39]
	v_add_f64 v[40:41], v[40:41], v[48:49]
	ds_read_b128 v[46:49], v54 offset:9984
	s_waitcnt lgkmcnt(0)
	v_mul_f64 v[64:65], v[14:15], v[48:49]
	v_fma_f64 v[64:65], v[12:13], v[46:47], -v[64:65]
	v_mul_f64 v[12:13], v[12:13], v[48:49]
	v_fma_f64 v[14:15], v[14:15], v[46:47], v[12:13]
	v_add_f64 v[12:13], v[50:51], v[64:65]
	v_add_f64 v[14:15], v[14:15], v[52:53]
	ds_read_b128 v[50:53], v55 offset:8496
	s_waitcnt lgkmcnt(0)
	v_mul_f64 v[64:65], v[52:53], v[44:45]
	v_mul_f64 v[44:45], v[50:51], v[44:45]
	v_fma_f64 v[64:65], v[50:51], v[42:43], -v[64:65]
	v_fma_f64 v[42:43], v[52:53], v[42:43], v[44:45]
	v_add_f64 v[44:45], v[8:9], v[64:65]
	v_add_f64 v[42:43], v[42:43], v[10:11]
	v_mul_f64 v[8:9], v[52:53], v[48:49]
	v_mul_f64 v[10:11], v[50:51], v[48:49]
	v_fma_f64 v[8:9], v[50:51], v[46:47], -v[8:9]
	v_fma_f64 v[10:11], v[52:53], v[46:47], v[10:11]
	v_add_f64 v[46:47], v[4:5], v[8:9]
	v_add_f64 v[48:49], v[10:11], v[6:7]
	ds_read_b128 v[4:7], v55 offset:320
	ds_read_b128 v[8:11], v54 offset:10240
	s_waitcnt lgkmcnt(0)
	v_mul_f64 v[50:51], v[6:7], v[10:11]
	v_mul_f64 v[52:53], v[4:5], v[10:11]
	v_fma_f64 v[50:51], v[4:5], v[8:9], -v[50:51]
	v_fma_f64 v[52:53], v[6:7], v[8:9], v[52:53]
	v_add_f64 v[50:51], v[38:39], v[50:51]
	v_add_f64 v[52:53], v[52:53], v[40:41]
	ds_read_b128 v[38:41], v54 offset:10496
	s_waitcnt lgkmcnt(0)
	v_mul_f64 v[64:65], v[6:7], v[40:41]
	v_fma_f64 v[64:65], v[4:5], v[38:39], -v[64:65]
	v_mul_f64 v[4:5], v[4:5], v[40:41]
	v_add_f64 v[64:65], v[12:13], v[64:65]
	v_fma_f64 v[4:5], v[6:7], v[38:39], v[4:5]
	v_add_f64 v[66:67], v[4:5], v[14:15]
	ds_read_b128 v[4:7], v55 offset:8512
	s_waitcnt lgkmcnt(0)
	v_mul_f64 v[12:13], v[6:7], v[10:11]
	v_mul_f64 v[10:11], v[4:5], v[10:11]
	v_fma_f64 v[12:13], v[4:5], v[8:9], -v[12:13]
	v_fma_f64 v[10:11], v[6:7], v[8:9], v[10:11]
	v_add_f64 v[8:9], v[44:45], v[12:13]
	v_mul_f64 v[12:13], v[6:7], v[40:41]
	v_add_f64 v[10:11], v[10:11], v[42:43]
	v_fma_f64 v[12:13], v[4:5], v[38:39], -v[12:13]
	v_mul_f64 v[4:5], v[4:5], v[40:41]
	v_fma_f64 v[6:7], v[6:7], v[38:39], v[4:5]
	v_add_f64 v[4:5], v[46:47], v[12:13]
	ds_read_b128 v[12:15], v55 offset:336
	ds_read_b128 v[38:41], v54 offset:10752
	s_waitcnt lgkmcnt(0)
	v_mul_f64 v[42:43], v[14:15], v[40:41]
	v_mul_f64 v[44:45], v[12:13], v[40:41]
	v_add_f64 v[6:7], v[6:7], v[48:49]
	v_fma_f64 v[42:43], v[12:13], v[38:39], -v[42:43]
	v_fma_f64 v[44:45], v[14:15], v[38:39], v[44:45]
	v_add_f64 v[50:51], v[50:51], v[42:43]
	v_add_f64 v[52:53], v[44:45], v[52:53]
	ds_read_b128 v[42:45], v54 offset:11008
	s_waitcnt lgkmcnt(0)
	v_mul_f64 v[46:47], v[14:15], v[44:45]
	v_fma_f64 v[46:47], v[12:13], v[42:43], -v[46:47]
	v_mul_f64 v[12:13], v[12:13], v[44:45]
	v_fma_f64 v[14:15], v[14:15], v[42:43], v[12:13]
	v_add_f64 v[12:13], v[64:65], v[46:47]
	ds_read_b128 v[46:49], v55 offset:8528
	s_waitcnt lgkmcnt(0)
	v_mul_f64 v[64:65], v[48:49], v[40:41]
	v_mul_f64 v[40:41], v[46:47], v[40:41]
	v_add_f64 v[14:15], v[14:15], v[66:67]
	v_fma_f64 v[64:65], v[46:47], v[38:39], -v[64:65]
	v_fma_f64 v[38:39], v[48:49], v[38:39], v[40:41]
	v_add_f64 v[64:65], v[8:9], v[64:65]
	v_add_f64 v[66:67], v[38:39], v[10:11]
	v_mul_f64 v[8:9], v[48:49], v[44:45]
	v_mul_f64 v[10:11], v[46:47], v[44:45]
	v_fma_f64 v[8:9], v[46:47], v[42:43], -v[8:9]
	v_fma_f64 v[10:11], v[48:49], v[42:43], v[10:11]
	v_add_f64 v[42:43], v[4:5], v[8:9]
	v_add_f64 v[44:45], v[10:11], v[6:7]
	ds_read_b128 v[4:7], v55 offset:352
	ds_read_b128 v[8:11], v54 offset:11264
	s_waitcnt lgkmcnt(0)
	v_mul_f64 v[38:39], v[6:7], v[10:11]
	v_mul_f64 v[40:41], v[4:5], v[10:11]
	v_fma_f64 v[38:39], v[4:5], v[8:9], -v[38:39]
	v_fma_f64 v[40:41], v[6:7], v[8:9], v[40:41]
	v_add_f64 v[46:47], v[50:51], v[38:39]
	v_add_f64 v[48:49], v[40:41], v[52:53]
	ds_read_b128 v[38:41], v54 offset:11520
	s_waitcnt lgkmcnt(0)
	v_mul_f64 v[50:51], v[6:7], v[40:41]
	v_fma_f64 v[50:51], v[4:5], v[38:39], -v[50:51]
	v_mul_f64 v[4:5], v[4:5], v[40:41]
	v_add_f64 v[50:51], v[12:13], v[50:51]
	v_fma_f64 v[4:5], v[6:7], v[38:39], v[4:5]
	v_add_f64 v[52:53], v[4:5], v[14:15]
	ds_read_b128 v[4:7], v55 offset:8544
	s_waitcnt lgkmcnt(0)
	v_mul_f64 v[12:13], v[6:7], v[10:11]
	v_mul_f64 v[10:11], v[4:5], v[10:11]
	v_fma_f64 v[12:13], v[4:5], v[8:9], -v[12:13]
	v_fma_f64 v[10:11], v[6:7], v[8:9], v[10:11]
	v_add_f64 v[8:9], v[64:65], v[12:13]
	v_mul_f64 v[12:13], v[6:7], v[40:41]
	v_add_f64 v[10:11], v[10:11], v[66:67]
	v_fma_f64 v[12:13], v[4:5], v[38:39], -v[12:13]
	v_mul_f64 v[4:5], v[4:5], v[40:41]
	v_fma_f64 v[6:7], v[6:7], v[38:39], v[4:5]
	v_add_f64 v[4:5], v[42:43], v[12:13]
	ds_read_b128 v[12:15], v55 offset:368
	ds_read_b128 v[38:41], v54 offset:11776
	v_add_f64 v[6:7], v[6:7], v[44:45]
	s_waitcnt lgkmcnt(0)
	v_mul_f64 v[42:43], v[14:15], v[40:41]
	v_mul_f64 v[44:45], v[12:13], v[40:41]
	v_fma_f64 v[42:43], v[12:13], v[38:39], -v[42:43]
	v_fma_f64 v[44:45], v[14:15], v[38:39], v[44:45]
	v_add_f64 v[64:65], v[46:47], v[42:43]
	v_add_f64 v[66:67], v[44:45], v[48:49]
	ds_read_b128 v[42:45], v54 offset:12032
	s_waitcnt lgkmcnt(0)
	v_mul_f64 v[46:47], v[14:15], v[44:45]
	v_fma_f64 v[46:47], v[12:13], v[42:43], -v[46:47]
	v_mul_f64 v[12:13], v[12:13], v[44:45]
	v_fma_f64 v[14:15], v[14:15], v[42:43], v[12:13]
	v_add_f64 v[12:13], v[50:51], v[46:47]
	ds_read_b128 v[46:49], v55 offset:8560
	s_waitcnt lgkmcnt(0)
	v_mul_f64 v[50:51], v[48:49], v[40:41]
	v_mul_f64 v[40:41], v[46:47], v[40:41]
	v_add_f64 v[14:15], v[14:15], v[52:53]
	v_fma_f64 v[50:51], v[46:47], v[38:39], -v[50:51]
	v_fma_f64 v[38:39], v[48:49], v[38:39], v[40:41]
	v_add_f64 v[50:51], v[8:9], v[50:51]
	v_add_f64 v[52:53], v[38:39], v[10:11]
	v_mul_f64 v[8:9], v[48:49], v[44:45]
	v_mul_f64 v[10:11], v[46:47], v[44:45]
	v_fma_f64 v[8:9], v[46:47], v[42:43], -v[8:9]
	v_fma_f64 v[10:11], v[48:49], v[42:43], v[10:11]
	v_add_f64 v[42:43], v[4:5], v[8:9]
	v_add_f64 v[44:45], v[10:11], v[6:7]
	ds_read_b128 v[4:7], v55 offset:384
	ds_read_b128 v[8:11], v54 offset:12288
	s_waitcnt lgkmcnt(0)
	v_mul_f64 v[38:39], v[6:7], v[10:11]
	v_mul_f64 v[40:41], v[4:5], v[10:11]
	v_fma_f64 v[38:39], v[4:5], v[8:9], -v[38:39]
	v_fma_f64 v[40:41], v[6:7], v[8:9], v[40:41]
	v_add_f64 v[46:47], v[64:65], v[38:39]
	v_add_f64 v[48:49], v[40:41], v[66:67]
	ds_read_b128 v[38:41], v54 offset:12544
	s_waitcnt lgkmcnt(0)
	v_mul_f64 v[64:65], v[6:7], v[40:41]
	v_fma_f64 v[64:65], v[4:5], v[38:39], -v[64:65]
	v_mul_f64 v[4:5], v[4:5], v[40:41]
	v_add_f64 v[64:65], v[12:13], v[64:65]
	v_fma_f64 v[4:5], v[6:7], v[38:39], v[4:5]
	v_add_f64 v[66:67], v[4:5], v[14:15]
	ds_read_b128 v[4:7], v55 offset:8576
	s_waitcnt lgkmcnt(0)
	v_mul_f64 v[12:13], v[6:7], v[10:11]
	v_mul_f64 v[10:11], v[4:5], v[10:11]
	v_fma_f64 v[12:13], v[4:5], v[8:9], -v[12:13]
	v_fma_f64 v[10:11], v[6:7], v[8:9], v[10:11]
	v_add_f64 v[8:9], v[50:51], v[12:13]
	v_mul_f64 v[12:13], v[6:7], v[40:41]
	v_add_f64 v[10:11], v[10:11], v[52:53]
	v_fma_f64 v[12:13], v[4:5], v[38:39], -v[12:13]
	v_mul_f64 v[4:5], v[4:5], v[40:41]
	v_fma_f64 v[6:7], v[6:7], v[38:39], v[4:5]
	v_add_f64 v[4:5], v[42:43], v[12:13]
	v_add_f64 v[6:7], v[6:7], v[44:45]
	ds_read_b128 v[12:15], v55 offset:400
	ds_read_b128 v[42:45], v54 offset:12800
	s_waitcnt lgkmcnt(0)
	v_mul_f64 v[38:39], v[14:15], v[44:45]
	v_mul_f64 v[40:41], v[12:13], v[44:45]
	v_fma_f64 v[38:39], v[12:13], v[42:43], -v[38:39]
	v_fma_f64 v[40:41], v[14:15], v[42:43], v[40:41]
	v_add_f64 v[38:39], v[46:47], v[38:39]
	v_add_f64 v[40:41], v[40:41], v[48:49]
	ds_read_b128 v[46:49], v54 offset:13056
	s_waitcnt lgkmcnt(0)
	v_mul_f64 v[50:51], v[14:15], v[48:49]
	v_fma_f64 v[50:51], v[12:13], v[46:47], -v[50:51]
	v_mul_f64 v[12:13], v[12:13], v[48:49]
	v_fma_f64 v[14:15], v[14:15], v[46:47], v[12:13]
	v_add_f64 v[12:13], v[64:65], v[50:51]
	ds_read_b128 v[50:53], v55 offset:8592
	s_waitcnt lgkmcnt(0)
	v_mul_f64 v[64:65], v[52:53], v[44:45]
	v_mul_f64 v[44:45], v[50:51], v[44:45]
	v_add_f64 v[14:15], v[14:15], v[66:67]
	v_fma_f64 v[64:65], v[50:51], v[42:43], -v[64:65]
	v_fma_f64 v[42:43], v[52:53], v[42:43], v[44:45]
	v_add_f64 v[44:45], v[8:9], v[64:65]
	v_add_f64 v[42:43], v[42:43], v[10:11]
	v_mul_f64 v[8:9], v[52:53], v[48:49]
	v_mul_f64 v[10:11], v[50:51], v[48:49]
	v_fma_f64 v[8:9], v[50:51], v[46:47], -v[8:9]
	v_fma_f64 v[10:11], v[52:53], v[46:47], v[10:11]
	v_add_f64 v[50:51], v[4:5], v[8:9]
	v_add_f64 v[52:53], v[10:11], v[6:7]
	ds_read_b128 v[4:7], v55 offset:416
	ds_read_b128 v[8:11], v54 offset:13312
	s_waitcnt lgkmcnt(0)
	v_mul_f64 v[46:47], v[6:7], v[10:11]
	v_mul_f64 v[48:49], v[4:5], v[10:11]
	v_fma_f64 v[46:47], v[4:5], v[8:9], -v[46:47]
	v_fma_f64 v[48:49], v[6:7], v[8:9], v[48:49]
	v_add_f64 v[64:65], v[38:39], v[46:47]
	v_add_f64 v[66:67], v[48:49], v[40:41]
	ds_read_b128 v[38:41], v54 offset:13568
	s_waitcnt lgkmcnt(0)
	v_mul_f64 v[46:47], v[6:7], v[40:41]
	v_fma_f64 v[46:47], v[4:5], v[38:39], -v[46:47]
	v_mul_f64 v[4:5], v[4:5], v[40:41]
	v_add_f64 v[68:69], v[12:13], v[46:47]
	v_fma_f64 v[4:5], v[6:7], v[38:39], v[4:5]
	v_add_f64 v[70:71], v[4:5], v[14:15]
	ds_read_b128 v[4:7], v55 offset:8608
	s_waitcnt lgkmcnt(0)
	v_mul_f64 v[12:13], v[6:7], v[10:11]
	v_mul_f64 v[10:11], v[4:5], v[10:11]
	v_fma_f64 v[12:13], v[4:5], v[8:9], -v[12:13]
	v_fma_f64 v[8:9], v[6:7], v[8:9], v[10:11]
	v_add_f64 v[46:47], v[44:45], v[12:13]
	v_add_f64 v[48:49], v[8:9], v[42:43]
	v_mul_f64 v[8:9], v[6:7], v[40:41]
	v_fma_f64 v[8:9], v[4:5], v[38:39], -v[8:9]
	v_mul_f64 v[4:5], v[4:5], v[40:41]
	v_fma_f64 v[4:5], v[6:7], v[38:39], v[4:5]
	v_add_f64 v[38:39], v[50:51], v[8:9]
	ds_read_b128 v[12:15], v55 offset:432
	ds_read_b128 v[8:11], v54 offset:13824
	v_add_f64 v[40:41], v[4:5], v[52:53]
	s_waitcnt lgkmcnt(0)
	v_mul_f64 v[4:5], v[14:15], v[10:11]
	v_mul_f64 v[6:7], v[12:13], v[10:11]
	v_fma_f64 v[4:5], v[12:13], v[8:9], -v[4:5]
	v_fma_f64 v[6:7], v[14:15], v[8:9], v[6:7]
	v_add_f64 v[50:51], v[64:65], v[4:5]
	v_add_f64 v[52:53], v[6:7], v[66:67]
	ds_read_b128 v[4:7], v54 offset:14080
	s_waitcnt lgkmcnt(0)
	v_mul_f64 v[42:43], v[14:15], v[6:7]
	v_fma_f64 v[42:43], v[12:13], v[4:5], -v[42:43]
	v_mul_f64 v[12:13], v[12:13], v[6:7]
	v_add_f64 v[42:43], v[68:69], v[42:43]
	v_fma_f64 v[12:13], v[14:15], v[4:5], v[12:13]
	v_add_f64 v[44:45], v[12:13], v[70:71]
	ds_read_b128 v[12:15], v55 offset:8624
	s_waitcnt lgkmcnt(0)
	v_mul_f64 v[64:65], v[14:15], v[10:11]
	v_mul_f64 v[10:11], v[12:13], v[10:11]
	v_fma_f64 v[64:65], v[12:13], v[8:9], -v[64:65]
	v_fma_f64 v[8:9], v[14:15], v[8:9], v[10:11]
	v_add_f64 v[46:47], v[46:47], v[64:65]
	v_add_f64 v[48:49], v[8:9], v[48:49]
	v_mul_f64 v[8:9], v[14:15], v[6:7]
	v_mul_f64 v[6:7], v[12:13], v[6:7]
	v_fma_f64 v[8:9], v[12:13], v[4:5], -v[8:9]
	v_fma_f64 v[4:5], v[14:15], v[4:5], v[6:7]
	v_add_f64 v[38:39], v[38:39], v[8:9]
	v_add_f64 v[40:41], v[4:5], v[40:41]
	ds_read_b128 v[4:7], v55 offset:448
	ds_read_b128 v[8:11], v54 offset:14336
	s_waitcnt lgkmcnt(0)
	v_mul_f64 v[12:13], v[6:7], v[10:11]
	v_mul_f64 v[14:15], v[4:5], v[10:11]
	v_fma_f64 v[12:13], v[4:5], v[8:9], -v[12:13]
	v_fma_f64 v[14:15], v[6:7], v[8:9], v[14:15]
	v_add_f64 v[50:51], v[50:51], v[12:13]
	v_add_f64 v[52:53], v[14:15], v[52:53]
	ds_read_b128 v[12:15], v54 offset:14592
	s_waitcnt lgkmcnt(0)
	v_mul_f64 v[64:65], v[6:7], v[14:15]
	v_fma_f64 v[64:65], v[4:5], v[12:13], -v[64:65]
	v_mul_f64 v[4:5], v[4:5], v[14:15]
	v_add_f64 v[64:65], v[42:43], v[64:65]
	v_fma_f64 v[4:5], v[6:7], v[12:13], v[4:5]
	v_add_f64 v[66:67], v[4:5], v[44:45]
	ds_read_b128 v[4:7], v55 offset:8640
	s_waitcnt lgkmcnt(0)
	v_mul_f64 v[42:43], v[6:7], v[10:11]
	v_mul_f64 v[10:11], v[4:5], v[10:11]
	v_fma_f64 v[42:43], v[4:5], v[8:9], -v[42:43]
	v_fma_f64 v[10:11], v[6:7], v[8:9], v[10:11]
	v_add_f64 v[8:9], v[46:47], v[42:43]
	v_mul_f64 v[42:43], v[6:7], v[14:15]
	v_add_f64 v[10:11], v[10:11], v[48:49]
	v_fma_f64 v[42:43], v[4:5], v[12:13], -v[42:43]
	v_mul_f64 v[4:5], v[4:5], v[14:15]
	v_fma_f64 v[6:7], v[6:7], v[12:13], v[4:5]
	v_add_f64 v[4:5], v[38:39], v[42:43]
	v_add_f64 v[6:7], v[6:7], v[40:41]
	ds_read_b128 v[12:15], v55 offset:464
	ds_read_b128 v[38:41], v54 offset:14848
	s_waitcnt lgkmcnt(0)
	v_mul_f64 v[42:43], v[14:15], v[40:41]
	v_mul_f64 v[44:45], v[12:13], v[40:41]
	v_fma_f64 v[42:43], v[12:13], v[38:39], -v[42:43]
	v_fma_f64 v[44:45], v[14:15], v[38:39], v[44:45]
	v_add_f64 v[50:51], v[50:51], v[42:43]
	v_add_f64 v[52:53], v[44:45], v[52:53]
	ds_read_b128 v[42:45], v54 offset:15104
	s_waitcnt lgkmcnt(0)
	v_mul_f64 v[46:47], v[14:15], v[44:45]
	v_fma_f64 v[46:47], v[12:13], v[42:43], -v[46:47]
	v_mul_f64 v[12:13], v[12:13], v[44:45]
	v_fma_f64 v[14:15], v[14:15], v[42:43], v[12:13]
	v_add_f64 v[12:13], v[64:65], v[46:47]
	ds_read_b128 v[46:49], v55 offset:8656
	s_waitcnt lgkmcnt(0)
	v_mul_f64 v[64:65], v[48:49], v[40:41]
	v_mul_f64 v[40:41], v[46:47], v[40:41]
	v_add_f64 v[14:15], v[14:15], v[66:67]
	v_fma_f64 v[64:65], v[46:47], v[38:39], -v[64:65]
	v_fma_f64 v[38:39], v[48:49], v[38:39], v[40:41]
	v_add_f64 v[64:65], v[8:9], v[64:65]
	v_add_f64 v[66:67], v[38:39], v[10:11]
	v_mul_f64 v[8:9], v[48:49], v[44:45]
	v_mul_f64 v[10:11], v[46:47], v[44:45]
	v_fma_f64 v[8:9], v[46:47], v[42:43], -v[8:9]
	v_fma_f64 v[10:11], v[48:49], v[42:43], v[10:11]
	v_add_f64 v[46:47], v[4:5], v[8:9]
	v_add_f64 v[48:49], v[10:11], v[6:7]
	ds_read_b128 v[4:7], v55 offset:480
	ds_read_b128 v[8:11], v54 offset:15360
	s_waitcnt lgkmcnt(0)
	v_mul_f64 v[38:39], v[6:7], v[10:11]
	v_mul_f64 v[40:41], v[4:5], v[10:11]
	v_fma_f64 v[38:39], v[4:5], v[8:9], -v[38:39]
	v_fma_f64 v[40:41], v[6:7], v[8:9], v[40:41]
	v_add_f64 v[50:51], v[50:51], v[38:39]
	v_add_f64 v[52:53], v[40:41], v[52:53]
	ds_read_b128 v[38:41], v54 offset:15616
	s_waitcnt lgkmcnt(0)
	v_mul_f64 v[42:43], v[6:7], v[40:41]
	v_fma_f64 v[42:43], v[4:5], v[38:39], -v[42:43]
	v_mul_f64 v[4:5], v[4:5], v[40:41]
	v_add_f64 v[68:69], v[12:13], v[42:43]
	v_fma_f64 v[4:5], v[6:7], v[38:39], v[4:5]
	v_add_f64 v[70:71], v[4:5], v[14:15]
	ds_read_b128 v[4:7], v55 offset:8672
	s_waitcnt lgkmcnt(0)
	v_mul_f64 v[12:13], v[6:7], v[10:11]
	v_mul_f64 v[10:11], v[4:5], v[10:11]
	v_fma_f64 v[12:13], v[4:5], v[8:9], -v[12:13]
	v_fma_f64 v[8:9], v[6:7], v[8:9], v[10:11]
	v_add_f64 v[42:43], v[64:65], v[12:13]
	v_add_f64 v[44:45], v[8:9], v[66:67]
	v_mul_f64 v[8:9], v[6:7], v[40:41]
	v_fma_f64 v[8:9], v[4:5], v[38:39], -v[8:9]
	v_mul_f64 v[4:5], v[4:5], v[40:41]
	v_add_f64 v[8:9], v[46:47], v[8:9]
	v_fma_f64 v[4:5], v[6:7], v[38:39], v[4:5]
	v_add_f64 v[10:11], v[4:5], v[48:49]
	ds_read_b128 v[12:15], v55 offset:496
	ds_read_b128 v[46:49], v54 offset:15872
	s_waitcnt lgkmcnt(0)
	v_mul_f64 v[4:5], v[14:15], v[48:49]
	v_mul_f64 v[6:7], v[12:13], v[48:49]
	v_fma_f64 v[4:5], v[12:13], v[46:47], -v[4:5]
	v_fma_f64 v[6:7], v[14:15], v[46:47], v[6:7]
	v_add_f64 v[38:39], v[50:51], v[4:5]
	v_add_f64 v[40:41], v[6:7], v[52:53]
	ds_read_b128 v[4:7], v54 offset:16128
	s_waitcnt lgkmcnt(0)
	v_mul_f64 v[50:51], v[14:15], v[6:7]
	v_fma_f64 v[50:51], v[12:13], v[4:5], -v[50:51]
	v_mul_f64 v[12:13], v[12:13], v[6:7]
	v_fma_f64 v[14:15], v[14:15], v[4:5], v[12:13]
	v_add_f64 v[12:13], v[68:69], v[50:51]
	ds_read_b128 v[50:53], v55 offset:8688
	s_waitcnt lgkmcnt(0)
	s_barrier
	buffer_gl0_inv
	v_mul_f64 v[64:65], v[52:53], v[48:49]
	v_mul_f64 v[48:49], v[50:51], v[48:49]
	v_add_f64 v[14:15], v[14:15], v[70:71]
	v_fma_f64 v[64:65], v[50:51], v[46:47], -v[64:65]
	v_fma_f64 v[46:47], v[52:53], v[46:47], v[48:49]
	v_add_f64 v[42:43], v[42:43], v[64:65]
	v_add_f64 v[44:45], v[46:47], v[44:45]
	v_mul_f64 v[46:47], v[52:53], v[6:7]
	v_mul_f64 v[6:7], v[50:51], v[6:7]
	v_fma_f64 v[46:47], v[50:51], v[4:5], -v[46:47]
	v_fma_f64 v[4:5], v[52:53], v[4:5], v[6:7]
	v_add_f64 v[48:49], v[8:9], v[46:47]
	v_add_f64 v[46:47], v[4:5], v[10:11]
	s_cbranch_scc1 .LBB119_55
.LBB119_7:                              ;   Parent Loop BB119_4 Depth=1
                                        ; =>  This Inner Loop Header: Depth=2
	v_add_co_u32 v8, s5, v1, s16
	v_add_co_ci_u32_e64 v9, null, 0, s17, s5
	v_cmp_eq_u64_e64 s8, s[16:17], v[20:21]
	v_cmp_le_i64_e64 s6, s[10:11], v[8:9]
	v_cmp_gt_i64_e64 s5, v[8:9], v[16:17]
	s_and_b32 s22, s26, s8
	v_add_co_u32 v6, s8, v58, s12
	v_add_co_ci_u32_e64 v7, null, s13, v59, s8
	s_or_b32 s9, s6, s5
	s_or_b32 s8, s9, s22
	s_nor_b32 s8, s0, s8
	s_and_saveexec_b32 s9, s8
	s_xor_b32 s8, exec_lo, s9
	s_cbranch_execz .LBB119_9
; %bb.8:                                ;   in Loop: Header=BB119_7 Depth=2
	global_load_dwordx4 v[50:53], v[6:7], off
	s_waitcnt vmcnt(0)
	v_xor_b32_e32 v53, 0x80000000, v53
	ds_write_b128 v56, v[50:53]
.LBB119_9:                              ;   in Loop: Header=BB119_7 Depth=2
	s_or_saveexec_b32 s8, s8
	s_xor_b32 s21, s22, -1
	s_xor_b32 exec_lo, exec_lo, s8
	s_cbranch_execz .LBB119_15
; %bb.10:                               ;   in Loop: Header=BB119_7 Depth=2
	s_and_saveexec_b32 s9, s21
	s_xor_b32 s9, exec_lo, s9
	s_cbranch_execz .LBB119_12
; %bb.11:                               ;   in Loop: Header=BB119_7 Depth=2
	v_mov_b32_e32 v50, v2
	v_mov_b32_e32 v51, v2
	;; [unrolled: 1-line block ×4, first 2 shown]
	ds_write_b128 v56, v[50:53]
.LBB119_12:                             ;   in Loop: Header=BB119_7 Depth=2
	s_andn2_saveexec_b32 s9, s9
; %bb.13:                               ;   in Loop: Header=BB119_7 Depth=2
	v_mov_b32_e32 v4, v2
	v_mov_b32_e32 v5, v2
	ds_write_b128 v56, v[2:5]
; %bb.14:                               ;   in Loop: Header=BB119_7 Depth=2
	s_or_b32 exec_lo, exec_lo, s9
.LBB119_15:                             ;   in Loop: Header=BB119_7 Depth=2
	s_or_b32 exec_lo, exec_lo, s8
	v_cmp_eq_u64_e64 s8, s[16:17], v[22:23]
	v_cmp_lt_i64_e64 s9, v[18:19], v[8:9]
	s_and_b32 s8, s26, s8
	s_or_b32 s6, s6, s9
	s_or_b32 s6, s6, s8
	s_nor_b32 s6, s3, s6
	s_and_saveexec_b32 s9, s6
	s_xor_b32 s9, exec_lo, s9
	s_cbranch_execz .LBB119_17
; %bb.16:                               ;   in Loop: Header=BB119_7 Depth=2
	v_add_co_u32 v4, s6, v60, s12
	v_add_co_ci_u32_e64 v5, null, s13, v61, s6
	global_load_dwordx4 v[50:53], v[4:5], off
	s_waitcnt vmcnt(0)
	v_xor_b32_e32 v53, 0x80000000, v53
	ds_write_b128 v56, v[50:53] offset:256
.LBB119_17:                             ;   in Loop: Header=BB119_7 Depth=2
	s_andn2_saveexec_b32 s6, s9
	s_cbranch_execz .LBB119_23
; %bb.18:                               ;   in Loop: Header=BB119_7 Depth=2
	s_xor_b32 s8, s8, -1
	s_and_saveexec_b32 s9, s8
	s_xor_b32 s8, exec_lo, s9
	s_cbranch_execz .LBB119_20
; %bb.19:                               ;   in Loop: Header=BB119_7 Depth=2
	v_mov_b32_e32 v50, v2
	v_mov_b32_e32 v51, v2
	;; [unrolled: 1-line block ×4, first 2 shown]
	ds_write_b128 v56, v[50:53] offset:256
.LBB119_20:                             ;   in Loop: Header=BB119_7 Depth=2
	s_andn2_saveexec_b32 s8, s8
; %bb.21:                               ;   in Loop: Header=BB119_7 Depth=2
	v_mov_b32_e32 v4, v2
	v_mov_b32_e32 v5, v2
	ds_write_b128 v56, v[2:5] offset:256
; %bb.22:                               ;   in Loop: Header=BB119_7 Depth=2
	s_or_b32 exec_lo, exec_lo, s8
.LBB119_23:                             ;   in Loop: Header=BB119_7 Depth=2
	s_or_b32 exec_lo, exec_lo, s6
	v_add_co_u32 v4, s6, v8, 16
	v_add_co_ci_u32_e64 v5, null, 0, v9, s6
	v_cmp_eq_u64_e64 s8, s[16:17], v[26:27]
	v_cmp_le_i64_e64 s6, s[10:11], v[4:5]
	v_cmp_gt_i64_e64 s9, v[4:5], v[16:17]
	s_and_b32 s23, s26, s8
	s_or_b32 s8, s6, s9
	s_or_b32 s8, s8, s23
	s_nor_b32 s8, s0, s8
	s_and_saveexec_b32 s9, s8
	s_xor_b32 s8, exec_lo, s9
	s_cbranch_execz .LBB119_25
; %bb.24:                               ;   in Loop: Header=BB119_7 Depth=2
	global_load_dwordx4 v[4:7], v[6:7], off offset:256
	s_waitcnt vmcnt(0)
	v_xor_b32_e32 v7, 0x80000000, v7
	ds_write_b128 v56, v[4:7] offset:8192
.LBB119_25:                             ;   in Loop: Header=BB119_7 Depth=2
	s_andn2_saveexec_b32 s8, s8
	s_cbranch_execz .LBB119_31
; %bb.26:                               ;   in Loop: Header=BB119_7 Depth=2
	s_xor_b32 s9, s23, -1
	s_and_saveexec_b32 s23, s9
	s_xor_b32 s9, exec_lo, s23
	s_cbranch_execz .LBB119_28
; %bb.27:                               ;   in Loop: Header=BB119_7 Depth=2
	v_mov_b32_e32 v4, v2
	v_mov_b32_e32 v5, v2
	;; [unrolled: 1-line block ×4, first 2 shown]
	ds_write_b128 v56, v[4:7] offset:8192
.LBB119_28:                             ;   in Loop: Header=BB119_7 Depth=2
	s_andn2_saveexec_b32 s9, s9
; %bb.29:                               ;   in Loop: Header=BB119_7 Depth=2
	v_mov_b32_e32 v4, v2
	v_mov_b32_e32 v5, v2
	ds_write_b128 v56, v[2:5] offset:8192
; %bb.30:                               ;   in Loop: Header=BB119_7 Depth=2
	s_or_b32 exec_lo, exec_lo, s9
.LBB119_31:                             ;   in Loop: Header=BB119_7 Depth=2
	s_or_b32 exec_lo, exec_lo, s8
	s_or_b32 s5, s6, s5
	s_or_b32 s5, s5, s22
	s_nor_b32 s5, s3, s5
	s_and_saveexec_b32 s6, s5
	s_xor_b32 s6, exec_lo, s6
	s_cbranch_execz .LBB119_33
; %bb.32:                               ;   in Loop: Header=BB119_7 Depth=2
	v_add_co_u32 v4, s5, v60, s12
	v_add_co_ci_u32_e64 v5, null, s13, v61, s5
	global_load_dwordx4 v[4:7], v[4:5], off offset:256
	s_waitcnt vmcnt(0)
	v_xor_b32_e32 v7, 0x80000000, v7
	ds_write_b128 v56, v[4:7] offset:8448
.LBB119_33:                             ;   in Loop: Header=BB119_7 Depth=2
	s_andn2_saveexec_b32 s5, s6
	s_cbranch_execz .LBB119_39
; %bb.34:                               ;   in Loop: Header=BB119_7 Depth=2
	s_and_saveexec_b32 s6, s21
	s_xor_b32 s6, exec_lo, s6
	s_cbranch_execz .LBB119_36
; %bb.35:                               ;   in Loop: Header=BB119_7 Depth=2
	v_mov_b32_e32 v4, v2
	v_mov_b32_e32 v5, v2
	;; [unrolled: 1-line block ×4, first 2 shown]
	ds_write_b128 v56, v[4:7] offset:8448
.LBB119_36:                             ;   in Loop: Header=BB119_7 Depth=2
	s_andn2_saveexec_b32 s6, s6
; %bb.37:                               ;   in Loop: Header=BB119_7 Depth=2
	v_mov_b32_e32 v4, v2
	v_mov_b32_e32 v5, v2
	ds_write_b128 v56, v[2:5] offset:8448
; %bb.38:                               ;   in Loop: Header=BB119_7 Depth=2
	s_or_b32 exec_lo, exec_lo, s6
.LBB119_39:                             ;   in Loop: Header=BB119_7 Depth=2
	s_or_b32 exec_lo, exec_lo, s5
	v_add_co_u32 v4, s5, v0, s16
	v_add_co_ci_u32_e64 v5, null, 0, s17, s5
	v_cmp_gt_i64_e64 s5, s[10:11], v[4:5]
	s_and_b32 s6, vcc_lo, s5
	s_xor_b32 s6, s6, -1
	s_and_saveexec_b32 s8, s6
	s_xor_b32 s6, exec_lo, s8
	s_cbranch_execz .LBB119_41
; %bb.40:                               ;   in Loop: Header=BB119_7 Depth=2
	v_mov_b32_e32 v6, v2
	v_mov_b32_e32 v7, v2
	;; [unrolled: 1-line block ×4, first 2 shown]
	ds_write_b128 v57, v[6:9]
.LBB119_41:                             ;   in Loop: Header=BB119_7 Depth=2
	s_or_saveexec_b32 s8, s6
	v_add_co_u32 v6, s6, v34, s12
	v_add_co_ci_u32_e64 v7, null, s13, v35, s6
	s_xor_b32 exec_lo, exec_lo, s8
	s_cbranch_execz .LBB119_43
; %bb.42:                               ;   in Loop: Header=BB119_7 Depth=2
	global_load_dwordx4 v[8:11], v[6:7], off offset:-256
	s_waitcnt vmcnt(0)
	ds_write2_b64 v57, v[8:9], v[10:11] offset1:1
.LBB119_43:                             ;   in Loop: Header=BB119_7 Depth=2
	s_or_b32 exec_lo, exec_lo, s8
	v_cmp_gt_i64_e64 s6, s[14:15], v[4:5]
	s_and_b32 s8, vcc_lo, s6
	s_xor_b32 s8, s8, -1
	s_and_saveexec_b32 s9, s8
	s_xor_b32 s8, exec_lo, s9
	s_cbranch_execz .LBB119_45
; %bb.44:                               ;   in Loop: Header=BB119_7 Depth=2
	v_mov_b32_e32 v4, v2
	v_mov_b32_e32 v5, v2
	;; [unrolled: 1-line block ×4, first 2 shown]
	ds_write_b128 v57, v[4:7] offset:256
                                        ; implicit-def: $vgpr6_vgpr7
.LBB119_45:                             ;   in Loop: Header=BB119_7 Depth=2
	s_andn2_saveexec_b32 s8, s8
	s_cbranch_execz .LBB119_47
; %bb.46:                               ;   in Loop: Header=BB119_7 Depth=2
	global_load_dwordx4 v[4:7], v[6:7], off
	v_add_nc_u32_e32 v8, 0x100, v57
	s_waitcnt vmcnt(0)
	ds_write2_b64 v8, v[4:5], v[6:7] offset1:1
.LBB119_47:                             ;   in Loop: Header=BB119_7 Depth=2
	s_or_b32 exec_lo, exec_lo, s8
	s_and_b32 s5, s4, s5
	s_xor_b32 s5, s5, -1
	s_and_saveexec_b32 s8, s5
	s_xor_b32 s5, exec_lo, s8
	s_cbranch_execz .LBB119_49
; %bb.48:                               ;   in Loop: Header=BB119_7 Depth=2
	v_mov_b32_e32 v4, v2
	v_mov_b32_e32 v5, v2
	;; [unrolled: 1-line block ×4, first 2 shown]
	ds_write_b128 v57, v[4:7] offset:8192
.LBB119_49:                             ;   in Loop: Header=BB119_7 Depth=2
	s_or_saveexec_b32 s8, s5
	v_add_co_u32 v4, s5, v36, s12
	v_add_co_ci_u32_e64 v5, null, s13, v37, s5
	s_xor_b32 exec_lo, exec_lo, s8
	s_cbranch_execz .LBB119_51
; %bb.50:                               ;   in Loop: Header=BB119_7 Depth=2
	global_load_dwordx4 v[6:9], v[4:5], off offset:-256
	v_add_nc_u32_e32 v10, 0x2000, v57
	s_waitcnt vmcnt(0)
	ds_write2_b64 v10, v[6:7], v[8:9] offset1:1
.LBB119_51:                             ;   in Loop: Header=BB119_7 Depth=2
	s_or_b32 exec_lo, exec_lo, s8
	s_and_b32 s5, s4, s6
	s_xor_b32 s5, s5, -1
	s_and_saveexec_b32 s6, s5
	s_xor_b32 s5, exec_lo, s6
	s_cbranch_execz .LBB119_53
; %bb.52:                               ;   in Loop: Header=BB119_7 Depth=2
	v_mov_b32_e32 v4, v2
	v_mov_b32_e32 v5, v2
	;; [unrolled: 1-line block ×4, first 2 shown]
	ds_write_b128 v57, v[4:7] offset:8448
                                        ; implicit-def: $vgpr4_vgpr5
.LBB119_53:                             ;   in Loop: Header=BB119_7 Depth=2
	s_andn2_saveexec_b32 s5, s5
	s_cbranch_execz .LBB119_6
; %bb.54:                               ;   in Loop: Header=BB119_7 Depth=2
	global_load_dwordx4 v[4:7], v[4:5], off
	v_add_nc_u32_e32 v8, 0x2100, v57
	s_waitcnt vmcnt(0)
	ds_write2_b64 v8, v[4:5], v[6:7] offset1:1
	s_branch .LBB119_6
.LBB119_55:                             ;   in Loop: Header=BB119_4 Depth=1
	v_mul_lo_u32 v6, s41, v62
	v_mul_lo_u32 v7, s40, v63
	v_mad_u64_u32 v[4:5], null, s40, v62, 0
	v_cmp_gt_i32_e32 vcc_lo, s46, v62
	v_add3_u32 v5, v5, v7, v6
	v_lshlrev_b64 v[4:5], 4, v[4:5]
	v_add_co_u32 v4, s4, s27, v4
	v_add_co_ci_u32_e64 v5, null, s36, v5, s4
	s_and_b32 s4, s1, vcc_lo
	s_and_saveexec_b32 s5, s4
	s_cbranch_execz .LBB119_57
; %bb.56:                               ;   in Loop: Header=BB119_4 Depth=1
	v_add_co_u32 v10, s4, v4, v24
	v_add_co_ci_u32_e64 v11, null, v5, v25, s4
	v_mul_f64 v[34:35], s[30:31], v[40:41]
	v_mul_f64 v[36:37], s[28:29], v[40:41]
	global_load_dwordx4 v[6:9], v[10:11], off
	v_fma_f64 v[34:35], s[28:29], v[38:39], -v[34:35]
	v_fma_f64 v[36:37], s[30:31], v[38:39], v[36:37]
	s_waitcnt vmcnt(0)
	v_add_f64 v[6:7], v[6:7], v[34:35]
	v_add_f64 v[8:9], v[36:37], v[8:9]
	global_store_dwordx4 v[10:11], v[6:9], off
.LBB119_57:                             ;   in Loop: Header=BB119_4 Depth=1
	s_or_b32 exec_lo, exec_lo, s5
	s_and_b32 s5, s2, vcc_lo
	s_and_saveexec_b32 s4, s5
	s_cbranch_execz .LBB119_59
; %bb.58:                               ;   in Loop: Header=BB119_4 Depth=1
	v_add_co_u32 v8, vcc_lo, v4, v32
	v_add_co_ci_u32_e64 v9, null, v5, v33, vcc_lo
	v_mul_f64 v[10:11], s[30:31], v[14:15]
	v_mul_f64 v[14:15], s[28:29], v[14:15]
	global_load_dwordx4 v[4:7], v[8:9], off
	v_fma_f64 v[10:11], s[28:29], v[12:13], -v[10:11]
	v_fma_f64 v[12:13], s[30:31], v[12:13], v[14:15]
	s_waitcnt vmcnt(0)
	v_add_f64 v[4:5], v[4:5], v[10:11]
	v_add_f64 v[6:7], v[12:13], v[6:7]
	global_store_dwordx4 v[8:9], v[4:7], off
.LBB119_59:                             ;   in Loop: Header=BB119_4 Depth=1
	s_or_b32 exec_lo, exec_lo, s4
	v_add_nc_u32_e32 v6, 16, v62
	v_ashrrev_i32_e32 v7, 31, v6
	v_mul_lo_u32 v8, s41, v6
	v_mad_u64_u32 v[4:5], null, s40, v6, 0
	v_cmp_gt_i32_e32 vcc_lo, s46, v6
	v_mul_lo_u32 v7, s40, v7
	v_add3_u32 v5, v5, v7, v8
	v_lshlrev_b64 v[4:5], 4, v[4:5]
	v_add_co_u32 v4, s4, s27, v4
	v_add_co_ci_u32_e64 v5, null, s36, v5, s4
	s_and_b32 s4, s1, vcc_lo
	s_and_saveexec_b32 s5, s4
	s_cbranch_execz .LBB119_61
; %bb.60:                               ;   in Loop: Header=BB119_4 Depth=1
	v_add_co_u32 v10, s4, v4, v24
	v_add_co_ci_u32_e64 v11, null, v5, v25, s4
	v_mul_f64 v[12:13], s[30:31], v[44:45]
	v_mul_f64 v[14:15], s[28:29], v[44:45]
	global_load_dwordx4 v[6:9], v[10:11], off
	v_fma_f64 v[12:13], s[28:29], v[42:43], -v[12:13]
	v_fma_f64 v[14:15], s[30:31], v[42:43], v[14:15]
	s_waitcnt vmcnt(0)
	v_add_f64 v[6:7], v[6:7], v[12:13]
	v_add_f64 v[8:9], v[14:15], v[8:9]
	global_store_dwordx4 v[10:11], v[6:9], off
.LBB119_61:                             ;   in Loop: Header=BB119_4 Depth=1
	s_or_b32 exec_lo, exec_lo, s5
	s_and_b32 s5, s2, vcc_lo
	s_and_saveexec_b32 s4, s5
	s_cbranch_execz .LBB119_3
; %bb.62:                               ;   in Loop: Header=BB119_4 Depth=1
	v_add_co_u32 v8, vcc_lo, v4, v32
	v_add_co_ci_u32_e64 v9, null, v5, v33, vcc_lo
	v_mul_f64 v[10:11], s[30:31], v[46:47]
	v_mul_f64 v[12:13], s[28:29], v[46:47]
	global_load_dwordx4 v[4:7], v[8:9], off
	v_fma_f64 v[10:11], s[28:29], v[48:49], -v[10:11]
	v_fma_f64 v[12:13], s[30:31], v[48:49], v[12:13]
	s_waitcnt vmcnt(0)
	v_add_f64 v[4:5], v[4:5], v[10:11]
	v_add_f64 v[6:7], v[12:13], v[6:7]
	global_store_dwordx4 v[8:9], v[4:7], off
	s_branch .LBB119_3
.LBB119_63:
	s_endpgm
	.section	.rodata,"a",@progbits
	.p2align	6, 0x0
	.amdhsa_kernel _ZL30rocblas_trmm_outofplace_kernelI19rocblas_complex_numIdELi32ELi2ELb1ELb1ELb1ELb1ES1_KS1_S1_Ev17rocblas_diagonal_iiT6_lPT7_lllS6_lllPT8_llli
		.amdhsa_group_segment_fixed_size 32768
		.amdhsa_private_segment_fixed_size 0
		.amdhsa_kernarg_size 400
		.amdhsa_user_sgpr_count 6
		.amdhsa_user_sgpr_private_segment_buffer 1
		.amdhsa_user_sgpr_dispatch_ptr 0
		.amdhsa_user_sgpr_queue_ptr 0
		.amdhsa_user_sgpr_kernarg_segment_ptr 1
		.amdhsa_user_sgpr_dispatch_id 0
		.amdhsa_user_sgpr_flat_scratch_init 0
		.amdhsa_user_sgpr_private_segment_size 0
		.amdhsa_wavefront_size32 1
		.amdhsa_uses_dynamic_stack 0
		.amdhsa_system_sgpr_private_segment_wavefront_offset 0
		.amdhsa_system_sgpr_workgroup_id_x 1
		.amdhsa_system_sgpr_workgroup_id_y 1
		.amdhsa_system_sgpr_workgroup_id_z 1
		.amdhsa_system_sgpr_workgroup_info 0
		.amdhsa_system_vgpr_workitem_id 1
		.amdhsa_next_free_vgpr 80
		.amdhsa_next_free_sgpr 48
		.amdhsa_reserve_vcc 1
		.amdhsa_reserve_flat_scratch 0
		.amdhsa_float_round_mode_32 0
		.amdhsa_float_round_mode_16_64 0
		.amdhsa_float_denorm_mode_32 3
		.amdhsa_float_denorm_mode_16_64 3
		.amdhsa_dx10_clamp 1
		.amdhsa_ieee_mode 1
		.amdhsa_fp16_overflow 0
		.amdhsa_workgroup_processor_mode 1
		.amdhsa_memory_ordered 1
		.amdhsa_forward_progress 1
		.amdhsa_shared_vgpr_count 0
		.amdhsa_exception_fp_ieee_invalid_op 0
		.amdhsa_exception_fp_denorm_src 0
		.amdhsa_exception_fp_ieee_div_zero 0
		.amdhsa_exception_fp_ieee_overflow 0
		.amdhsa_exception_fp_ieee_underflow 0
		.amdhsa_exception_fp_ieee_inexact 0
		.amdhsa_exception_int_div_zero 0
	.end_amdhsa_kernel
	.section	.text._ZL30rocblas_trmm_outofplace_kernelI19rocblas_complex_numIdELi32ELi2ELb1ELb1ELb1ELb1ES1_KS1_S1_Ev17rocblas_diagonal_iiT6_lPT7_lllS6_lllPT8_llli,"axG",@progbits,_ZL30rocblas_trmm_outofplace_kernelI19rocblas_complex_numIdELi32ELi2ELb1ELb1ELb1ELb1ES1_KS1_S1_Ev17rocblas_diagonal_iiT6_lPT7_lllS6_lllPT8_llli,comdat
.Lfunc_end119:
	.size	_ZL30rocblas_trmm_outofplace_kernelI19rocblas_complex_numIdELi32ELi2ELb1ELb1ELb1ELb1ES1_KS1_S1_Ev17rocblas_diagonal_iiT6_lPT7_lllS6_lllPT8_llli, .Lfunc_end119-_ZL30rocblas_trmm_outofplace_kernelI19rocblas_complex_numIdELi32ELi2ELb1ELb1ELb1ELb1ES1_KS1_S1_Ev17rocblas_diagonal_iiT6_lPT7_lllS6_lllPT8_llli
                                        ; -- End function
	.set _ZL30rocblas_trmm_outofplace_kernelI19rocblas_complex_numIdELi32ELi2ELb1ELb1ELb1ELb1ES1_KS1_S1_Ev17rocblas_diagonal_iiT6_lPT7_lllS6_lllPT8_llli.num_vgpr, 80
	.set _ZL30rocblas_trmm_outofplace_kernelI19rocblas_complex_numIdELi32ELi2ELb1ELb1ELb1ELb1ES1_KS1_S1_Ev17rocblas_diagonal_iiT6_lPT7_lllS6_lllPT8_llli.num_agpr, 0
	.set _ZL30rocblas_trmm_outofplace_kernelI19rocblas_complex_numIdELi32ELi2ELb1ELb1ELb1ELb1ES1_KS1_S1_Ev17rocblas_diagonal_iiT6_lPT7_lllS6_lllPT8_llli.numbered_sgpr, 48
	.set _ZL30rocblas_trmm_outofplace_kernelI19rocblas_complex_numIdELi32ELi2ELb1ELb1ELb1ELb1ES1_KS1_S1_Ev17rocblas_diagonal_iiT6_lPT7_lllS6_lllPT8_llli.num_named_barrier, 0
	.set _ZL30rocblas_trmm_outofplace_kernelI19rocblas_complex_numIdELi32ELi2ELb1ELb1ELb1ELb1ES1_KS1_S1_Ev17rocblas_diagonal_iiT6_lPT7_lllS6_lllPT8_llli.private_seg_size, 0
	.set _ZL30rocblas_trmm_outofplace_kernelI19rocblas_complex_numIdELi32ELi2ELb1ELb1ELb1ELb1ES1_KS1_S1_Ev17rocblas_diagonal_iiT6_lPT7_lllS6_lllPT8_llli.uses_vcc, 1
	.set _ZL30rocblas_trmm_outofplace_kernelI19rocblas_complex_numIdELi32ELi2ELb1ELb1ELb1ELb1ES1_KS1_S1_Ev17rocblas_diagonal_iiT6_lPT7_lllS6_lllPT8_llli.uses_flat_scratch, 0
	.set _ZL30rocblas_trmm_outofplace_kernelI19rocblas_complex_numIdELi32ELi2ELb1ELb1ELb1ELb1ES1_KS1_S1_Ev17rocblas_diagonal_iiT6_lPT7_lllS6_lllPT8_llli.has_dyn_sized_stack, 0
	.set _ZL30rocblas_trmm_outofplace_kernelI19rocblas_complex_numIdELi32ELi2ELb1ELb1ELb1ELb1ES1_KS1_S1_Ev17rocblas_diagonal_iiT6_lPT7_lllS6_lllPT8_llli.has_recursion, 0
	.set _ZL30rocblas_trmm_outofplace_kernelI19rocblas_complex_numIdELi32ELi2ELb1ELb1ELb1ELb1ES1_KS1_S1_Ev17rocblas_diagonal_iiT6_lPT7_lllS6_lllPT8_llli.has_indirect_call, 0
	.section	.AMDGPU.csdata,"",@progbits
; Kernel info:
; codeLenInByte = 10180
; TotalNumSgprs: 50
; NumVgprs: 80
; ScratchSize: 0
; MemoryBound: 0
; FloatMode: 240
; IeeeMode: 1
; LDSByteSize: 32768 bytes/workgroup (compile time only)
; SGPRBlocks: 0
; VGPRBlocks: 9
; NumSGPRsForWavesPerEU: 50
; NumVGPRsForWavesPerEU: 80
; Occupancy: 12
; WaveLimiterHint : 0
; COMPUTE_PGM_RSRC2:SCRATCH_EN: 0
; COMPUTE_PGM_RSRC2:USER_SGPR: 6
; COMPUTE_PGM_RSRC2:TRAP_HANDLER: 0
; COMPUTE_PGM_RSRC2:TGID_X_EN: 1
; COMPUTE_PGM_RSRC2:TGID_Y_EN: 1
; COMPUTE_PGM_RSRC2:TGID_Z_EN: 1
; COMPUTE_PGM_RSRC2:TIDIG_COMP_CNT: 1
	.section	.text._ZL30rocblas_trmm_outofplace_kernelI19rocblas_complex_numIdELi32ELi2ELb0ELb0ELb0ELb0EPKS1_S2_S1_Ev17rocblas_diagonal_iiT6_lPT7_lllS7_lllPT8_llli,"axG",@progbits,_ZL30rocblas_trmm_outofplace_kernelI19rocblas_complex_numIdELi32ELi2ELb0ELb0ELb0ELb0EPKS1_S2_S1_Ev17rocblas_diagonal_iiT6_lPT7_lllS7_lllPT8_llli,comdat
	.globl	_ZL30rocblas_trmm_outofplace_kernelI19rocblas_complex_numIdELi32ELi2ELb0ELb0ELb0ELb0EPKS1_S2_S1_Ev17rocblas_diagonal_iiT6_lPT7_lllS7_lllPT8_llli ; -- Begin function _ZL30rocblas_trmm_outofplace_kernelI19rocblas_complex_numIdELi32ELi2ELb0ELb0ELb0ELb0EPKS1_S2_S1_Ev17rocblas_diagonal_iiT6_lPT7_lllS7_lllPT8_llli
	.p2align	8
	.type	_ZL30rocblas_trmm_outofplace_kernelI19rocblas_complex_numIdELi32ELi2ELb0ELb0ELb0ELb0EPKS1_S2_S1_Ev17rocblas_diagonal_iiT6_lPT7_lllS7_lllPT8_llli,@function
_ZL30rocblas_trmm_outofplace_kernelI19rocblas_complex_numIdELi32ELi2ELb0ELb0ELb0ELb0EPKS1_S2_S1_Ev17rocblas_diagonal_iiT6_lPT7_lllS7_lllPT8_llli: ; @_ZL30rocblas_trmm_outofplace_kernelI19rocblas_complex_numIdELi32ELi2ELb0ELb0ELb0ELb0EPKS1_S2_S1_Ev17rocblas_diagonal_iiT6_lPT7_lllS7_lllPT8_llli
; %bb.0:
	s_load_dwordx16 s[12:27], s[4:5], 0x10
	s_waitcnt lgkmcnt(0)
	s_mul_i32 s1, s15, s8
	s_mul_hi_u32 s2, s14, s8
	s_mul_i32 s0, s14, s8
	s_add_i32 s1, s2, s1
	s_lshl_b64 s[0:1], s[0:1], 4
	s_add_u32 s0, s12, s0
	s_addc_u32 s1, s13, s1
	s_load_dwordx4 s[12:15], s[0:1], 0x0
	s_waitcnt lgkmcnt(0)
	v_cmp_eq_f64_e64 s0, s[12:13], 0
	v_cmp_eq_f64_e64 s1, s[14:15], 0
	s_and_b32 s0, s0, s1
	s_and_b32 vcc_lo, exec_lo, s0
	s_cbranch_vccnz .LBB120_64
; %bb.1:
	s_load_dwordx4 s[28:31], s[4:5], 0x0
	s_waitcnt lgkmcnt(0)
	s_add_i32 s0, s30, -1
	s_ashr_i32 s1, s0, 31
	s_lshr_b32 s1, s1, 27
	s_add_i32 s0, s0, s1
	s_ashr_i32 s11, s0, 5
	s_cmp_gt_i32 s7, s11
	s_cbranch_scc1 .LBB120_64
; %bb.2:
	s_clause 0x2
	s_load_dwordx4 s[44:47], s[4:5], 0x70
	s_load_dwordx8 s[36:43], s[4:5], 0x50
	s_load_dword s33, s[4:5], 0x8c
	v_lshl_add_u32 v2, s6, 5, v0
	v_lshlrev_b32_e32 v3, 4, v0
	v_lshlrev_b32_e32 v60, 9, v1
	v_add_nc_u32_e32 v12, 16, v2
	v_or_b32_e32 v61, 0x4000, v3
	v_add_nc_u32_e32 v62, v60, v3
	v_ashrrev_i32_e32 v3, 31, v2
	v_cmp_gt_i32_e32 vcc_lo, s29, v2
	v_ashrrev_i32_e32 v13, 31, v12
	v_add_nc_u32_e32 v63, v61, v60
	v_add_nc_u32_e32 v64, 0x100, v62
	v_lshlrev_b64 v[16:17], 4, v[2:3]
	v_add_nc_u32_e32 v65, 0x2000, v62
	v_add_nc_u32_e32 v66, 0x2100, v62
	;; [unrolled: 1-line block ×3, first 2 shown]
	s_waitcnt lgkmcnt(0)
	s_mul_i32 s1, s47, s8
	s_mul_hi_u32 s2, s46, s8
	s_mul_i32 s0, s46, s8
	s_add_i32 s1, s2, s1
	s_mul_i32 s4, s39, s8
	s_lshl_b64 s[0:1], s[0:1], 4
	s_mul_hi_u32 s5, s38, s8
	s_add_u32 s2, s40, s0
	s_addc_u32 s3, s41, s1
	s_lshl_b64 s[0:1], s[42:43], 4
	v_add_nc_u32_e32 v68, 0x2000, v63
	s_add_u32 s42, s2, s0
	s_addc_u32 s43, s3, s1
	s_cmpk_eq_i32 s28, 0x84
	v_sub_co_u32 v4, s0, s29, v2
	s_cselect_b32 s46, -1, 0
	s_ashr_i32 s1, s29, 31
	s_ashr_i32 s31, s30, 31
	s_lshl_b64 s[34:35], s[36:37], 9
	s_add_u32 s40, s30, -16
	s_addc_u32 s41, s31, -1
	s_lshl_b32 s3, s7, 5
	s_lshl_b32 s47, s33, 5
	s_add_u32 s28, s24, 0x100
	v_cmp_gt_i32_e64 s2, s29, v12
	s_addc_u32 s29, s25, 0
	s_add_i32 s5, s5, s4
	s_mul_i32 s4, s38, s8
	s_lshl_b64 s[38:39], s[26:27], 4
	s_lshl_b64 s[4:5], s[4:5], 4
	;; [unrolled: 1-line block ×3, first 2 shown]
	s_add_u32 s6, s4, s38
	s_addc_u32 s10, s5, s39
	s_mul_i32 s4, s23, s8
	s_mul_hi_u32 s5, s22, s8
	v_sub_co_ci_u32_e64 v5, null, s1, v3, s0
	s_add_i32 s5, s5, s4
	s_mul_i32 s4, s22, s8
	v_add_nc_u32_e32 v14, s3, v0
	v_add_nc_u32_e32 v18, s3, v1
	s_lshl_b64 s[4:5], s[4:5], 4
	s_lshl_b64 s[8:9], s[18:19], 4
	v_add_co_u32 v20, s3, s6, v16
	v_add_co_ci_u32_e64 v21, null, s10, v17, s3
	s_add_u32 s3, s4, s8
	v_cmp_gt_i64_e64 s0, 1, v[4:5]
	v_cmp_gt_i64_e64 s1, 17, v[4:5]
	s_addc_u32 s4, s5, s9
	v_add_nc_u32_e32 v69, 0x2100, v63
	s_add_u32 s3, s16, s3
	v_mov_b32_e32 v2, 0
	v_mov_b32_e32 v3, 0x3ff00000
	s_addc_u32 s4, s17, s4
	s_add_u32 s16, s3, 0x100
	s_addc_u32 s17, s4, 0
	s_lshl_b64 s[18:19], s[20:21], 4
	s_branch .LBB120_4
.LBB120_3:                              ;   in Loop: Header=BB120_4 Depth=1
	s_or_b32 exec_lo, exec_lo, s4
	v_add_nc_u32_e32 v14, s47, v14
	v_add_nc_u32_e32 v18, s47, v18
	s_add_i32 s7, s33, s7
	s_cmp_le_i32 s7, s11
	s_cbranch_scc0 .LBB120_64
.LBB120_4:                              ; =>This Loop Header: Depth=1
                                        ;     Child Loop BB120_7 Depth 2
	s_lshl_b32 s3, s7, 5
	v_ashrrev_i32_e32 v15, 31, v14
	v_add_nc_u32_e32 v22, s3, v1
	v_ashrrev_i32_e32 v19, 31, v18
	s_sub_i32 s38, s30, s3
	s_cmp_lt_i32 s38, 1
	v_ashrrev_i32_e32 v23, 31, v22
	s_cbranch_scc1 .LBB120_55
; %bb.5:                                ;   in Loop: Header=BB120_4 Depth=1
	v_lshlrev_b64 v[4:5], 4, v[18:19]
	v_mad_u64_u32 v[24:25], null, s26, v18, s[28:29]
	v_mul_lo_u32 v0, s26, v19
	v_mul_lo_u32 v6, s27, v18
	v_mad_u64_u32 v[30:31], null, s18, v18, s[16:17]
	v_add_co_u32 v4, s3, 0x100, v4
	v_add_co_ci_u32_e64 v5, null, 0, v5, s3
	v_sub_co_u32 v26, s3, v18, v14
	v_sub_co_ci_u32_e64 v27, null, v19, v15, s3
	v_add3_u32 v25, v6, v25, v0
	v_mul_lo_u32 v0, s20, v5
	v_mul_lo_u32 v6, s21, v4
	v_mad_u64_u32 v[28:29], null, s20, v4, s[16:17]
	v_mul_lo_u32 v7, s18, v19
	v_mul_lo_u32 v8, s19, v18
	;; [unrolled: 1-line block ×4, first 2 shown]
	v_mad_u64_u32 v[32:33], null, s36, v4, s[24:25]
	v_add_co_u32 v36, s3, v22, 16
	v_add_co_ci_u32_e64 v37, null, 0, v23, s3
	v_add_co_u32 v38, s5, v26, 16
	v_add_co_ci_u32_e64 v39, null, 0, v27, s5
	v_add_co_u32 v40, s5, v26, -16
	v_lshlrev_b64 v[34:35], 4, v[14:15]
	v_cmp_le_i64_e64 s4, s[30:31], v[36:37]
	v_mov_b32_e32 v56, 0
	v_mov_b32_e32 v58, 0
	;; [unrolled: 1-line block ×9, first 2 shown]
	v_add3_u32 v29, v6, v29, v0
	v_add3_u32 v31, v8, v31, v7
	;; [unrolled: 1-line block ×3, first 2 shown]
	v_cmp_le_i32_e64 s3, s30, v22
	v_add_co_ci_u32_e64 v41, null, -1, v27, s5
	v_mov_b32_e32 v57, 0
	v_mov_b32_e32 v59, 0
	;; [unrolled: 1-line block ×9, first 2 shown]
	s_mov_b64 s[22:23], 0
	s_branch .LBB120_7
.LBB120_6:                              ;   in Loop: Header=BB120_7 Depth=2
	s_or_b32 exec_lo, exec_lo, s5
	s_waitcnt lgkmcnt(0)
	s_barrier
	buffer_gl0_inv
	ds_read_b128 v[70:73], v60
	ds_read_b128 v[74:77], v60 offset:16
	ds_read_b128 v[8:11], v60 offset:32
	;; [unrolled: 1-line block ×3, first 2 shown]
	ds_read_b128 v[78:81], v61
	v_add_co_u32 v42, s5, v42, s34
	v_add_co_ci_u32_e64 v43, null, s35, v43, s5
	v_add_co_u32 v28, s5, 0x200, v28
	v_add_co_ci_u32_e64 v29, null, 0, v29, s5
	;; [unrolled: 2-line block ×3, first 2 shown]
	s_add_u32 s22, s22, 32
	s_addc_u32 s23, s23, 0
	s_cmp_ge_i32 s22, s38
	s_waitcnt lgkmcnt(0)
	v_mul_f64 v[82:83], v[72:73], v[80:81]
	v_mul_f64 v[84:85], v[70:71], v[80:81]
	v_fma_f64 v[82:83], v[70:71], v[78:79], -v[82:83]
	v_fma_f64 v[84:85], v[72:73], v[78:79], v[84:85]
	v_add_f64 v[82:83], v[52:53], v[82:83]
	v_add_f64 v[84:85], v[84:85], v[54:55]
	ds_read_b128 v[52:55], v61 offset:256
	s_waitcnt lgkmcnt(0)
	v_mul_f64 v[86:87], v[72:73], v[54:55]
	v_fma_f64 v[86:87], v[70:71], v[52:53], -v[86:87]
	v_mul_f64 v[70:71], v[70:71], v[54:55]
	v_fma_f64 v[70:71], v[72:73], v[52:53], v[70:71]
	v_add_f64 v[72:73], v[44:45], v[86:87]
	v_add_f64 v[70:71], v[70:71], v[46:47]
	ds_read_b128 v[44:47], v60 offset:8192
	s_waitcnt lgkmcnt(0)
	v_mul_f64 v[86:87], v[46:47], v[80:81]
	v_mul_f64 v[80:81], v[44:45], v[80:81]
	v_fma_f64 v[86:87], v[44:45], v[78:79], -v[86:87]
	v_fma_f64 v[78:79], v[46:47], v[78:79], v[80:81]
	v_add_f64 v[80:81], v[48:49], v[86:87]
	v_mul_f64 v[48:49], v[46:47], v[54:55]
	v_add_f64 v[78:79], v[78:79], v[50:51]
	v_fma_f64 v[48:49], v[44:45], v[52:53], -v[48:49]
	v_mul_f64 v[44:45], v[44:45], v[54:55]
	v_add_f64 v[58:59], v[58:59], v[48:49]
	v_fma_f64 v[44:45], v[46:47], v[52:53], v[44:45]
	v_add_f64 v[56:57], v[44:45], v[56:57]
	ds_read_b128 v[44:47], v61 offset:512
	s_waitcnt lgkmcnt(0)
	v_mul_f64 v[48:49], v[76:77], v[46:47]
	v_mul_f64 v[50:51], v[74:75], v[46:47]
	v_fma_f64 v[48:49], v[74:75], v[44:45], -v[48:49]
	v_fma_f64 v[50:51], v[76:77], v[44:45], v[50:51]
	v_add_f64 v[82:83], v[82:83], v[48:49]
	v_add_f64 v[84:85], v[50:51], v[84:85]
	ds_read_b128 v[48:51], v61 offset:768
	s_waitcnt lgkmcnt(0)
	v_mul_f64 v[52:53], v[76:77], v[50:51]
	v_mul_f64 v[54:55], v[74:75], v[50:51]
	v_fma_f64 v[52:53], v[74:75], v[48:49], -v[52:53]
	v_fma_f64 v[54:55], v[76:77], v[48:49], v[54:55]
	v_add_f64 v[72:73], v[72:73], v[52:53]
	v_add_f64 v[70:71], v[54:55], v[70:71]
	ds_read_b128 v[52:55], v60 offset:8208
	s_waitcnt lgkmcnt(0)
	v_mul_f64 v[74:75], v[54:55], v[46:47]
	v_mul_f64 v[46:47], v[52:53], v[46:47]
	v_fma_f64 v[74:75], v[52:53], v[44:45], -v[74:75]
	v_fma_f64 v[44:45], v[54:55], v[44:45], v[46:47]
	v_mul_f64 v[46:47], v[52:53], v[50:51]
	v_add_f64 v[74:75], v[80:81], v[74:75]
	v_add_f64 v[76:77], v[44:45], v[78:79]
	v_mul_f64 v[44:45], v[54:55], v[50:51]
	v_fma_f64 v[46:47], v[54:55], v[48:49], v[46:47]
	v_fma_f64 v[44:45], v[52:53], v[48:49], -v[44:45]
	v_add_f64 v[54:55], v[46:47], v[56:57]
	v_add_f64 v[52:53], v[58:59], v[44:45]
	ds_read_b128 v[44:47], v61 offset:1024
	s_waitcnt lgkmcnt(0)
	v_mul_f64 v[48:49], v[10:11], v[46:47]
	v_mul_f64 v[50:51], v[8:9], v[46:47]
	v_fma_f64 v[48:49], v[8:9], v[44:45], -v[48:49]
	v_fma_f64 v[50:51], v[10:11], v[44:45], v[50:51]
	v_add_f64 v[56:57], v[82:83], v[48:49]
	v_add_f64 v[58:59], v[50:51], v[84:85]
	ds_read_b128 v[48:51], v61 offset:1280
	s_waitcnt lgkmcnt(0)
	v_mul_f64 v[78:79], v[10:11], v[50:51]
	v_fma_f64 v[78:79], v[8:9], v[48:49], -v[78:79]
	v_mul_f64 v[8:9], v[8:9], v[50:51]
	v_add_f64 v[72:73], v[72:73], v[78:79]
	v_fma_f64 v[8:9], v[10:11], v[48:49], v[8:9]
	v_add_f64 v[70:71], v[8:9], v[70:71]
	ds_read_b128 v[8:11], v60 offset:8224
	s_waitcnt lgkmcnt(0)
	v_mul_f64 v[78:79], v[10:11], v[46:47]
	v_mul_f64 v[46:47], v[8:9], v[46:47]
	v_fma_f64 v[78:79], v[8:9], v[44:45], -v[78:79]
	v_fma_f64 v[44:45], v[10:11], v[44:45], v[46:47]
	v_add_f64 v[74:75], v[74:75], v[78:79]
	v_add_f64 v[76:77], v[44:45], v[76:77]
	v_mul_f64 v[44:45], v[10:11], v[50:51]
	v_fma_f64 v[44:45], v[8:9], v[48:49], -v[44:45]
	v_mul_f64 v[8:9], v[8:9], v[50:51]
	v_fma_f64 v[8:9], v[10:11], v[48:49], v[8:9]
	v_add_f64 v[48:49], v[52:53], v[44:45]
	v_add_f64 v[50:51], v[8:9], v[54:55]
	ds_read_b128 v[8:11], v61 offset:1536
	s_waitcnt lgkmcnt(0)
	v_mul_f64 v[44:45], v[6:7], v[10:11]
	v_mul_f64 v[46:47], v[4:5], v[10:11]
	v_fma_f64 v[44:45], v[4:5], v[8:9], -v[44:45]
	v_fma_f64 v[46:47], v[6:7], v[8:9], v[46:47]
	v_add_f64 v[52:53], v[56:57], v[44:45]
	v_add_f64 v[54:55], v[46:47], v[58:59]
	ds_read_b128 v[44:47], v61 offset:1792
	s_waitcnt lgkmcnt(0)
	v_mul_f64 v[56:57], v[6:7], v[46:47]
	v_fma_f64 v[56:57], v[4:5], v[44:45], -v[56:57]
	v_mul_f64 v[4:5], v[4:5], v[46:47]
	v_add_f64 v[56:57], v[72:73], v[56:57]
	v_fma_f64 v[4:5], v[6:7], v[44:45], v[4:5]
	v_add_f64 v[58:59], v[4:5], v[70:71]
	ds_read_b128 v[4:7], v60 offset:8240
	s_waitcnt lgkmcnt(0)
	v_mul_f64 v[70:71], v[6:7], v[10:11]
	v_mul_f64 v[10:11], v[4:5], v[10:11]
	v_fma_f64 v[70:71], v[4:5], v[8:9], -v[70:71]
	v_fma_f64 v[8:9], v[6:7], v[8:9], v[10:11]
	v_add_f64 v[70:71], v[74:75], v[70:71]
	v_add_f64 v[72:73], v[8:9], v[76:77]
	v_mul_f64 v[8:9], v[6:7], v[46:47]
	v_fma_f64 v[8:9], v[4:5], v[44:45], -v[8:9]
	v_mul_f64 v[4:5], v[4:5], v[46:47]
	v_add_f64 v[48:49], v[48:49], v[8:9]
	v_fma_f64 v[4:5], v[6:7], v[44:45], v[4:5]
	v_add_f64 v[50:51], v[4:5], v[50:51]
	ds_read_b128 v[4:7], v60 offset:64
	ds_read_b128 v[8:11], v61 offset:2048
	s_waitcnt lgkmcnt(0)
	v_mul_f64 v[44:45], v[6:7], v[10:11]
	v_mul_f64 v[46:47], v[4:5], v[10:11]
	v_fma_f64 v[44:45], v[4:5], v[8:9], -v[44:45]
	v_fma_f64 v[46:47], v[6:7], v[8:9], v[46:47]
	v_add_f64 v[52:53], v[52:53], v[44:45]
	v_add_f64 v[54:55], v[46:47], v[54:55]
	ds_read_b128 v[44:47], v61 offset:2304
	s_waitcnt lgkmcnt(0)
	v_mul_f64 v[74:75], v[6:7], v[46:47]
	v_fma_f64 v[74:75], v[4:5], v[44:45], -v[74:75]
	v_mul_f64 v[4:5], v[4:5], v[46:47]
	v_add_f64 v[56:57], v[56:57], v[74:75]
	v_fma_f64 v[4:5], v[6:7], v[44:45], v[4:5]
	v_add_f64 v[58:59], v[4:5], v[58:59]
	ds_read_b128 v[4:7], v60 offset:8256
	s_waitcnt lgkmcnt(0)
	v_mul_f64 v[74:75], v[6:7], v[10:11]
	v_mul_f64 v[10:11], v[4:5], v[10:11]
	v_fma_f64 v[74:75], v[4:5], v[8:9], -v[74:75]
	v_fma_f64 v[8:9], v[6:7], v[8:9], v[10:11]
	v_add_f64 v[70:71], v[70:71], v[74:75]
	v_add_f64 v[72:73], v[8:9], v[72:73]
	v_mul_f64 v[8:9], v[6:7], v[46:47]
	v_fma_f64 v[8:9], v[4:5], v[44:45], -v[8:9]
	v_mul_f64 v[4:5], v[4:5], v[46:47]
	v_add_f64 v[48:49], v[48:49], v[8:9]
	v_fma_f64 v[4:5], v[6:7], v[44:45], v[4:5]
	v_add_f64 v[50:51], v[4:5], v[50:51]
	ds_read_b128 v[4:7], v60 offset:80
	;; [unrolled: 31-line block ×27, first 2 shown]
	ds_read_b128 v[8:11], v61 offset:15360
	s_waitcnt lgkmcnt(0)
	v_mul_f64 v[44:45], v[6:7], v[10:11]
	v_mul_f64 v[46:47], v[4:5], v[10:11]
	v_fma_f64 v[44:45], v[4:5], v[8:9], -v[44:45]
	v_fma_f64 v[46:47], v[6:7], v[8:9], v[46:47]
	v_add_f64 v[52:53], v[52:53], v[44:45]
	v_add_f64 v[54:55], v[46:47], v[54:55]
	ds_read_b128 v[44:47], v61 offset:15616
	s_waitcnt lgkmcnt(0)
	v_mul_f64 v[74:75], v[6:7], v[46:47]
	v_fma_f64 v[74:75], v[4:5], v[44:45], -v[74:75]
	v_mul_f64 v[4:5], v[4:5], v[46:47]
	v_add_f64 v[74:75], v[56:57], v[74:75]
	v_fma_f64 v[4:5], v[6:7], v[44:45], v[4:5]
	v_add_f64 v[76:77], v[4:5], v[58:59]
	ds_read_b128 v[4:7], v60 offset:8672
	s_waitcnt lgkmcnt(0)
	v_mul_f64 v[56:57], v[6:7], v[10:11]
	v_mul_f64 v[10:11], v[4:5], v[10:11]
	v_fma_f64 v[56:57], v[4:5], v[8:9], -v[56:57]
	v_fma_f64 v[8:9], v[6:7], v[8:9], v[10:11]
	v_add_f64 v[78:79], v[70:71], v[56:57]
	v_add_f64 v[80:81], v[8:9], v[72:73]
	v_mul_f64 v[8:9], v[6:7], v[46:47]
	v_fma_f64 v[8:9], v[4:5], v[44:45], -v[8:9]
	v_mul_f64 v[4:5], v[4:5], v[46:47]
	v_fma_f64 v[6:7], v[6:7], v[44:45], v[4:5]
	v_add_f64 v[4:5], v[48:49], v[8:9]
	v_add_f64 v[6:7], v[6:7], v[50:51]
	ds_read_b128 v[8:11], v60 offset:496
	ds_read_b128 v[48:51], v61 offset:15872
	;; [unrolled: 1-line block ×4, first 2 shown]
	s_waitcnt lgkmcnt(0)
	s_barrier
	buffer_gl0_inv
	v_mul_f64 v[44:45], v[10:11], v[50:51]
	v_mul_f64 v[46:47], v[8:9], v[50:51]
	v_fma_f64 v[44:45], v[8:9], v[48:49], -v[44:45]
	v_fma_f64 v[46:47], v[10:11], v[48:49], v[46:47]
	v_add_f64 v[52:53], v[52:53], v[44:45]
	v_mul_f64 v[44:45], v[10:11], v[58:59]
	v_add_f64 v[54:55], v[46:47], v[54:55]
	v_fma_f64 v[44:45], v[8:9], v[56:57], -v[44:45]
	v_mul_f64 v[8:9], v[8:9], v[58:59]
	v_add_f64 v[44:45], v[74:75], v[44:45]
	v_fma_f64 v[8:9], v[10:11], v[56:57], v[8:9]
	v_mul_f64 v[10:11], v[70:71], v[50:51]
	v_add_f64 v[46:47], v[8:9], v[76:77]
	v_mul_f64 v[8:9], v[72:73], v[50:51]
	v_fma_f64 v[10:11], v[72:73], v[48:49], v[10:11]
	v_fma_f64 v[8:9], v[70:71], v[48:49], -v[8:9]
	v_add_f64 v[50:51], v[10:11], v[80:81]
	v_mul_f64 v[10:11], v[70:71], v[58:59]
	v_add_f64 v[48:49], v[78:79], v[8:9]
	v_mul_f64 v[8:9], v[72:73], v[58:59]
	v_fma_f64 v[10:11], v[72:73], v[56:57], v[10:11]
	v_fma_f64 v[8:9], v[70:71], v[56:57], -v[8:9]
	v_add_f64 v[56:57], v[10:11], v[6:7]
	v_add_f64 v[58:59], v[4:5], v[8:9]
	s_cbranch_scc1 .LBB120_56
.LBB120_7:                              ;   Parent Loop BB120_4 Depth=1
                                        ; =>  This Inner Loop Header: Depth=2
	v_add_co_u32 v6, s5, v14, s22
	v_add_co_ci_u32_e64 v7, null, s23, v15, s5
	v_cmp_eq_u64_e64 s8, s[22:23], v[26:27]
	v_add_co_u32 v8, s9, v30, v34
	v_cmp_lt_i64_e64 s5, v[6:7], v[22:23]
	v_cmp_le_i64_e64 s6, s[30:31], v[6:7]
	v_add_co_ci_u32_e64 v9, null, v31, v35, s9
	s_and_b32 s48, s46, s8
	s_or_b32 s9, s3, s5
	s_or_b32 s8, s6, s9
	s_nor_b32 s8, s8, s48
	s_and_saveexec_b32 s9, s8
	s_xor_b32 s8, exec_lo, s9
	s_cbranch_execz .LBB120_9
; %bb.8:                                ;   in Loop: Header=BB120_7 Depth=2
	global_load_dwordx4 v[70:73], v[8:9], off offset:-256
	s_waitcnt vmcnt(0)
	ds_write2_b64 v62, v[70:71], v[72:73] offset1:1
.LBB120_9:                              ;   in Loop: Header=BB120_7 Depth=2
	s_or_saveexec_b32 s8, s8
	s_xor_b32 s39, s48, -1
	s_xor_b32 exec_lo, exec_lo, s8
	s_cbranch_execz .LBB120_15
; %bb.10:                               ;   in Loop: Header=BB120_7 Depth=2
	s_and_saveexec_b32 s9, s39
	s_xor_b32 s9, exec_lo, s9
	s_cbranch_execz .LBB120_12
; %bb.11:                               ;   in Loop: Header=BB120_7 Depth=2
	v_mov_b32_e32 v70, v2
	v_mov_b32_e32 v71, v2
	;; [unrolled: 1-line block ×4, first 2 shown]
	ds_write_b128 v62, v[70:73]
.LBB120_12:                             ;   in Loop: Header=BB120_7 Depth=2
	s_andn2_saveexec_b32 s9, s9
; %bb.13:                               ;   in Loop: Header=BB120_7 Depth=2
	v_mov_b32_e32 v4, v2
	v_mov_b32_e32 v5, v2
	ds_write_b128 v62, v[2:5]
; %bb.14:                               ;   in Loop: Header=BB120_7 Depth=2
	s_or_b32 exec_lo, exec_lo, s9
.LBB120_15:                             ;   in Loop: Header=BB120_7 Depth=2
	s_or_b32 exec_lo, exec_lo, s8
	v_add_co_u32 v4, s8, v6, 16
	v_add_co_ci_u32_e64 v5, null, 0, v7, s8
	v_cmp_eq_u64_e64 s10, s[22:23], v[40:41]
	v_cmp_lt_i64_e64 s9, v[4:5], v[22:23]
	v_cmp_le_i64_e64 s8, s[30:31], v[4:5]
	s_and_b32 s10, s46, s10
	s_or_b32 s9, s3, s9
	s_or_b32 s9, s8, s9
	s_nor_b32 s9, s9, s10
	s_and_saveexec_b32 s49, s9
	s_xor_b32 s9, exec_lo, s49
	s_cbranch_execz .LBB120_17
; %bb.16:                               ;   in Loop: Header=BB120_7 Depth=2
	global_load_dwordx4 v[8:11], v[8:9], off
	s_waitcnt vmcnt(0)
	ds_write2_b64 v64, v[8:9], v[10:11] offset1:1
.LBB120_17:                             ;   in Loop: Header=BB120_7 Depth=2
	s_andn2_saveexec_b32 s9, s9
	s_cbranch_execz .LBB120_23
; %bb.18:                               ;   in Loop: Header=BB120_7 Depth=2
	s_xor_b32 s10, s10, -1
	s_and_saveexec_b32 s49, s10
	s_xor_b32 s10, exec_lo, s49
	s_cbranch_execz .LBB120_20
; %bb.19:                               ;   in Loop: Header=BB120_7 Depth=2
	v_mov_b32_e32 v8, v2
	v_mov_b32_e32 v9, v2
	;; [unrolled: 1-line block ×4, first 2 shown]
	ds_write_b128 v62, v[8:11] offset:256
.LBB120_20:                             ;   in Loop: Header=BB120_7 Depth=2
	s_andn2_saveexec_b32 s10, s10
; %bb.21:                               ;   in Loop: Header=BB120_7 Depth=2
	v_mov_b32_e32 v4, v2
	v_mov_b32_e32 v5, v2
	ds_write_b128 v62, v[2:5] offset:256
; %bb.22:                               ;   in Loop: Header=BB120_7 Depth=2
	s_or_b32 exec_lo, exec_lo, s10
.LBB120_23:                             ;   in Loop: Header=BB120_7 Depth=2
	s_or_b32 exec_lo, exec_lo, s9
	v_cmp_eq_u64_e64 s9, s[22:23], v[38:39]
	v_cmp_lt_i64_e64 s10, v[6:7], v[36:37]
	s_and_b32 s49, s46, s9
	v_add_co_u32 v6, s9, v28, v34
	s_or_b32 s10, s4, s10
	v_add_co_ci_u32_e64 v7, null, v29, v35, s9
	s_or_b32 s9, s10, s49
	s_nor_b32 s6, s6, s9
	s_and_saveexec_b32 s9, s6
	s_xor_b32 s6, exec_lo, s9
	s_cbranch_execz .LBB120_25
; %bb.24:                               ;   in Loop: Header=BB120_7 Depth=2
	global_load_dwordx4 v[8:11], v[6:7], off offset:-256
	s_waitcnt vmcnt(0)
	ds_write2_b64 v65, v[8:9], v[10:11] offset1:1
.LBB120_25:                             ;   in Loop: Header=BB120_7 Depth=2
	s_andn2_saveexec_b32 s6, s6
	s_cbranch_execz .LBB120_31
; %bb.26:                               ;   in Loop: Header=BB120_7 Depth=2
	s_xor_b32 s9, s49, -1
	s_and_saveexec_b32 s10, s9
	s_xor_b32 s9, exec_lo, s10
	s_cbranch_execz .LBB120_28
; %bb.27:                               ;   in Loop: Header=BB120_7 Depth=2
	v_mov_b32_e32 v8, v2
	v_mov_b32_e32 v9, v2
	;; [unrolled: 1-line block ×4, first 2 shown]
	ds_write_b128 v62, v[8:11] offset:8192
.LBB120_28:                             ;   in Loop: Header=BB120_7 Depth=2
	s_andn2_saveexec_b32 s9, s9
; %bb.29:                               ;   in Loop: Header=BB120_7 Depth=2
	v_mov_b32_e32 v4, v2
	v_mov_b32_e32 v5, v2
	ds_write_b128 v62, v[2:5] offset:8192
; %bb.30:                               ;   in Loop: Header=BB120_7 Depth=2
	s_or_b32 exec_lo, exec_lo, s9
.LBB120_31:                             ;   in Loop: Header=BB120_7 Depth=2
	s_or_b32 exec_lo, exec_lo, s6
	s_or_b32 s5, s4, s5
	s_or_b32 s5, s8, s5
	s_nor_b32 s5, s5, s48
	s_and_saveexec_b32 s6, s5
	s_xor_b32 s5, exec_lo, s6
	s_cbranch_execz .LBB120_33
; %bb.32:                               ;   in Loop: Header=BB120_7 Depth=2
	global_load_dwordx4 v[4:7], v[6:7], off
	s_waitcnt vmcnt(0)
	ds_write2_b64 v66, v[4:5], v[6:7] offset1:1
.LBB120_33:                             ;   in Loop: Header=BB120_7 Depth=2
	s_andn2_saveexec_b32 s5, s5
	s_cbranch_execz .LBB120_39
; %bb.34:                               ;   in Loop: Header=BB120_7 Depth=2
	s_and_saveexec_b32 s6, s39
	s_xor_b32 s6, exec_lo, s6
	s_cbranch_execz .LBB120_36
; %bb.35:                               ;   in Loop: Header=BB120_7 Depth=2
	v_mov_b32_e32 v4, v2
	v_mov_b32_e32 v5, v2
	;; [unrolled: 1-line block ×4, first 2 shown]
	ds_write_b128 v62, v[4:7] offset:8448
.LBB120_36:                             ;   in Loop: Header=BB120_7 Depth=2
	s_andn2_saveexec_b32 s6, s6
; %bb.37:                               ;   in Loop: Header=BB120_7 Depth=2
	v_mov_b32_e32 v4, v2
	v_mov_b32_e32 v5, v2
	ds_write_b128 v62, v[2:5] offset:8448
; %bb.38:                               ;   in Loop: Header=BB120_7 Depth=2
	s_or_b32 exec_lo, exec_lo, s6
.LBB120_39:                             ;   in Loop: Header=BB120_7 Depth=2
	s_or_b32 exec_lo, exec_lo, s5
	v_add_co_u32 v4, s5, v18, s22
	v_add_co_ci_u32_e64 v5, null, s23, v19, s5
	v_add_co_u32 v6, s6, v24, v42
	v_add_co_ci_u32_e64 v7, null, v25, v43, s6
	v_cmp_le_i64_e64 s5, s[30:31], v[4:5]
	s_nor_b32 s6, s5, s0
	s_and_saveexec_b32 s8, s6
	s_xor_b32 s6, exec_lo, s8
	s_cbranch_execz .LBB120_41
; %bb.40:                               ;   in Loop: Header=BB120_7 Depth=2
	global_load_dwordx4 v[8:11], v[6:7], off offset:-256
	s_waitcnt vmcnt(0)
	ds_write2_b64 v63, v[8:9], v[10:11] offset1:1
.LBB120_41:                             ;   in Loop: Header=BB120_7 Depth=2
	s_andn2_saveexec_b32 s6, s6
	s_cbranch_execz .LBB120_43
; %bb.42:                               ;   in Loop: Header=BB120_7 Depth=2
	v_mov_b32_e32 v8, v2
	v_mov_b32_e32 v9, v2
	;; [unrolled: 1-line block ×4, first 2 shown]
	ds_write_b128 v63, v[8:11]
.LBB120_43:                             ;   in Loop: Header=BB120_7 Depth=2
	s_or_b32 exec_lo, exec_lo, s6
	s_nor_b32 s5, s5, s1
	s_and_saveexec_b32 s6, s5
	s_xor_b32 s5, exec_lo, s6
	s_cbranch_execz .LBB120_45
; %bb.44:                               ;   in Loop: Header=BB120_7 Depth=2
	global_load_dwordx4 v[6:9], v[6:7], off
	s_waitcnt vmcnt(0)
	ds_write2_b64 v67, v[6:7], v[8:9] offset1:1
.LBB120_45:                             ;   in Loop: Header=BB120_7 Depth=2
	s_andn2_saveexec_b32 s5, s5
	s_cbranch_execz .LBB120_47
; %bb.46:                               ;   in Loop: Header=BB120_7 Depth=2
	v_mov_b32_e32 v6, v2
	v_mov_b32_e32 v7, v2
	;; [unrolled: 1-line block ×4, first 2 shown]
	ds_write_b128 v63, v[6:9] offset:256
.LBB120_47:                             ;   in Loop: Header=BB120_7 Depth=2
	s_or_b32 exec_lo, exec_lo, s5
	v_cmp_le_i64_e64 s5, s[40:41], v[4:5]
	v_add_co_u32 v4, s6, v32, v42
	v_add_co_ci_u32_e64 v5, null, v33, v43, s6
	s_nor_b32 s6, s5, s0
	s_and_saveexec_b32 s8, s6
	s_xor_b32 s6, exec_lo, s8
	s_cbranch_execz .LBB120_49
; %bb.48:                               ;   in Loop: Header=BB120_7 Depth=2
	global_load_dwordx4 v[6:9], v[4:5], off
	s_waitcnt vmcnt(0)
	ds_write2_b64 v68, v[6:7], v[8:9] offset1:1
.LBB120_49:                             ;   in Loop: Header=BB120_7 Depth=2
	s_andn2_saveexec_b32 s6, s6
	s_cbranch_execz .LBB120_51
; %bb.50:                               ;   in Loop: Header=BB120_7 Depth=2
	v_mov_b32_e32 v6, v2
	v_mov_b32_e32 v7, v2
	;; [unrolled: 1-line block ×4, first 2 shown]
	ds_write_b128 v63, v[6:9] offset:8192
.LBB120_51:                             ;   in Loop: Header=BB120_7 Depth=2
	s_or_b32 exec_lo, exec_lo, s6
	s_nor_b32 s5, s5, s1
	s_and_saveexec_b32 s6, s5
	s_xor_b32 s5, exec_lo, s6
	s_cbranch_execz .LBB120_53
; %bb.52:                               ;   in Loop: Header=BB120_7 Depth=2
	global_load_dwordx4 v[4:7], v[4:5], off offset:256
	s_waitcnt vmcnt(0)
	ds_write2_b64 v69, v[4:5], v[6:7] offset1:1
.LBB120_53:                             ;   in Loop: Header=BB120_7 Depth=2
	s_andn2_saveexec_b32 s5, s5
	s_cbranch_execz .LBB120_6
; %bb.54:                               ;   in Loop: Header=BB120_7 Depth=2
	v_mov_b32_e32 v4, v2
	v_mov_b32_e32 v5, v2
	;; [unrolled: 1-line block ×4, first 2 shown]
	ds_write_b128 v63, v[4:7] offset:8448
	s_branch .LBB120_6
.LBB120_55:                             ;   in Loop: Header=BB120_4 Depth=1
	v_mov_b32_e32 v52, 0
	v_mov_b32_e32 v54, 0
	;; [unrolled: 1-line block ×16, first 2 shown]
.LBB120_56:                             ;   in Loop: Header=BB120_4 Depth=1
	v_mul_lo_u32 v0, s45, v22
	v_mul_lo_u32 v6, s44, v23
	v_mad_u64_u32 v[4:5], null, s44, v22, 0
	v_cmp_gt_i32_e64 s3, s30, v22
	v_add3_u32 v5, v5, v6, v0
	v_lshlrev_b64 v[4:5], 4, v[4:5]
	v_add_co_u32 v0, s4, s42, v4
	v_add_co_ci_u32_e64 v4, null, s43, v5, s4
	s_and_b32 s4, vcc_lo, s3
	s_and_saveexec_b32 s5, s4
	s_cbranch_execz .LBB120_58
; %bb.57:                               ;   in Loop: Header=BB120_4 Depth=1
	v_add_co_u32 v9, s4, v0, v16
	v_add_co_ci_u32_e64 v10, null, v4, v17, s4
	v_mul_f64 v[23:24], s[14:15], v[54:55]
	v_mul_f64 v[25:26], s[12:13], v[54:55]
	global_load_dwordx4 v[5:8], v[9:10], off
	v_fma_f64 v[23:24], s[12:13], v[52:53], -v[23:24]
	v_fma_f64 v[25:26], s[14:15], v[52:53], v[25:26]
	s_waitcnt vmcnt(0)
	v_add_f64 v[5:6], v[5:6], v[23:24]
	v_add_f64 v[7:8], v[25:26], v[7:8]
	global_store_dwordx4 v[9:10], v[5:8], off
.LBB120_58:                             ;   in Loop: Header=BB120_4 Depth=1
	s_or_b32 exec_lo, exec_lo, s5
	s_and_b32 s3, s2, s3
	s_and_saveexec_b32 s4, s3
	s_cbranch_execz .LBB120_60
; %bb.59:                               ;   in Loop: Header=BB120_4 Depth=1
	v_lshlrev_b64 v[5:6], 4, v[12:13]
	v_mul_f64 v[10:11], s[14:15], v[46:47]
	v_mul_f64 v[23:24], s[12:13], v[46:47]
	v_add_co_u32 v8, s3, v0, v5
	v_add_co_ci_u32_e64 v9, null, v4, v6, s3
	global_load_dwordx4 v[4:7], v[8:9], off
	v_fma_f64 v[10:11], s[12:13], v[44:45], -v[10:11]
	v_fma_f64 v[23:24], s[14:15], v[44:45], v[23:24]
	s_waitcnt vmcnt(0)
	v_add_f64 v[4:5], v[4:5], v[10:11]
	v_add_f64 v[6:7], v[23:24], v[6:7]
	global_store_dwordx4 v[8:9], v[4:7], off
.LBB120_60:                             ;   in Loop: Header=BB120_4 Depth=1
	s_or_b32 exec_lo, exec_lo, s4
	v_add_nc_u32_e32 v0, 16, v22
	v_ashrrev_i32_e32 v6, 31, v0
	v_mul_lo_u32 v7, s45, v0
	v_mad_u64_u32 v[4:5], null, s44, v0, 0
	v_cmp_gt_i32_e64 s3, s30, v0
	v_mul_lo_u32 v6, s44, v6
	v_add3_u32 v5, v5, v6, v7
	v_lshlrev_b64 v[4:5], 4, v[4:5]
	v_add_co_u32 v0, s4, s42, v4
	v_add_co_ci_u32_e64 v4, null, s43, v5, s4
	s_and_b32 s4, vcc_lo, s3
	s_and_saveexec_b32 s5, s4
	s_cbranch_execz .LBB120_62
; %bb.61:                               ;   in Loop: Header=BB120_4 Depth=1
	v_add_co_u32 v9, s4, v0, v16
	v_add_co_ci_u32_e64 v10, null, v4, v17, s4
	v_mul_f64 v[22:23], s[14:15], v[50:51]
	v_mul_f64 v[24:25], s[12:13], v[50:51]
	global_load_dwordx4 v[5:8], v[9:10], off
	v_fma_f64 v[22:23], s[12:13], v[48:49], -v[22:23]
	v_fma_f64 v[24:25], s[14:15], v[48:49], v[24:25]
	s_waitcnt vmcnt(0)
	v_add_f64 v[5:6], v[5:6], v[22:23]
	v_add_f64 v[7:8], v[24:25], v[7:8]
	global_store_dwordx4 v[9:10], v[5:8], off
.LBB120_62:                             ;   in Loop: Header=BB120_4 Depth=1
	s_or_b32 exec_lo, exec_lo, s5
	s_and_b32 s3, s2, s3
	s_and_saveexec_b32 s4, s3
	s_cbranch_execz .LBB120_3
; %bb.63:                               ;   in Loop: Header=BB120_4 Depth=1
	v_lshlrev_b64 v[5:6], 4, v[12:13]
	v_mul_f64 v[10:11], s[14:15], v[56:57]
	v_mul_f64 v[22:23], s[12:13], v[56:57]
	v_add_co_u32 v8, s3, v0, v5
	v_add_co_ci_u32_e64 v9, null, v4, v6, s3
	global_load_dwordx4 v[4:7], v[8:9], off
	v_fma_f64 v[10:11], s[12:13], v[58:59], -v[10:11]
	v_fma_f64 v[22:23], s[14:15], v[58:59], v[22:23]
	s_waitcnt vmcnt(0)
	v_add_f64 v[4:5], v[4:5], v[10:11]
	v_add_f64 v[6:7], v[22:23], v[6:7]
	global_store_dwordx4 v[8:9], v[4:7], off
	s_branch .LBB120_3
.LBB120_64:
	s_endpgm
	.section	.rodata,"a",@progbits
	.p2align	6, 0x0
	.amdhsa_kernel _ZL30rocblas_trmm_outofplace_kernelI19rocblas_complex_numIdELi32ELi2ELb0ELb0ELb0ELb0EPKS1_S2_S1_Ev17rocblas_diagonal_iiT6_lPT7_lllS7_lllPT8_llli
		.amdhsa_group_segment_fixed_size 32768
		.amdhsa_private_segment_fixed_size 0
		.amdhsa_kernarg_size 392
		.amdhsa_user_sgpr_count 6
		.amdhsa_user_sgpr_private_segment_buffer 1
		.amdhsa_user_sgpr_dispatch_ptr 0
		.amdhsa_user_sgpr_queue_ptr 0
		.amdhsa_user_sgpr_kernarg_segment_ptr 1
		.amdhsa_user_sgpr_dispatch_id 0
		.amdhsa_user_sgpr_flat_scratch_init 0
		.amdhsa_user_sgpr_private_segment_size 0
		.amdhsa_wavefront_size32 1
		.amdhsa_uses_dynamic_stack 0
		.amdhsa_system_sgpr_private_segment_wavefront_offset 0
		.amdhsa_system_sgpr_workgroup_id_x 1
		.amdhsa_system_sgpr_workgroup_id_y 1
		.amdhsa_system_sgpr_workgroup_id_z 1
		.amdhsa_system_sgpr_workgroup_info 0
		.amdhsa_system_vgpr_workitem_id 1
		.amdhsa_next_free_vgpr 88
		.amdhsa_next_free_sgpr 50
		.amdhsa_reserve_vcc 1
		.amdhsa_reserve_flat_scratch 0
		.amdhsa_float_round_mode_32 0
		.amdhsa_float_round_mode_16_64 0
		.amdhsa_float_denorm_mode_32 3
		.amdhsa_float_denorm_mode_16_64 3
		.amdhsa_dx10_clamp 1
		.amdhsa_ieee_mode 1
		.amdhsa_fp16_overflow 0
		.amdhsa_workgroup_processor_mode 1
		.amdhsa_memory_ordered 1
		.amdhsa_forward_progress 1
		.amdhsa_shared_vgpr_count 0
		.amdhsa_exception_fp_ieee_invalid_op 0
		.amdhsa_exception_fp_denorm_src 0
		.amdhsa_exception_fp_ieee_div_zero 0
		.amdhsa_exception_fp_ieee_overflow 0
		.amdhsa_exception_fp_ieee_underflow 0
		.amdhsa_exception_fp_ieee_inexact 0
		.amdhsa_exception_int_div_zero 0
	.end_amdhsa_kernel
	.section	.text._ZL30rocblas_trmm_outofplace_kernelI19rocblas_complex_numIdELi32ELi2ELb0ELb0ELb0ELb0EPKS1_S2_S1_Ev17rocblas_diagonal_iiT6_lPT7_lllS7_lllPT8_llli,"axG",@progbits,_ZL30rocblas_trmm_outofplace_kernelI19rocblas_complex_numIdELi32ELi2ELb0ELb0ELb0ELb0EPKS1_S2_S1_Ev17rocblas_diagonal_iiT6_lPT7_lllS7_lllPT8_llli,comdat
.Lfunc_end120:
	.size	_ZL30rocblas_trmm_outofplace_kernelI19rocblas_complex_numIdELi32ELi2ELb0ELb0ELb0ELb0EPKS1_S2_S1_Ev17rocblas_diagonal_iiT6_lPT7_lllS7_lllPT8_llli, .Lfunc_end120-_ZL30rocblas_trmm_outofplace_kernelI19rocblas_complex_numIdELi32ELi2ELb0ELb0ELb0ELb0EPKS1_S2_S1_Ev17rocblas_diagonal_iiT6_lPT7_lllS7_lllPT8_llli
                                        ; -- End function
	.set _ZL30rocblas_trmm_outofplace_kernelI19rocblas_complex_numIdELi32ELi2ELb0ELb0ELb0ELb0EPKS1_S2_S1_Ev17rocblas_diagonal_iiT6_lPT7_lllS7_lllPT8_llli.num_vgpr, 88
	.set _ZL30rocblas_trmm_outofplace_kernelI19rocblas_complex_numIdELi32ELi2ELb0ELb0ELb0ELb0EPKS1_S2_S1_Ev17rocblas_diagonal_iiT6_lPT7_lllS7_lllPT8_llli.num_agpr, 0
	.set _ZL30rocblas_trmm_outofplace_kernelI19rocblas_complex_numIdELi32ELi2ELb0ELb0ELb0ELb0EPKS1_S2_S1_Ev17rocblas_diagonal_iiT6_lPT7_lllS7_lllPT8_llli.numbered_sgpr, 50
	.set _ZL30rocblas_trmm_outofplace_kernelI19rocblas_complex_numIdELi32ELi2ELb0ELb0ELb0ELb0EPKS1_S2_S1_Ev17rocblas_diagonal_iiT6_lPT7_lllS7_lllPT8_llli.num_named_barrier, 0
	.set _ZL30rocblas_trmm_outofplace_kernelI19rocblas_complex_numIdELi32ELi2ELb0ELb0ELb0ELb0EPKS1_S2_S1_Ev17rocblas_diagonal_iiT6_lPT7_lllS7_lllPT8_llli.private_seg_size, 0
	.set _ZL30rocblas_trmm_outofplace_kernelI19rocblas_complex_numIdELi32ELi2ELb0ELb0ELb0ELb0EPKS1_S2_S1_Ev17rocblas_diagonal_iiT6_lPT7_lllS7_lllPT8_llli.uses_vcc, 1
	.set _ZL30rocblas_trmm_outofplace_kernelI19rocblas_complex_numIdELi32ELi2ELb0ELb0ELb0ELb0EPKS1_S2_S1_Ev17rocblas_diagonal_iiT6_lPT7_lllS7_lllPT8_llli.uses_flat_scratch, 0
	.set _ZL30rocblas_trmm_outofplace_kernelI19rocblas_complex_numIdELi32ELi2ELb0ELb0ELb0ELb0EPKS1_S2_S1_Ev17rocblas_diagonal_iiT6_lPT7_lllS7_lllPT8_llli.has_dyn_sized_stack, 0
	.set _ZL30rocblas_trmm_outofplace_kernelI19rocblas_complex_numIdELi32ELi2ELb0ELb0ELb0ELb0EPKS1_S2_S1_Ev17rocblas_diagonal_iiT6_lPT7_lllS7_lllPT8_llli.has_recursion, 0
	.set _ZL30rocblas_trmm_outofplace_kernelI19rocblas_complex_numIdELi32ELi2ELb0ELb0ELb0ELb0EPKS1_S2_S1_Ev17rocblas_diagonal_iiT6_lPT7_lllS7_lllPT8_llli.has_indirect_call, 0
	.section	.AMDGPU.csdata,"",@progbits
; Kernel info:
; codeLenInByte = 10136
; TotalNumSgprs: 52
; NumVgprs: 88
; ScratchSize: 0
; MemoryBound: 0
; FloatMode: 240
; IeeeMode: 1
; LDSByteSize: 32768 bytes/workgroup (compile time only)
; SGPRBlocks: 0
; VGPRBlocks: 10
; NumSGPRsForWavesPerEU: 52
; NumVGPRsForWavesPerEU: 88
; Occupancy: 10
; WaveLimiterHint : 0
; COMPUTE_PGM_RSRC2:SCRATCH_EN: 0
; COMPUTE_PGM_RSRC2:USER_SGPR: 6
; COMPUTE_PGM_RSRC2:TRAP_HANDLER: 0
; COMPUTE_PGM_RSRC2:TGID_X_EN: 1
; COMPUTE_PGM_RSRC2:TGID_Y_EN: 1
; COMPUTE_PGM_RSRC2:TGID_Z_EN: 1
; COMPUTE_PGM_RSRC2:TIDIG_COMP_CNT: 1
	.section	.text._ZL30rocblas_trmm_outofplace_kernelI19rocblas_complex_numIdELi32ELi2ELb0ELb0ELb0ELb0ES1_KS1_S1_Ev17rocblas_diagonal_iiT6_lPT7_lllS6_lllPT8_llli,"axG",@progbits,_ZL30rocblas_trmm_outofplace_kernelI19rocblas_complex_numIdELi32ELi2ELb0ELb0ELb0ELb0ES1_KS1_S1_Ev17rocblas_diagonal_iiT6_lPT7_lllS6_lllPT8_llli,comdat
	.globl	_ZL30rocblas_trmm_outofplace_kernelI19rocblas_complex_numIdELi32ELi2ELb0ELb0ELb0ELb0ES1_KS1_S1_Ev17rocblas_diagonal_iiT6_lPT7_lllS6_lllPT8_llli ; -- Begin function _ZL30rocblas_trmm_outofplace_kernelI19rocblas_complex_numIdELi32ELi2ELb0ELb0ELb0ELb0ES1_KS1_S1_Ev17rocblas_diagonal_iiT6_lPT7_lllS6_lllPT8_llli
	.p2align	8
	.type	_ZL30rocblas_trmm_outofplace_kernelI19rocblas_complex_numIdELi32ELi2ELb0ELb0ELb0ELb0ES1_KS1_S1_Ev17rocblas_diagonal_iiT6_lPT7_lllS6_lllPT8_llli,@function
_ZL30rocblas_trmm_outofplace_kernelI19rocblas_complex_numIdELi32ELi2ELb0ELb0ELb0ELb0ES1_KS1_S1_Ev17rocblas_diagonal_iiT6_lPT7_lllS6_lllPT8_llli: ; @_ZL30rocblas_trmm_outofplace_kernelI19rocblas_complex_numIdELi32ELi2ELb0ELb0ELb0ELb0ES1_KS1_S1_Ev17rocblas_diagonal_iiT6_lPT7_lllS6_lllPT8_llli
; %bb.0:
	s_load_dwordx4 s[28:31], s[4:5], 0x10
	s_waitcnt lgkmcnt(0)
	v_cmp_eq_f64_e64 s0, s[28:29], 0
	v_cmp_eq_f64_e64 s1, s[30:31], 0
	s_and_b32 s0, s0, s1
	s_and_b32 vcc_lo, exec_lo, s0
	s_cbranch_vccnz .LBB121_64
; %bb.1:
	s_load_dwordx4 s[44:47], s[4:5], 0x0
	s_waitcnt lgkmcnt(0)
	s_add_i32 s0, s46, -1
	s_ashr_i32 s1, s0, 31
	s_lshr_b32 s1, s1, 27
	s_add_i32 s0, s0, s1
	s_ashr_i32 s11, s0, 5
	s_cmp_gt_i32 s7, s11
	s_cbranch_scc1 .LBB121_64
; %bb.2:
	s_clause 0x2
	s_load_dwordx8 s[36:43], s[4:5], 0x68
	s_load_dwordx16 s[12:27], s[4:5], 0x28
	s_load_dword s33, s[4:5], 0x94
	v_lshl_add_u32 v2, s6, 5, v0
	v_lshlrev_b32_e32 v3, 4, v0
	v_lshlrev_b32_e32 v60, 9, v1
	v_add_nc_u32_e32 v12, 16, v2
	v_or_b32_e32 v61, 0x4000, v3
	v_add_nc_u32_e32 v62, v60, v3
	v_ashrrev_i32_e32 v3, 31, v2
	v_cmp_gt_i32_e32 vcc_lo, s45, v2
	v_ashrrev_i32_e32 v13, 31, v12
	v_add_nc_u32_e32 v63, v61, v60
	v_add_nc_u32_e32 v64, 0x100, v62
	v_lshlrev_b64 v[16:17], 4, v[2:3]
	v_add_nc_u32_e32 v65, 0x2000, v62
	v_add_nc_u32_e32 v66, 0x2100, v62
	;; [unrolled: 1-line block ×4, first 2 shown]
	s_waitcnt lgkmcnt(0)
	s_mul_i32 s1, s43, s8
	s_mul_hi_u32 s2, s42, s8
	s_mul_i32 s0, s42, s8
	s_add_i32 s1, s2, s1
	s_mul_i32 s4, s27, s8
	s_lshl_b64 s[0:1], s[0:1], 4
	s_mul_hi_u32 s5, s26, s8
	s_add_u32 s2, s36, s0
	s_addc_u32 s3, s37, s1
	s_lshl_b64 s[0:1], s[38:39], 4
	v_add_nc_u32_e32 v69, 0x2100, v63
	s_add_u32 s42, s2, s0
	s_addc_u32 s43, s3, s1
	s_cmpk_eq_i32 s44, 0x84
	v_sub_co_u32 v4, s0, s45, v2
	s_cselect_b32 s44, -1, 0
	s_ashr_i32 s1, s45, 31
	s_ashr_i32 s47, s46, 31
	s_lshl_b64 s[34:35], s[24:25], 9
	s_add_u32 s36, s46, -16
	s_addc_u32 s37, s47, -1
	v_cmp_gt_i32_e64 s2, s45, v12
	s_lshl_b32 s3, s7, 5
	s_lshl_b32 s45, s33, 5
	s_add_u32 s38, s20, 0x100
	s_addc_u32 s39, s21, 0
	s_add_i32 s5, s5, s4
	s_mul_i32 s4, s26, s8
	s_lshl_b64 s[26:27], s[22:23], 4
	s_lshl_b64 s[4:5], s[4:5], 4
	;; [unrolled: 1-line block ×3, first 2 shown]
	s_add_u32 s6, s4, s26
	s_addc_u32 s10, s5, s27
	s_mul_i32 s4, s19, s8
	s_mul_hi_u32 s5, s18, s8
	v_sub_co_ci_u32_e64 v5, null, s1, v3, s0
	s_add_i32 s5, s5, s4
	s_mul_i32 s4, s18, s8
	v_add_nc_u32_e32 v14, s3, v0
	v_add_nc_u32_e32 v18, s3, v1
	s_lshl_b64 s[4:5], s[4:5], 4
	s_lshl_b64 s[8:9], s[14:15], 4
	v_add_co_u32 v20, s3, s6, v16
	v_add_co_ci_u32_e64 v21, null, s10, v17, s3
	s_add_u32 s3, s4, s8
	v_cmp_gt_i64_e64 s0, 1, v[4:5]
	v_cmp_gt_i64_e64 s1, 17, v[4:5]
	s_addc_u32 s4, s5, s9
	s_add_u32 s3, s12, s3
	v_mov_b32_e32 v2, 0
	v_mov_b32_e32 v3, 0x3ff00000
	s_addc_u32 s4, s13, s4
	s_add_u32 s12, s3, 0x100
	s_addc_u32 s13, s4, 0
	s_lshl_b64 s[14:15], s[16:17], 4
	s_branch .LBB121_4
.LBB121_3:                              ;   in Loop: Header=BB121_4 Depth=1
	s_or_b32 exec_lo, exec_lo, s4
	v_add_nc_u32_e32 v14, s45, v14
	v_add_nc_u32_e32 v18, s45, v18
	s_add_i32 s7, s33, s7
	s_cmp_le_i32 s7, s11
	s_cbranch_scc0 .LBB121_64
.LBB121_4:                              ; =>This Loop Header: Depth=1
                                        ;     Child Loop BB121_7 Depth 2
	s_lshl_b32 s3, s7, 5
	v_ashrrev_i32_e32 v15, 31, v14
	v_add_nc_u32_e32 v22, s3, v1
	v_ashrrev_i32_e32 v19, 31, v18
	s_sub_i32 s26, s46, s3
	s_cmp_lt_i32 s26, 1
	v_ashrrev_i32_e32 v23, 31, v22
	s_cbranch_scc1 .LBB121_55
; %bb.5:                                ;   in Loop: Header=BB121_4 Depth=1
	v_lshlrev_b64 v[4:5], 4, v[18:19]
	v_mad_u64_u32 v[24:25], null, s22, v18, s[38:39]
	v_mul_lo_u32 v0, s22, v19
	v_mul_lo_u32 v6, s23, v18
	v_mad_u64_u32 v[30:31], null, s14, v18, s[12:13]
	v_add_co_u32 v4, s3, 0x100, v4
	v_add_co_ci_u32_e64 v5, null, 0, v5, s3
	v_sub_co_u32 v26, s3, v18, v14
	v_sub_co_ci_u32_e64 v27, null, v19, v15, s3
	v_add3_u32 v25, v6, v25, v0
	v_mul_lo_u32 v0, s16, v5
	v_mul_lo_u32 v6, s17, v4
	v_mad_u64_u32 v[28:29], null, s16, v4, s[12:13]
	v_mul_lo_u32 v7, s14, v19
	v_mul_lo_u32 v8, s15, v18
	;; [unrolled: 1-line block ×4, first 2 shown]
	v_mad_u64_u32 v[32:33], null, s24, v4, s[20:21]
	v_add_co_u32 v36, s3, v22, 16
	v_add_co_ci_u32_e64 v37, null, 0, v23, s3
	v_add_co_u32 v38, s5, v26, 16
	v_add_co_ci_u32_e64 v39, null, 0, v27, s5
	v_add_co_u32 v40, s5, v26, -16
	v_lshlrev_b64 v[34:35], 4, v[14:15]
	v_cmp_le_i64_e64 s4, s[46:47], v[36:37]
	v_mov_b32_e32 v56, 0
	v_mov_b32_e32 v58, 0
	;; [unrolled: 1-line block ×9, first 2 shown]
	v_add3_u32 v29, v6, v29, v0
	v_add3_u32 v31, v8, v31, v7
	;; [unrolled: 1-line block ×3, first 2 shown]
	v_cmp_le_i32_e64 s3, s46, v22
	v_add_co_ci_u32_e64 v41, null, -1, v27, s5
	v_mov_b32_e32 v57, 0
	v_mov_b32_e32 v59, 0
	;; [unrolled: 1-line block ×9, first 2 shown]
	s_mov_b64 s[18:19], 0
	s_branch .LBB121_7
.LBB121_6:                              ;   in Loop: Header=BB121_7 Depth=2
	s_or_b32 exec_lo, exec_lo, s5
	s_waitcnt lgkmcnt(0)
	s_barrier
	buffer_gl0_inv
	ds_read_b128 v[70:73], v60
	ds_read_b128 v[74:77], v60 offset:16
	ds_read_b128 v[8:11], v60 offset:32
	;; [unrolled: 1-line block ×3, first 2 shown]
	ds_read_b128 v[78:81], v61
	v_add_co_u32 v42, s5, v42, s34
	v_add_co_ci_u32_e64 v43, null, s35, v43, s5
	v_add_co_u32 v28, s5, 0x200, v28
	v_add_co_ci_u32_e64 v29, null, 0, v29, s5
	;; [unrolled: 2-line block ×3, first 2 shown]
	s_add_u32 s18, s18, 32
	s_addc_u32 s19, s19, 0
	s_cmp_ge_i32 s18, s26
	s_waitcnt lgkmcnt(0)
	v_mul_f64 v[82:83], v[72:73], v[80:81]
	v_mul_f64 v[84:85], v[70:71], v[80:81]
	v_fma_f64 v[82:83], v[70:71], v[78:79], -v[82:83]
	v_fma_f64 v[84:85], v[72:73], v[78:79], v[84:85]
	v_add_f64 v[82:83], v[52:53], v[82:83]
	v_add_f64 v[84:85], v[84:85], v[54:55]
	ds_read_b128 v[52:55], v61 offset:256
	s_waitcnt lgkmcnt(0)
	v_mul_f64 v[86:87], v[72:73], v[54:55]
	v_fma_f64 v[86:87], v[70:71], v[52:53], -v[86:87]
	v_mul_f64 v[70:71], v[70:71], v[54:55]
	v_fma_f64 v[70:71], v[72:73], v[52:53], v[70:71]
	v_add_f64 v[72:73], v[44:45], v[86:87]
	v_add_f64 v[70:71], v[70:71], v[46:47]
	ds_read_b128 v[44:47], v60 offset:8192
	s_waitcnt lgkmcnt(0)
	v_mul_f64 v[86:87], v[46:47], v[80:81]
	v_mul_f64 v[80:81], v[44:45], v[80:81]
	v_fma_f64 v[86:87], v[44:45], v[78:79], -v[86:87]
	v_fma_f64 v[78:79], v[46:47], v[78:79], v[80:81]
	v_add_f64 v[80:81], v[48:49], v[86:87]
	v_mul_f64 v[48:49], v[46:47], v[54:55]
	v_add_f64 v[78:79], v[78:79], v[50:51]
	v_fma_f64 v[48:49], v[44:45], v[52:53], -v[48:49]
	v_mul_f64 v[44:45], v[44:45], v[54:55]
	v_add_f64 v[58:59], v[58:59], v[48:49]
	v_fma_f64 v[44:45], v[46:47], v[52:53], v[44:45]
	v_add_f64 v[56:57], v[44:45], v[56:57]
	ds_read_b128 v[44:47], v61 offset:512
	s_waitcnt lgkmcnt(0)
	v_mul_f64 v[48:49], v[76:77], v[46:47]
	v_mul_f64 v[50:51], v[74:75], v[46:47]
	v_fma_f64 v[48:49], v[74:75], v[44:45], -v[48:49]
	v_fma_f64 v[50:51], v[76:77], v[44:45], v[50:51]
	v_add_f64 v[82:83], v[82:83], v[48:49]
	v_add_f64 v[84:85], v[50:51], v[84:85]
	ds_read_b128 v[48:51], v61 offset:768
	s_waitcnt lgkmcnt(0)
	v_mul_f64 v[52:53], v[76:77], v[50:51]
	v_mul_f64 v[54:55], v[74:75], v[50:51]
	v_fma_f64 v[52:53], v[74:75], v[48:49], -v[52:53]
	v_fma_f64 v[54:55], v[76:77], v[48:49], v[54:55]
	v_add_f64 v[72:73], v[72:73], v[52:53]
	v_add_f64 v[70:71], v[54:55], v[70:71]
	ds_read_b128 v[52:55], v60 offset:8208
	s_waitcnt lgkmcnt(0)
	v_mul_f64 v[74:75], v[54:55], v[46:47]
	v_mul_f64 v[46:47], v[52:53], v[46:47]
	v_fma_f64 v[74:75], v[52:53], v[44:45], -v[74:75]
	v_fma_f64 v[44:45], v[54:55], v[44:45], v[46:47]
	v_mul_f64 v[46:47], v[52:53], v[50:51]
	v_add_f64 v[74:75], v[80:81], v[74:75]
	v_add_f64 v[76:77], v[44:45], v[78:79]
	v_mul_f64 v[44:45], v[54:55], v[50:51]
	v_fma_f64 v[46:47], v[54:55], v[48:49], v[46:47]
	v_fma_f64 v[44:45], v[52:53], v[48:49], -v[44:45]
	v_add_f64 v[54:55], v[46:47], v[56:57]
	v_add_f64 v[52:53], v[58:59], v[44:45]
	ds_read_b128 v[44:47], v61 offset:1024
	s_waitcnt lgkmcnt(0)
	v_mul_f64 v[48:49], v[10:11], v[46:47]
	v_mul_f64 v[50:51], v[8:9], v[46:47]
	v_fma_f64 v[48:49], v[8:9], v[44:45], -v[48:49]
	v_fma_f64 v[50:51], v[10:11], v[44:45], v[50:51]
	v_add_f64 v[56:57], v[82:83], v[48:49]
	v_add_f64 v[58:59], v[50:51], v[84:85]
	ds_read_b128 v[48:51], v61 offset:1280
	s_waitcnt lgkmcnt(0)
	v_mul_f64 v[78:79], v[10:11], v[50:51]
	v_fma_f64 v[78:79], v[8:9], v[48:49], -v[78:79]
	v_mul_f64 v[8:9], v[8:9], v[50:51]
	v_add_f64 v[72:73], v[72:73], v[78:79]
	v_fma_f64 v[8:9], v[10:11], v[48:49], v[8:9]
	v_add_f64 v[70:71], v[8:9], v[70:71]
	ds_read_b128 v[8:11], v60 offset:8224
	s_waitcnt lgkmcnt(0)
	v_mul_f64 v[78:79], v[10:11], v[46:47]
	v_mul_f64 v[46:47], v[8:9], v[46:47]
	v_fma_f64 v[78:79], v[8:9], v[44:45], -v[78:79]
	v_fma_f64 v[44:45], v[10:11], v[44:45], v[46:47]
	v_add_f64 v[74:75], v[74:75], v[78:79]
	v_add_f64 v[76:77], v[44:45], v[76:77]
	v_mul_f64 v[44:45], v[10:11], v[50:51]
	v_fma_f64 v[44:45], v[8:9], v[48:49], -v[44:45]
	v_mul_f64 v[8:9], v[8:9], v[50:51]
	v_fma_f64 v[8:9], v[10:11], v[48:49], v[8:9]
	v_add_f64 v[48:49], v[52:53], v[44:45]
	v_add_f64 v[50:51], v[8:9], v[54:55]
	ds_read_b128 v[8:11], v61 offset:1536
	s_waitcnt lgkmcnt(0)
	v_mul_f64 v[44:45], v[6:7], v[10:11]
	v_mul_f64 v[46:47], v[4:5], v[10:11]
	v_fma_f64 v[44:45], v[4:5], v[8:9], -v[44:45]
	v_fma_f64 v[46:47], v[6:7], v[8:9], v[46:47]
	v_add_f64 v[52:53], v[56:57], v[44:45]
	v_add_f64 v[54:55], v[46:47], v[58:59]
	ds_read_b128 v[44:47], v61 offset:1792
	s_waitcnt lgkmcnt(0)
	v_mul_f64 v[56:57], v[6:7], v[46:47]
	v_fma_f64 v[56:57], v[4:5], v[44:45], -v[56:57]
	v_mul_f64 v[4:5], v[4:5], v[46:47]
	v_add_f64 v[56:57], v[72:73], v[56:57]
	v_fma_f64 v[4:5], v[6:7], v[44:45], v[4:5]
	v_add_f64 v[58:59], v[4:5], v[70:71]
	ds_read_b128 v[4:7], v60 offset:8240
	s_waitcnt lgkmcnt(0)
	v_mul_f64 v[70:71], v[6:7], v[10:11]
	v_mul_f64 v[10:11], v[4:5], v[10:11]
	v_fma_f64 v[70:71], v[4:5], v[8:9], -v[70:71]
	v_fma_f64 v[8:9], v[6:7], v[8:9], v[10:11]
	v_add_f64 v[70:71], v[74:75], v[70:71]
	v_add_f64 v[72:73], v[8:9], v[76:77]
	v_mul_f64 v[8:9], v[6:7], v[46:47]
	v_fma_f64 v[8:9], v[4:5], v[44:45], -v[8:9]
	v_mul_f64 v[4:5], v[4:5], v[46:47]
	v_add_f64 v[48:49], v[48:49], v[8:9]
	v_fma_f64 v[4:5], v[6:7], v[44:45], v[4:5]
	v_add_f64 v[50:51], v[4:5], v[50:51]
	ds_read_b128 v[4:7], v60 offset:64
	ds_read_b128 v[8:11], v61 offset:2048
	s_waitcnt lgkmcnt(0)
	v_mul_f64 v[44:45], v[6:7], v[10:11]
	v_mul_f64 v[46:47], v[4:5], v[10:11]
	v_fma_f64 v[44:45], v[4:5], v[8:9], -v[44:45]
	v_fma_f64 v[46:47], v[6:7], v[8:9], v[46:47]
	v_add_f64 v[52:53], v[52:53], v[44:45]
	v_add_f64 v[54:55], v[46:47], v[54:55]
	ds_read_b128 v[44:47], v61 offset:2304
	s_waitcnt lgkmcnt(0)
	v_mul_f64 v[74:75], v[6:7], v[46:47]
	v_fma_f64 v[74:75], v[4:5], v[44:45], -v[74:75]
	v_mul_f64 v[4:5], v[4:5], v[46:47]
	v_add_f64 v[56:57], v[56:57], v[74:75]
	v_fma_f64 v[4:5], v[6:7], v[44:45], v[4:5]
	v_add_f64 v[58:59], v[4:5], v[58:59]
	ds_read_b128 v[4:7], v60 offset:8256
	s_waitcnt lgkmcnt(0)
	v_mul_f64 v[74:75], v[6:7], v[10:11]
	v_mul_f64 v[10:11], v[4:5], v[10:11]
	v_fma_f64 v[74:75], v[4:5], v[8:9], -v[74:75]
	v_fma_f64 v[8:9], v[6:7], v[8:9], v[10:11]
	v_add_f64 v[70:71], v[70:71], v[74:75]
	v_add_f64 v[72:73], v[8:9], v[72:73]
	v_mul_f64 v[8:9], v[6:7], v[46:47]
	v_fma_f64 v[8:9], v[4:5], v[44:45], -v[8:9]
	v_mul_f64 v[4:5], v[4:5], v[46:47]
	v_add_f64 v[48:49], v[48:49], v[8:9]
	v_fma_f64 v[4:5], v[6:7], v[44:45], v[4:5]
	v_add_f64 v[50:51], v[4:5], v[50:51]
	ds_read_b128 v[4:7], v60 offset:80
	;; [unrolled: 31-line block ×27, first 2 shown]
	ds_read_b128 v[8:11], v61 offset:15360
	s_waitcnt lgkmcnt(0)
	v_mul_f64 v[44:45], v[6:7], v[10:11]
	v_mul_f64 v[46:47], v[4:5], v[10:11]
	v_fma_f64 v[44:45], v[4:5], v[8:9], -v[44:45]
	v_fma_f64 v[46:47], v[6:7], v[8:9], v[46:47]
	v_add_f64 v[52:53], v[52:53], v[44:45]
	v_add_f64 v[54:55], v[46:47], v[54:55]
	ds_read_b128 v[44:47], v61 offset:15616
	s_waitcnt lgkmcnt(0)
	v_mul_f64 v[74:75], v[6:7], v[46:47]
	v_fma_f64 v[74:75], v[4:5], v[44:45], -v[74:75]
	v_mul_f64 v[4:5], v[4:5], v[46:47]
	v_add_f64 v[74:75], v[56:57], v[74:75]
	v_fma_f64 v[4:5], v[6:7], v[44:45], v[4:5]
	v_add_f64 v[76:77], v[4:5], v[58:59]
	ds_read_b128 v[4:7], v60 offset:8672
	s_waitcnt lgkmcnt(0)
	v_mul_f64 v[56:57], v[6:7], v[10:11]
	v_mul_f64 v[10:11], v[4:5], v[10:11]
	v_fma_f64 v[56:57], v[4:5], v[8:9], -v[56:57]
	v_fma_f64 v[8:9], v[6:7], v[8:9], v[10:11]
	v_add_f64 v[78:79], v[70:71], v[56:57]
	v_add_f64 v[80:81], v[8:9], v[72:73]
	v_mul_f64 v[8:9], v[6:7], v[46:47]
	v_fma_f64 v[8:9], v[4:5], v[44:45], -v[8:9]
	v_mul_f64 v[4:5], v[4:5], v[46:47]
	v_fma_f64 v[6:7], v[6:7], v[44:45], v[4:5]
	v_add_f64 v[4:5], v[48:49], v[8:9]
	v_add_f64 v[6:7], v[6:7], v[50:51]
	ds_read_b128 v[8:11], v60 offset:496
	ds_read_b128 v[48:51], v61 offset:15872
	;; [unrolled: 1-line block ×4, first 2 shown]
	s_waitcnt lgkmcnt(0)
	s_barrier
	buffer_gl0_inv
	v_mul_f64 v[44:45], v[10:11], v[50:51]
	v_mul_f64 v[46:47], v[8:9], v[50:51]
	v_fma_f64 v[44:45], v[8:9], v[48:49], -v[44:45]
	v_fma_f64 v[46:47], v[10:11], v[48:49], v[46:47]
	v_add_f64 v[52:53], v[52:53], v[44:45]
	v_mul_f64 v[44:45], v[10:11], v[58:59]
	v_add_f64 v[54:55], v[46:47], v[54:55]
	v_fma_f64 v[44:45], v[8:9], v[56:57], -v[44:45]
	v_mul_f64 v[8:9], v[8:9], v[58:59]
	v_add_f64 v[44:45], v[74:75], v[44:45]
	v_fma_f64 v[8:9], v[10:11], v[56:57], v[8:9]
	v_mul_f64 v[10:11], v[70:71], v[50:51]
	v_add_f64 v[46:47], v[8:9], v[76:77]
	v_mul_f64 v[8:9], v[72:73], v[50:51]
	v_fma_f64 v[10:11], v[72:73], v[48:49], v[10:11]
	v_fma_f64 v[8:9], v[70:71], v[48:49], -v[8:9]
	v_add_f64 v[50:51], v[10:11], v[80:81]
	v_mul_f64 v[10:11], v[70:71], v[58:59]
	v_add_f64 v[48:49], v[78:79], v[8:9]
	v_mul_f64 v[8:9], v[72:73], v[58:59]
	v_fma_f64 v[10:11], v[72:73], v[56:57], v[10:11]
	v_fma_f64 v[8:9], v[70:71], v[56:57], -v[8:9]
	v_add_f64 v[56:57], v[10:11], v[6:7]
	v_add_f64 v[58:59], v[4:5], v[8:9]
	s_cbranch_scc1 .LBB121_56
.LBB121_7:                              ;   Parent Loop BB121_4 Depth=1
                                        ; =>  This Inner Loop Header: Depth=2
	v_add_co_u32 v6, s5, v14, s18
	v_add_co_ci_u32_e64 v7, null, s19, v15, s5
	v_cmp_eq_u64_e64 s8, s[18:19], v[26:27]
	v_add_co_u32 v8, s9, v30, v34
	v_cmp_lt_i64_e64 s5, v[6:7], v[22:23]
	v_cmp_le_i64_e64 s6, s[46:47], v[6:7]
	v_add_co_ci_u32_e64 v9, null, v31, v35, s9
	s_and_b32 s48, s44, s8
	s_or_b32 s9, s3, s5
	s_or_b32 s8, s6, s9
	s_nor_b32 s8, s8, s48
	s_and_saveexec_b32 s9, s8
	s_xor_b32 s8, exec_lo, s9
	s_cbranch_execz .LBB121_9
; %bb.8:                                ;   in Loop: Header=BB121_7 Depth=2
	global_load_dwordx4 v[70:73], v[8:9], off offset:-256
	s_waitcnt vmcnt(0)
	ds_write2_b64 v62, v[70:71], v[72:73] offset1:1
.LBB121_9:                              ;   in Loop: Header=BB121_7 Depth=2
	s_or_saveexec_b32 s8, s8
	s_xor_b32 s27, s48, -1
	s_xor_b32 exec_lo, exec_lo, s8
	s_cbranch_execz .LBB121_15
; %bb.10:                               ;   in Loop: Header=BB121_7 Depth=2
	s_and_saveexec_b32 s9, s27
	s_xor_b32 s9, exec_lo, s9
	s_cbranch_execz .LBB121_12
; %bb.11:                               ;   in Loop: Header=BB121_7 Depth=2
	v_mov_b32_e32 v70, v2
	v_mov_b32_e32 v71, v2
	v_mov_b32_e32 v72, v2
	v_mov_b32_e32 v73, v2
	ds_write_b128 v62, v[70:73]
.LBB121_12:                             ;   in Loop: Header=BB121_7 Depth=2
	s_andn2_saveexec_b32 s9, s9
; %bb.13:                               ;   in Loop: Header=BB121_7 Depth=2
	v_mov_b32_e32 v4, v2
	v_mov_b32_e32 v5, v2
	ds_write_b128 v62, v[2:5]
; %bb.14:                               ;   in Loop: Header=BB121_7 Depth=2
	s_or_b32 exec_lo, exec_lo, s9
.LBB121_15:                             ;   in Loop: Header=BB121_7 Depth=2
	s_or_b32 exec_lo, exec_lo, s8
	v_add_co_u32 v4, s8, v6, 16
	v_add_co_ci_u32_e64 v5, null, 0, v7, s8
	v_cmp_eq_u64_e64 s10, s[18:19], v[40:41]
	v_cmp_lt_i64_e64 s9, v[4:5], v[22:23]
	v_cmp_le_i64_e64 s8, s[46:47], v[4:5]
	s_and_b32 s10, s44, s10
	s_or_b32 s9, s3, s9
	s_or_b32 s9, s8, s9
	s_nor_b32 s9, s9, s10
	s_and_saveexec_b32 s49, s9
	s_xor_b32 s9, exec_lo, s49
	s_cbranch_execz .LBB121_17
; %bb.16:                               ;   in Loop: Header=BB121_7 Depth=2
	global_load_dwordx4 v[8:11], v[8:9], off
	s_waitcnt vmcnt(0)
	ds_write2_b64 v64, v[8:9], v[10:11] offset1:1
.LBB121_17:                             ;   in Loop: Header=BB121_7 Depth=2
	s_andn2_saveexec_b32 s9, s9
	s_cbranch_execz .LBB121_23
; %bb.18:                               ;   in Loop: Header=BB121_7 Depth=2
	s_xor_b32 s10, s10, -1
	s_and_saveexec_b32 s49, s10
	s_xor_b32 s10, exec_lo, s49
	s_cbranch_execz .LBB121_20
; %bb.19:                               ;   in Loop: Header=BB121_7 Depth=2
	v_mov_b32_e32 v8, v2
	v_mov_b32_e32 v9, v2
	;; [unrolled: 1-line block ×4, first 2 shown]
	ds_write_b128 v62, v[8:11] offset:256
.LBB121_20:                             ;   in Loop: Header=BB121_7 Depth=2
	s_andn2_saveexec_b32 s10, s10
; %bb.21:                               ;   in Loop: Header=BB121_7 Depth=2
	v_mov_b32_e32 v4, v2
	v_mov_b32_e32 v5, v2
	ds_write_b128 v62, v[2:5] offset:256
; %bb.22:                               ;   in Loop: Header=BB121_7 Depth=2
	s_or_b32 exec_lo, exec_lo, s10
.LBB121_23:                             ;   in Loop: Header=BB121_7 Depth=2
	s_or_b32 exec_lo, exec_lo, s9
	v_cmp_eq_u64_e64 s9, s[18:19], v[38:39]
	v_cmp_lt_i64_e64 s10, v[6:7], v[36:37]
	s_and_b32 s49, s44, s9
	v_add_co_u32 v6, s9, v28, v34
	s_or_b32 s10, s4, s10
	v_add_co_ci_u32_e64 v7, null, v29, v35, s9
	s_or_b32 s9, s10, s49
	s_nor_b32 s6, s6, s9
	s_and_saveexec_b32 s9, s6
	s_xor_b32 s6, exec_lo, s9
	s_cbranch_execz .LBB121_25
; %bb.24:                               ;   in Loop: Header=BB121_7 Depth=2
	global_load_dwordx4 v[8:11], v[6:7], off offset:-256
	s_waitcnt vmcnt(0)
	ds_write2_b64 v65, v[8:9], v[10:11] offset1:1
.LBB121_25:                             ;   in Loop: Header=BB121_7 Depth=2
	s_andn2_saveexec_b32 s6, s6
	s_cbranch_execz .LBB121_31
; %bb.26:                               ;   in Loop: Header=BB121_7 Depth=2
	s_xor_b32 s9, s49, -1
	s_and_saveexec_b32 s10, s9
	s_xor_b32 s9, exec_lo, s10
	s_cbranch_execz .LBB121_28
; %bb.27:                               ;   in Loop: Header=BB121_7 Depth=2
	v_mov_b32_e32 v8, v2
	v_mov_b32_e32 v9, v2
	;; [unrolled: 1-line block ×4, first 2 shown]
	ds_write_b128 v62, v[8:11] offset:8192
.LBB121_28:                             ;   in Loop: Header=BB121_7 Depth=2
	s_andn2_saveexec_b32 s9, s9
; %bb.29:                               ;   in Loop: Header=BB121_7 Depth=2
	v_mov_b32_e32 v4, v2
	v_mov_b32_e32 v5, v2
	ds_write_b128 v62, v[2:5] offset:8192
; %bb.30:                               ;   in Loop: Header=BB121_7 Depth=2
	s_or_b32 exec_lo, exec_lo, s9
.LBB121_31:                             ;   in Loop: Header=BB121_7 Depth=2
	s_or_b32 exec_lo, exec_lo, s6
	s_or_b32 s5, s4, s5
	s_or_b32 s5, s8, s5
	s_nor_b32 s5, s5, s48
	s_and_saveexec_b32 s6, s5
	s_xor_b32 s5, exec_lo, s6
	s_cbranch_execz .LBB121_33
; %bb.32:                               ;   in Loop: Header=BB121_7 Depth=2
	global_load_dwordx4 v[4:7], v[6:7], off
	s_waitcnt vmcnt(0)
	ds_write2_b64 v66, v[4:5], v[6:7] offset1:1
.LBB121_33:                             ;   in Loop: Header=BB121_7 Depth=2
	s_andn2_saveexec_b32 s5, s5
	s_cbranch_execz .LBB121_39
; %bb.34:                               ;   in Loop: Header=BB121_7 Depth=2
	s_and_saveexec_b32 s6, s27
	s_xor_b32 s6, exec_lo, s6
	s_cbranch_execz .LBB121_36
; %bb.35:                               ;   in Loop: Header=BB121_7 Depth=2
	v_mov_b32_e32 v4, v2
	v_mov_b32_e32 v5, v2
	;; [unrolled: 1-line block ×4, first 2 shown]
	ds_write_b128 v62, v[4:7] offset:8448
.LBB121_36:                             ;   in Loop: Header=BB121_7 Depth=2
	s_andn2_saveexec_b32 s6, s6
; %bb.37:                               ;   in Loop: Header=BB121_7 Depth=2
	v_mov_b32_e32 v4, v2
	v_mov_b32_e32 v5, v2
	ds_write_b128 v62, v[2:5] offset:8448
; %bb.38:                               ;   in Loop: Header=BB121_7 Depth=2
	s_or_b32 exec_lo, exec_lo, s6
.LBB121_39:                             ;   in Loop: Header=BB121_7 Depth=2
	s_or_b32 exec_lo, exec_lo, s5
	v_add_co_u32 v4, s5, v18, s18
	v_add_co_ci_u32_e64 v5, null, s19, v19, s5
	v_add_co_u32 v6, s6, v24, v42
	v_add_co_ci_u32_e64 v7, null, v25, v43, s6
	v_cmp_le_i64_e64 s5, s[46:47], v[4:5]
	s_nor_b32 s6, s5, s0
	s_and_saveexec_b32 s8, s6
	s_xor_b32 s6, exec_lo, s8
	s_cbranch_execz .LBB121_41
; %bb.40:                               ;   in Loop: Header=BB121_7 Depth=2
	global_load_dwordx4 v[8:11], v[6:7], off offset:-256
	s_waitcnt vmcnt(0)
	ds_write2_b64 v63, v[8:9], v[10:11] offset1:1
.LBB121_41:                             ;   in Loop: Header=BB121_7 Depth=2
	s_andn2_saveexec_b32 s6, s6
	s_cbranch_execz .LBB121_43
; %bb.42:                               ;   in Loop: Header=BB121_7 Depth=2
	v_mov_b32_e32 v8, v2
	v_mov_b32_e32 v9, v2
	;; [unrolled: 1-line block ×4, first 2 shown]
	ds_write_b128 v63, v[8:11]
.LBB121_43:                             ;   in Loop: Header=BB121_7 Depth=2
	s_or_b32 exec_lo, exec_lo, s6
	s_nor_b32 s5, s5, s1
	s_and_saveexec_b32 s6, s5
	s_xor_b32 s5, exec_lo, s6
	s_cbranch_execz .LBB121_45
; %bb.44:                               ;   in Loop: Header=BB121_7 Depth=2
	global_load_dwordx4 v[6:9], v[6:7], off
	s_waitcnt vmcnt(0)
	ds_write2_b64 v67, v[6:7], v[8:9] offset1:1
.LBB121_45:                             ;   in Loop: Header=BB121_7 Depth=2
	s_andn2_saveexec_b32 s5, s5
	s_cbranch_execz .LBB121_47
; %bb.46:                               ;   in Loop: Header=BB121_7 Depth=2
	v_mov_b32_e32 v6, v2
	v_mov_b32_e32 v7, v2
	v_mov_b32_e32 v8, v2
	v_mov_b32_e32 v9, v2
	ds_write_b128 v63, v[6:9] offset:256
.LBB121_47:                             ;   in Loop: Header=BB121_7 Depth=2
	s_or_b32 exec_lo, exec_lo, s5
	v_cmp_le_i64_e64 s5, s[36:37], v[4:5]
	v_add_co_u32 v4, s6, v32, v42
	v_add_co_ci_u32_e64 v5, null, v33, v43, s6
	s_nor_b32 s6, s5, s0
	s_and_saveexec_b32 s8, s6
	s_xor_b32 s6, exec_lo, s8
	s_cbranch_execz .LBB121_49
; %bb.48:                               ;   in Loop: Header=BB121_7 Depth=2
	global_load_dwordx4 v[6:9], v[4:5], off
	s_waitcnt vmcnt(0)
	ds_write2_b64 v68, v[6:7], v[8:9] offset1:1
.LBB121_49:                             ;   in Loop: Header=BB121_7 Depth=2
	s_andn2_saveexec_b32 s6, s6
	s_cbranch_execz .LBB121_51
; %bb.50:                               ;   in Loop: Header=BB121_7 Depth=2
	v_mov_b32_e32 v6, v2
	v_mov_b32_e32 v7, v2
	;; [unrolled: 1-line block ×4, first 2 shown]
	ds_write_b128 v63, v[6:9] offset:8192
.LBB121_51:                             ;   in Loop: Header=BB121_7 Depth=2
	s_or_b32 exec_lo, exec_lo, s6
	s_nor_b32 s5, s5, s1
	s_and_saveexec_b32 s6, s5
	s_xor_b32 s5, exec_lo, s6
	s_cbranch_execz .LBB121_53
; %bb.52:                               ;   in Loop: Header=BB121_7 Depth=2
	global_load_dwordx4 v[4:7], v[4:5], off offset:256
	s_waitcnt vmcnt(0)
	ds_write2_b64 v69, v[4:5], v[6:7] offset1:1
.LBB121_53:                             ;   in Loop: Header=BB121_7 Depth=2
	s_andn2_saveexec_b32 s5, s5
	s_cbranch_execz .LBB121_6
; %bb.54:                               ;   in Loop: Header=BB121_7 Depth=2
	v_mov_b32_e32 v4, v2
	v_mov_b32_e32 v5, v2
	;; [unrolled: 1-line block ×4, first 2 shown]
	ds_write_b128 v63, v[4:7] offset:8448
	s_branch .LBB121_6
.LBB121_55:                             ;   in Loop: Header=BB121_4 Depth=1
	v_mov_b32_e32 v52, 0
	v_mov_b32_e32 v54, 0
	;; [unrolled: 1-line block ×16, first 2 shown]
.LBB121_56:                             ;   in Loop: Header=BB121_4 Depth=1
	v_mul_lo_u32 v0, s41, v22
	v_mul_lo_u32 v6, s40, v23
	v_mad_u64_u32 v[4:5], null, s40, v22, 0
	v_cmp_gt_i32_e64 s3, s46, v22
	v_add3_u32 v5, v5, v6, v0
	v_lshlrev_b64 v[4:5], 4, v[4:5]
	v_add_co_u32 v0, s4, s42, v4
	v_add_co_ci_u32_e64 v4, null, s43, v5, s4
	s_and_b32 s4, vcc_lo, s3
	s_and_saveexec_b32 s5, s4
	s_cbranch_execz .LBB121_58
; %bb.57:                               ;   in Loop: Header=BB121_4 Depth=1
	v_add_co_u32 v9, s4, v0, v16
	v_add_co_ci_u32_e64 v10, null, v4, v17, s4
	v_mul_f64 v[23:24], s[30:31], v[54:55]
	v_mul_f64 v[25:26], s[28:29], v[54:55]
	global_load_dwordx4 v[5:8], v[9:10], off
	v_fma_f64 v[23:24], s[28:29], v[52:53], -v[23:24]
	v_fma_f64 v[25:26], s[30:31], v[52:53], v[25:26]
	s_waitcnt vmcnt(0)
	v_add_f64 v[5:6], v[5:6], v[23:24]
	v_add_f64 v[7:8], v[25:26], v[7:8]
	global_store_dwordx4 v[9:10], v[5:8], off
.LBB121_58:                             ;   in Loop: Header=BB121_4 Depth=1
	s_or_b32 exec_lo, exec_lo, s5
	s_and_b32 s3, s2, s3
	s_and_saveexec_b32 s4, s3
	s_cbranch_execz .LBB121_60
; %bb.59:                               ;   in Loop: Header=BB121_4 Depth=1
	v_lshlrev_b64 v[5:6], 4, v[12:13]
	v_mul_f64 v[10:11], s[30:31], v[46:47]
	v_mul_f64 v[23:24], s[28:29], v[46:47]
	v_add_co_u32 v8, s3, v0, v5
	v_add_co_ci_u32_e64 v9, null, v4, v6, s3
	global_load_dwordx4 v[4:7], v[8:9], off
	v_fma_f64 v[10:11], s[28:29], v[44:45], -v[10:11]
	v_fma_f64 v[23:24], s[30:31], v[44:45], v[23:24]
	s_waitcnt vmcnt(0)
	v_add_f64 v[4:5], v[4:5], v[10:11]
	v_add_f64 v[6:7], v[23:24], v[6:7]
	global_store_dwordx4 v[8:9], v[4:7], off
.LBB121_60:                             ;   in Loop: Header=BB121_4 Depth=1
	s_or_b32 exec_lo, exec_lo, s4
	v_add_nc_u32_e32 v0, 16, v22
	v_ashrrev_i32_e32 v6, 31, v0
	v_mul_lo_u32 v7, s41, v0
	v_mad_u64_u32 v[4:5], null, s40, v0, 0
	v_cmp_gt_i32_e64 s3, s46, v0
	v_mul_lo_u32 v6, s40, v6
	v_add3_u32 v5, v5, v6, v7
	v_lshlrev_b64 v[4:5], 4, v[4:5]
	v_add_co_u32 v0, s4, s42, v4
	v_add_co_ci_u32_e64 v4, null, s43, v5, s4
	s_and_b32 s4, vcc_lo, s3
	s_and_saveexec_b32 s5, s4
	s_cbranch_execz .LBB121_62
; %bb.61:                               ;   in Loop: Header=BB121_4 Depth=1
	v_add_co_u32 v9, s4, v0, v16
	v_add_co_ci_u32_e64 v10, null, v4, v17, s4
	v_mul_f64 v[22:23], s[30:31], v[50:51]
	v_mul_f64 v[24:25], s[28:29], v[50:51]
	global_load_dwordx4 v[5:8], v[9:10], off
	v_fma_f64 v[22:23], s[28:29], v[48:49], -v[22:23]
	v_fma_f64 v[24:25], s[30:31], v[48:49], v[24:25]
	s_waitcnt vmcnt(0)
	v_add_f64 v[5:6], v[5:6], v[22:23]
	v_add_f64 v[7:8], v[24:25], v[7:8]
	global_store_dwordx4 v[9:10], v[5:8], off
.LBB121_62:                             ;   in Loop: Header=BB121_4 Depth=1
	s_or_b32 exec_lo, exec_lo, s5
	s_and_b32 s3, s2, s3
	s_and_saveexec_b32 s4, s3
	s_cbranch_execz .LBB121_3
; %bb.63:                               ;   in Loop: Header=BB121_4 Depth=1
	v_lshlrev_b64 v[5:6], 4, v[12:13]
	v_mul_f64 v[10:11], s[30:31], v[56:57]
	v_mul_f64 v[22:23], s[28:29], v[56:57]
	v_add_co_u32 v8, s3, v0, v5
	v_add_co_ci_u32_e64 v9, null, v4, v6, s3
	global_load_dwordx4 v[4:7], v[8:9], off
	v_fma_f64 v[10:11], s[28:29], v[58:59], -v[10:11]
	v_fma_f64 v[22:23], s[30:31], v[58:59], v[22:23]
	s_waitcnt vmcnt(0)
	v_add_f64 v[4:5], v[4:5], v[10:11]
	v_add_f64 v[6:7], v[22:23], v[6:7]
	global_store_dwordx4 v[8:9], v[4:7], off
	s_branch .LBB121_3
.LBB121_64:
	s_endpgm
	.section	.rodata,"a",@progbits
	.p2align	6, 0x0
	.amdhsa_kernel _ZL30rocblas_trmm_outofplace_kernelI19rocblas_complex_numIdELi32ELi2ELb0ELb0ELb0ELb0ES1_KS1_S1_Ev17rocblas_diagonal_iiT6_lPT7_lllS6_lllPT8_llli
		.amdhsa_group_segment_fixed_size 32768
		.amdhsa_private_segment_fixed_size 0
		.amdhsa_kernarg_size 400
		.amdhsa_user_sgpr_count 6
		.amdhsa_user_sgpr_private_segment_buffer 1
		.amdhsa_user_sgpr_dispatch_ptr 0
		.amdhsa_user_sgpr_queue_ptr 0
		.amdhsa_user_sgpr_kernarg_segment_ptr 1
		.amdhsa_user_sgpr_dispatch_id 0
		.amdhsa_user_sgpr_flat_scratch_init 0
		.amdhsa_user_sgpr_private_segment_size 0
		.amdhsa_wavefront_size32 1
		.amdhsa_uses_dynamic_stack 0
		.amdhsa_system_sgpr_private_segment_wavefront_offset 0
		.amdhsa_system_sgpr_workgroup_id_x 1
		.amdhsa_system_sgpr_workgroup_id_y 1
		.amdhsa_system_sgpr_workgroup_id_z 1
		.amdhsa_system_sgpr_workgroup_info 0
		.amdhsa_system_vgpr_workitem_id 1
		.amdhsa_next_free_vgpr 88
		.amdhsa_next_free_sgpr 50
		.amdhsa_reserve_vcc 1
		.amdhsa_reserve_flat_scratch 0
		.amdhsa_float_round_mode_32 0
		.amdhsa_float_round_mode_16_64 0
		.amdhsa_float_denorm_mode_32 3
		.amdhsa_float_denorm_mode_16_64 3
		.amdhsa_dx10_clamp 1
		.amdhsa_ieee_mode 1
		.amdhsa_fp16_overflow 0
		.amdhsa_workgroup_processor_mode 1
		.amdhsa_memory_ordered 1
		.amdhsa_forward_progress 1
		.amdhsa_shared_vgpr_count 0
		.amdhsa_exception_fp_ieee_invalid_op 0
		.amdhsa_exception_fp_denorm_src 0
		.amdhsa_exception_fp_ieee_div_zero 0
		.amdhsa_exception_fp_ieee_overflow 0
		.amdhsa_exception_fp_ieee_underflow 0
		.amdhsa_exception_fp_ieee_inexact 0
		.amdhsa_exception_int_div_zero 0
	.end_amdhsa_kernel
	.section	.text._ZL30rocblas_trmm_outofplace_kernelI19rocblas_complex_numIdELi32ELi2ELb0ELb0ELb0ELb0ES1_KS1_S1_Ev17rocblas_diagonal_iiT6_lPT7_lllS6_lllPT8_llli,"axG",@progbits,_ZL30rocblas_trmm_outofplace_kernelI19rocblas_complex_numIdELi32ELi2ELb0ELb0ELb0ELb0ES1_KS1_S1_Ev17rocblas_diagonal_iiT6_lPT7_lllS6_lllPT8_llli,comdat
.Lfunc_end121:
	.size	_ZL30rocblas_trmm_outofplace_kernelI19rocblas_complex_numIdELi32ELi2ELb0ELb0ELb0ELb0ES1_KS1_S1_Ev17rocblas_diagonal_iiT6_lPT7_lllS6_lllPT8_llli, .Lfunc_end121-_ZL30rocblas_trmm_outofplace_kernelI19rocblas_complex_numIdELi32ELi2ELb0ELb0ELb0ELb0ES1_KS1_S1_Ev17rocblas_diagonal_iiT6_lPT7_lllS6_lllPT8_llli
                                        ; -- End function
	.set _ZL30rocblas_trmm_outofplace_kernelI19rocblas_complex_numIdELi32ELi2ELb0ELb0ELb0ELb0ES1_KS1_S1_Ev17rocblas_diagonal_iiT6_lPT7_lllS6_lllPT8_llli.num_vgpr, 88
	.set _ZL30rocblas_trmm_outofplace_kernelI19rocblas_complex_numIdELi32ELi2ELb0ELb0ELb0ELb0ES1_KS1_S1_Ev17rocblas_diagonal_iiT6_lPT7_lllS6_lllPT8_llli.num_agpr, 0
	.set _ZL30rocblas_trmm_outofplace_kernelI19rocblas_complex_numIdELi32ELi2ELb0ELb0ELb0ELb0ES1_KS1_S1_Ev17rocblas_diagonal_iiT6_lPT7_lllS6_lllPT8_llli.numbered_sgpr, 50
	.set _ZL30rocblas_trmm_outofplace_kernelI19rocblas_complex_numIdELi32ELi2ELb0ELb0ELb0ELb0ES1_KS1_S1_Ev17rocblas_diagonal_iiT6_lPT7_lllS6_lllPT8_llli.num_named_barrier, 0
	.set _ZL30rocblas_trmm_outofplace_kernelI19rocblas_complex_numIdELi32ELi2ELb0ELb0ELb0ELb0ES1_KS1_S1_Ev17rocblas_diagonal_iiT6_lPT7_lllS6_lllPT8_llli.private_seg_size, 0
	.set _ZL30rocblas_trmm_outofplace_kernelI19rocblas_complex_numIdELi32ELi2ELb0ELb0ELb0ELb0ES1_KS1_S1_Ev17rocblas_diagonal_iiT6_lPT7_lllS6_lllPT8_llli.uses_vcc, 1
	.set _ZL30rocblas_trmm_outofplace_kernelI19rocblas_complex_numIdELi32ELi2ELb0ELb0ELb0ELb0ES1_KS1_S1_Ev17rocblas_diagonal_iiT6_lPT7_lllS6_lllPT8_llli.uses_flat_scratch, 0
	.set _ZL30rocblas_trmm_outofplace_kernelI19rocblas_complex_numIdELi32ELi2ELb0ELb0ELb0ELb0ES1_KS1_S1_Ev17rocblas_diagonal_iiT6_lPT7_lllS6_lllPT8_llli.has_dyn_sized_stack, 0
	.set _ZL30rocblas_trmm_outofplace_kernelI19rocblas_complex_numIdELi32ELi2ELb0ELb0ELb0ELb0ES1_KS1_S1_Ev17rocblas_diagonal_iiT6_lPT7_lllS6_lllPT8_llli.has_recursion, 0
	.set _ZL30rocblas_trmm_outofplace_kernelI19rocblas_complex_numIdELi32ELi2ELb0ELb0ELb0ELb0ES1_KS1_S1_Ev17rocblas_diagonal_iiT6_lPT7_lllS6_lllPT8_llli.has_indirect_call, 0
	.section	.AMDGPU.csdata,"",@progbits
; Kernel info:
; codeLenInByte = 10096
; TotalNumSgprs: 52
; NumVgprs: 88
; ScratchSize: 0
; MemoryBound: 0
; FloatMode: 240
; IeeeMode: 1
; LDSByteSize: 32768 bytes/workgroup (compile time only)
; SGPRBlocks: 0
; VGPRBlocks: 10
; NumSGPRsForWavesPerEU: 52
; NumVGPRsForWavesPerEU: 88
; Occupancy: 10
; WaveLimiterHint : 0
; COMPUTE_PGM_RSRC2:SCRATCH_EN: 0
; COMPUTE_PGM_RSRC2:USER_SGPR: 6
; COMPUTE_PGM_RSRC2:TRAP_HANDLER: 0
; COMPUTE_PGM_RSRC2:TGID_X_EN: 1
; COMPUTE_PGM_RSRC2:TGID_Y_EN: 1
; COMPUTE_PGM_RSRC2:TGID_Z_EN: 1
; COMPUTE_PGM_RSRC2:TIDIG_COMP_CNT: 1
	.section	.text._ZL30rocblas_trmm_outofplace_kernelI19rocblas_complex_numIdELi32ELi2ELb0ELb1ELb0ELb0EPKS1_S2_S1_Ev17rocblas_diagonal_iiT6_lPT7_lllS7_lllPT8_llli,"axG",@progbits,_ZL30rocblas_trmm_outofplace_kernelI19rocblas_complex_numIdELi32ELi2ELb0ELb1ELb0ELb0EPKS1_S2_S1_Ev17rocblas_diagonal_iiT6_lPT7_lllS7_lllPT8_llli,comdat
	.globl	_ZL30rocblas_trmm_outofplace_kernelI19rocblas_complex_numIdELi32ELi2ELb0ELb1ELb0ELb0EPKS1_S2_S1_Ev17rocblas_diagonal_iiT6_lPT7_lllS7_lllPT8_llli ; -- Begin function _ZL30rocblas_trmm_outofplace_kernelI19rocblas_complex_numIdELi32ELi2ELb0ELb1ELb0ELb0EPKS1_S2_S1_Ev17rocblas_diagonal_iiT6_lPT7_lllS7_lllPT8_llli
	.p2align	8
	.type	_ZL30rocblas_trmm_outofplace_kernelI19rocblas_complex_numIdELi32ELi2ELb0ELb1ELb0ELb0EPKS1_S2_S1_Ev17rocblas_diagonal_iiT6_lPT7_lllS7_lllPT8_llli,@function
_ZL30rocblas_trmm_outofplace_kernelI19rocblas_complex_numIdELi32ELi2ELb0ELb1ELb0ELb0EPKS1_S2_S1_Ev17rocblas_diagonal_iiT6_lPT7_lllS7_lllPT8_llli: ; @_ZL30rocblas_trmm_outofplace_kernelI19rocblas_complex_numIdELi32ELi2ELb0ELb1ELb0ELb0EPKS1_S2_S1_Ev17rocblas_diagonal_iiT6_lPT7_lllS7_lllPT8_llli
; %bb.0:
	s_load_dwordx16 s[12:27], s[4:5], 0x10
	s_waitcnt lgkmcnt(0)
	s_mul_i32 s1, s15, s8
	s_mul_hi_u32 s2, s14, s8
	s_mul_i32 s0, s14, s8
	s_add_i32 s1, s2, s1
	s_lshl_b64 s[0:1], s[0:1], 4
	s_add_u32 s0, s12, s0
	s_addc_u32 s1, s13, s1
	s_load_dwordx4 s[12:15], s[0:1], 0x0
	s_waitcnt lgkmcnt(0)
	v_cmp_eq_f64_e64 s0, s[12:13], 0
	v_cmp_eq_f64_e64 s1, s[14:15], 0
	s_and_b32 s0, s0, s1
	s_and_b32 vcc_lo, exec_lo, s0
	s_cbranch_vccnz .LBB122_63
; %bb.1:
	s_load_dwordx4 s[28:31], s[4:5], 0x0
	s_waitcnt lgkmcnt(0)
	s_add_i32 s0, s30, -1
	s_ashr_i32 s1, s0, 31
	s_lshr_b32 s1, s1, 27
	s_add_i32 s0, s0, s1
	s_ashr_i32 s11, s0, 5
	s_cmp_gt_i32 s7, s11
	s_cbranch_scc1 .LBB122_63
; %bb.2:
	s_clause 0x2
	s_load_dwordx8 s[36:43], s[4:5], 0x50
	s_load_dwordx4 s[44:47], s[4:5], 0x70
	s_load_dword s33, s[4:5], 0x8c
	v_lshl_add_u32 v3, s6, 5, v0
	v_lshlrev_b32_e32 v55, 4, v0
	v_lshlrev_b32_e32 v54, 9, v1
	v_mov_b32_e32 v2, 0
	v_lshl_add_u32 v18, s7, 5, v1
	v_ashrrev_i32_e32 v4, 31, v3
	v_sub_co_u32 v5, vcc_lo, s29, v3
	v_or_b32_e32 v57, 0x4000, v55
	v_add_nc_u32_e32 v56, v54, v55
	v_lshlrev_b64 v[12:13], 4, v[3:4]
	v_add_nc_u32_e32 v58, v57, v54
	v_add_nc_u32_e32 v59, 0x100, v56
	;; [unrolled: 1-line block ×4, first 2 shown]
	s_waitcnt lgkmcnt(0)
	s_mul_i32 s1, s39, s8
	s_mul_hi_u32 s2, s38, s8
	s_mul_i32 s0, s38, s8
	s_add_i32 s1, s2, s1
	s_mul_i32 s3, s47, s8
	s_lshl_b64 s[0:1], s[0:1], 4
	s_mul_hi_u32 s4, s46, s8
	s_add_u32 s5, s24, s0
	s_addc_u32 s6, s25, s1
	s_lshl_b64 s[0:1], s[26:27], 4
	s_mul_i32 s2, s46, s8
	s_add_u32 s5, s5, s0
	s_addc_u32 s6, s6, s1
	s_add_i32 s3, s4, s3
	v_mad_u64_u32 v[7:8], null, s36, v1, 0
	s_lshl_b64 s[0:1], s[2:3], 4
	s_mul_hi_u32 s4, s22, s8
	s_add_u32 s2, s40, s0
	s_addc_u32 s3, s41, s1
	s_lshl_b64 s[0:1], s[42:43], 4
	v_add_nc_u32_e32 v62, 0x100, v58
	s_add_u32 s34, s2, s0
	s_addc_u32 s35, s3, s1
	s_cmpk_eq_i32 s28, 0x84
	v_cmp_gt_i32_e64 s1, s29, v3
	s_cselect_b32 s28, -1, 0
	s_ashr_i32 s0, s29, 31
	v_sub_co_u32 v65, s3, 0, v0
	v_sub_co_ci_u32_e64 v6, null, s0, v4, vcc_lo
	v_add_co_u32 v14, vcc_lo, s5, v12
	v_add_co_ci_u32_e64 v15, null, s6, v13, vcc_lo
	v_cmp_gt_i64_e32 vcc_lo, 1, v[5:6]
	v_cmp_gt_i64_e64 s0, 17, v[5:6]
	v_mov_b32_e32 v6, v8
	v_add_nc_u32_e32 v4, 16, v3
	s_ashr_i32 s31, s30, 31
	s_lshl_b64 s[24:25], s[36:37], 9
	v_sub_co_ci_u32_e64 v66, null, 0, 0, s3
	v_mad_u64_u32 v[8:9], null, s37, v1, v[6:7]
	v_lshl_add_u32 v9, v1, 4, 0x100
	s_mul_i32 s3, s23, s8
	s_add_u32 s26, s30, -16
	s_addc_u32 s27, s31, -1
	v_ashrrev_i32_e32 v5, 31, v4
	v_mad_u64_u32 v[16:17], null, s36, v9, 0
	v_lshlrev_b64 v[6:7], 4, v[7:8]
	s_add_i32 s5, s4, s3
	s_mul_i32 s4, s22, s8
	s_lshl_b64 s[8:9], s[18:19], 4
	s_lshl_b64 s[4:5], s[4:5], 4
	v_cmp_gt_i32_e64 s2, s29, v4
	v_mov_b32_e32 v3, v17
	v_add_co_u32 v17, s3, 0x100, v6
	s_lshl_b32 s29, s33, 5
	v_add_co_ci_u32_e64 v67, null, 0, v7, s3
	v_mad_u64_u32 v[8:9], null, s37, v9, v[3:4]
	s_add_u32 s3, s4, s8
	s_addc_u32 s4, s5, s9
	v_lshlrev_b64 v[20:21], 4, v[4:5]
	v_add_nc_u32_e32 v63, 0x2000, v58
	v_add_nc_u32_e32 v64, 0x2100, v58
	s_add_u32 s3, s16, s3
	v_mov_b32_e32 v68, v8
	v_mov_b32_e32 v3, 0x3ff00000
	s_addc_u32 s4, s17, s4
	s_add_u32 s16, s3, 0x100
	s_addc_u32 s17, s4, 0
	s_lshl_b64 s[18:19], s[20:21], 4
	s_branch .LBB122_4
.LBB122_3:                              ;   in Loop: Header=BB122_4 Depth=1
	s_or_b32 exec_lo, exec_lo, s4
	v_add_nc_u32_e32 v18, s29, v18
	s_add_i32 s7, s33, s7
	s_cmp_le_i32 s7, s11
	s_cbranch_scc0 .LBB122_63
.LBB122_4:                              ; =>This Loop Header: Depth=1
                                        ;     Child Loop BB122_7 Depth 2
	s_lshl_b32 s36, s7, 5
	v_mov_b32_e32 v46, 0
	v_add_nc_u32_e32 v22, s36, v1
	v_mov_b32_e32 v48, 0
	v_mov_b32_e32 v38, 0
	;; [unrolled: 1-line block ×15, first 2 shown]
	v_ashrrev_i32_e32 v23, 31, v22
	s_cmp_lt_i32 s7, 0
	s_cbranch_scc1 .LBB122_55
; %bb.5:                                ;   in Loop: Header=BB122_4 Depth=1
	v_ashrrev_i32_e32 v19, 31, v18
	v_add_co_u32 v28, s4, v22, 16
	v_add_co_ci_u32_e64 v29, null, 0, v23, s4
	v_lshlrev_b64 v[4:5], 4, v[18:19]
	v_add_co_u32 v30, s4, v65, v18
	v_mad_u64_u32 v[24:25], null, s18, v18, s[16:17]
	v_mul_lo_u32 v6, s19, v18
	v_add_co_u32 v4, s3, 0x100, v4
	v_add_co_ci_u32_e64 v5, null, 0, v5, s3
	v_mul_lo_u32 v7, s18, v19
	v_mul_lo_u32 v8, s21, v4
	v_mad_u64_u32 v[26:27], null, s20, v4, s[16:17]
	v_mul_lo_u32 v5, s20, v5
	v_add_co_ci_u32_e64 v31, null, v66, v19, s4
	v_add_co_u32 v32, s5, v30, 16
	v_cmp_le_i64_e64 s4, s[30:31], v[28:29]
	v_add_co_ci_u32_e64 v33, null, 0, v31, s5
	v_add_co_u32 v34, s5, v30, -16
	v_mov_b32_e32 v50, 0
	v_mov_b32_e32 v52, 0
	;; [unrolled: 1-line block ×9, first 2 shown]
	v_cmp_le_i32_e64 s3, s30, v22
	v_add3_u32 v25, v6, v25, v7
	v_add3_u32 v27, v8, v27, v5
	v_add_co_ci_u32_e64 v35, null, -1, v31, s5
	v_mov_b32_e32 v51, 0
	v_mov_b32_e32 v53, 0
	v_mov_b32_e32 v45, 0
	v_mov_b32_e32 v43, 0
	v_mov_b32_e32 v41, 0
	v_mov_b32_e32 v39, 0
	v_mov_b32_e32 v49, 0
	v_mov_b32_e32 v47, 0
	v_mov_b32_e32 v36, v14
	s_mov_b64 s[22:23], 0
	s_branch .LBB122_7
.LBB122_6:                              ;   in Loop: Header=BB122_7 Depth=2
	s_or_b32 exec_lo, exec_lo, s5
	s_waitcnt lgkmcnt(0)
	s_barrier
	buffer_gl0_inv
	ds_read_b128 v[69:72], v54
	ds_read_b128 v[73:76], v54 offset:16
	ds_read_b128 v[8:11], v54 offset:32
	;; [unrolled: 1-line block ×3, first 2 shown]
	ds_read_b128 v[77:80], v57
	v_add_co_u32 v36, s5, v36, s24
	v_add_co_ci_u32_e64 v37, null, s25, v37, s5
	v_add_co_u32 v26, s5, 0x200, v26
	v_add_co_ci_u32_e64 v27, null, 0, v27, s5
	v_add_co_u32 v24, s5, 0x200, v24
	s_add_u32 s22, s22, 32
	v_add_co_ci_u32_e64 v25, null, 0, v25, s5
	s_addc_u32 s23, s23, 0
	s_sub_i32 s6, s22, 32
	s_cmp_ge_i32 s6, s36
	s_waitcnt lgkmcnt(0)
	v_mul_f64 v[81:82], v[71:72], v[79:80]
	v_mul_f64 v[83:84], v[69:70], v[79:80]
	v_fma_f64 v[81:82], v[69:70], v[77:78], -v[81:82]
	v_fma_f64 v[83:84], v[71:72], v[77:78], v[83:84]
	v_add_f64 v[81:82], v[46:47], v[81:82]
	v_add_f64 v[83:84], v[83:84], v[48:49]
	ds_read_b128 v[46:49], v57 offset:256
	s_waitcnt lgkmcnt(0)
	v_mul_f64 v[85:86], v[71:72], v[48:49]
	v_fma_f64 v[85:86], v[69:70], v[46:47], -v[85:86]
	v_mul_f64 v[69:70], v[69:70], v[48:49]
	v_fma_f64 v[69:70], v[71:72], v[46:47], v[69:70]
	v_add_f64 v[71:72], v[38:39], v[85:86]
	v_add_f64 v[69:70], v[69:70], v[40:41]
	ds_read_b128 v[38:41], v54 offset:8192
	s_waitcnt lgkmcnt(0)
	v_mul_f64 v[85:86], v[40:41], v[79:80]
	v_mul_f64 v[79:80], v[38:39], v[79:80]
	v_fma_f64 v[85:86], v[38:39], v[77:78], -v[85:86]
	v_fma_f64 v[77:78], v[40:41], v[77:78], v[79:80]
	v_add_f64 v[79:80], v[42:43], v[85:86]
	v_mul_f64 v[42:43], v[40:41], v[48:49]
	v_add_f64 v[77:78], v[77:78], v[44:45]
	v_fma_f64 v[42:43], v[38:39], v[46:47], -v[42:43]
	v_mul_f64 v[38:39], v[38:39], v[48:49]
	v_add_f64 v[52:53], v[52:53], v[42:43]
	v_fma_f64 v[38:39], v[40:41], v[46:47], v[38:39]
	v_add_f64 v[50:51], v[38:39], v[50:51]
	ds_read_b128 v[38:41], v57 offset:512
	s_waitcnt lgkmcnt(0)
	v_mul_f64 v[42:43], v[75:76], v[40:41]
	v_mul_f64 v[44:45], v[73:74], v[40:41]
	v_fma_f64 v[42:43], v[73:74], v[38:39], -v[42:43]
	v_fma_f64 v[44:45], v[75:76], v[38:39], v[44:45]
	v_add_f64 v[81:82], v[81:82], v[42:43]
	v_add_f64 v[83:84], v[44:45], v[83:84]
	ds_read_b128 v[42:45], v57 offset:768
	s_waitcnt lgkmcnt(0)
	v_mul_f64 v[46:47], v[75:76], v[44:45]
	v_mul_f64 v[48:49], v[73:74], v[44:45]
	v_fma_f64 v[46:47], v[73:74], v[42:43], -v[46:47]
	v_fma_f64 v[48:49], v[75:76], v[42:43], v[48:49]
	v_add_f64 v[71:72], v[71:72], v[46:47]
	v_add_f64 v[69:70], v[48:49], v[69:70]
	ds_read_b128 v[46:49], v54 offset:8208
	s_waitcnt lgkmcnt(0)
	v_mul_f64 v[73:74], v[48:49], v[40:41]
	v_mul_f64 v[40:41], v[46:47], v[40:41]
	v_fma_f64 v[73:74], v[46:47], v[38:39], -v[73:74]
	v_fma_f64 v[38:39], v[48:49], v[38:39], v[40:41]
	v_mul_f64 v[40:41], v[46:47], v[44:45]
	v_add_f64 v[73:74], v[79:80], v[73:74]
	v_add_f64 v[75:76], v[38:39], v[77:78]
	v_mul_f64 v[38:39], v[48:49], v[44:45]
	v_fma_f64 v[40:41], v[48:49], v[42:43], v[40:41]
	v_fma_f64 v[38:39], v[46:47], v[42:43], -v[38:39]
	v_add_f64 v[48:49], v[40:41], v[50:51]
	v_add_f64 v[46:47], v[52:53], v[38:39]
	ds_read_b128 v[38:41], v57 offset:1024
	s_waitcnt lgkmcnt(0)
	v_mul_f64 v[42:43], v[10:11], v[40:41]
	v_mul_f64 v[44:45], v[8:9], v[40:41]
	v_fma_f64 v[42:43], v[8:9], v[38:39], -v[42:43]
	v_fma_f64 v[44:45], v[10:11], v[38:39], v[44:45]
	v_add_f64 v[50:51], v[81:82], v[42:43]
	v_add_f64 v[52:53], v[44:45], v[83:84]
	ds_read_b128 v[42:45], v57 offset:1280
	s_waitcnt lgkmcnt(0)
	v_mul_f64 v[77:78], v[10:11], v[44:45]
	v_fma_f64 v[77:78], v[8:9], v[42:43], -v[77:78]
	v_mul_f64 v[8:9], v[8:9], v[44:45]
	v_add_f64 v[71:72], v[71:72], v[77:78]
	v_fma_f64 v[8:9], v[10:11], v[42:43], v[8:9]
	v_add_f64 v[69:70], v[8:9], v[69:70]
	ds_read_b128 v[8:11], v54 offset:8224
	s_waitcnt lgkmcnt(0)
	v_mul_f64 v[77:78], v[10:11], v[40:41]
	v_mul_f64 v[40:41], v[8:9], v[40:41]
	v_fma_f64 v[77:78], v[8:9], v[38:39], -v[77:78]
	v_fma_f64 v[38:39], v[10:11], v[38:39], v[40:41]
	v_add_f64 v[73:74], v[73:74], v[77:78]
	v_add_f64 v[75:76], v[38:39], v[75:76]
	v_mul_f64 v[38:39], v[10:11], v[44:45]
	v_fma_f64 v[38:39], v[8:9], v[42:43], -v[38:39]
	v_mul_f64 v[8:9], v[8:9], v[44:45]
	v_fma_f64 v[8:9], v[10:11], v[42:43], v[8:9]
	v_add_f64 v[42:43], v[46:47], v[38:39]
	v_add_f64 v[44:45], v[8:9], v[48:49]
	ds_read_b128 v[8:11], v57 offset:1536
	s_waitcnt lgkmcnt(0)
	v_mul_f64 v[38:39], v[6:7], v[10:11]
	v_mul_f64 v[40:41], v[4:5], v[10:11]
	v_fma_f64 v[38:39], v[4:5], v[8:9], -v[38:39]
	v_fma_f64 v[40:41], v[6:7], v[8:9], v[40:41]
	v_add_f64 v[46:47], v[50:51], v[38:39]
	v_add_f64 v[48:49], v[40:41], v[52:53]
	ds_read_b128 v[38:41], v57 offset:1792
	s_waitcnt lgkmcnt(0)
	v_mul_f64 v[50:51], v[6:7], v[40:41]
	v_fma_f64 v[50:51], v[4:5], v[38:39], -v[50:51]
	v_mul_f64 v[4:5], v[4:5], v[40:41]
	v_add_f64 v[50:51], v[71:72], v[50:51]
	v_fma_f64 v[4:5], v[6:7], v[38:39], v[4:5]
	v_add_f64 v[52:53], v[4:5], v[69:70]
	ds_read_b128 v[4:7], v54 offset:8240
	s_waitcnt lgkmcnt(0)
	v_mul_f64 v[69:70], v[6:7], v[10:11]
	v_mul_f64 v[10:11], v[4:5], v[10:11]
	v_fma_f64 v[69:70], v[4:5], v[8:9], -v[69:70]
	v_fma_f64 v[8:9], v[6:7], v[8:9], v[10:11]
	v_add_f64 v[69:70], v[73:74], v[69:70]
	v_add_f64 v[71:72], v[8:9], v[75:76]
	v_mul_f64 v[8:9], v[6:7], v[40:41]
	v_fma_f64 v[8:9], v[4:5], v[38:39], -v[8:9]
	v_mul_f64 v[4:5], v[4:5], v[40:41]
	v_add_f64 v[42:43], v[42:43], v[8:9]
	v_fma_f64 v[4:5], v[6:7], v[38:39], v[4:5]
	v_add_f64 v[44:45], v[4:5], v[44:45]
	ds_read_b128 v[4:7], v54 offset:64
	ds_read_b128 v[8:11], v57 offset:2048
	s_waitcnt lgkmcnt(0)
	v_mul_f64 v[38:39], v[6:7], v[10:11]
	v_mul_f64 v[40:41], v[4:5], v[10:11]
	v_fma_f64 v[38:39], v[4:5], v[8:9], -v[38:39]
	v_fma_f64 v[40:41], v[6:7], v[8:9], v[40:41]
	v_add_f64 v[46:47], v[46:47], v[38:39]
	v_add_f64 v[48:49], v[40:41], v[48:49]
	ds_read_b128 v[38:41], v57 offset:2304
	s_waitcnt lgkmcnt(0)
	v_mul_f64 v[73:74], v[6:7], v[40:41]
	v_fma_f64 v[73:74], v[4:5], v[38:39], -v[73:74]
	v_mul_f64 v[4:5], v[4:5], v[40:41]
	v_add_f64 v[50:51], v[50:51], v[73:74]
	v_fma_f64 v[4:5], v[6:7], v[38:39], v[4:5]
	v_add_f64 v[52:53], v[4:5], v[52:53]
	ds_read_b128 v[4:7], v54 offset:8256
	s_waitcnt lgkmcnt(0)
	v_mul_f64 v[73:74], v[6:7], v[10:11]
	v_mul_f64 v[10:11], v[4:5], v[10:11]
	v_fma_f64 v[73:74], v[4:5], v[8:9], -v[73:74]
	v_fma_f64 v[8:9], v[6:7], v[8:9], v[10:11]
	v_add_f64 v[69:70], v[69:70], v[73:74]
	v_add_f64 v[71:72], v[8:9], v[71:72]
	v_mul_f64 v[8:9], v[6:7], v[40:41]
	v_fma_f64 v[8:9], v[4:5], v[38:39], -v[8:9]
	v_mul_f64 v[4:5], v[4:5], v[40:41]
	v_add_f64 v[42:43], v[42:43], v[8:9]
	v_fma_f64 v[4:5], v[6:7], v[38:39], v[4:5]
	v_add_f64 v[44:45], v[4:5], v[44:45]
	ds_read_b128 v[4:7], v54 offset:80
	;; [unrolled: 31-line block ×27, first 2 shown]
	ds_read_b128 v[8:11], v57 offset:15360
	s_waitcnt lgkmcnt(0)
	v_mul_f64 v[38:39], v[6:7], v[10:11]
	v_mul_f64 v[40:41], v[4:5], v[10:11]
	v_fma_f64 v[38:39], v[4:5], v[8:9], -v[38:39]
	v_fma_f64 v[40:41], v[6:7], v[8:9], v[40:41]
	v_add_f64 v[46:47], v[46:47], v[38:39]
	v_add_f64 v[48:49], v[40:41], v[48:49]
	ds_read_b128 v[38:41], v57 offset:15616
	s_waitcnt lgkmcnt(0)
	v_mul_f64 v[73:74], v[6:7], v[40:41]
	v_fma_f64 v[73:74], v[4:5], v[38:39], -v[73:74]
	v_mul_f64 v[4:5], v[4:5], v[40:41]
	v_add_f64 v[73:74], v[50:51], v[73:74]
	v_fma_f64 v[4:5], v[6:7], v[38:39], v[4:5]
	v_add_f64 v[75:76], v[4:5], v[52:53]
	ds_read_b128 v[4:7], v54 offset:8672
	s_waitcnt lgkmcnt(0)
	v_mul_f64 v[50:51], v[6:7], v[10:11]
	v_mul_f64 v[10:11], v[4:5], v[10:11]
	v_fma_f64 v[50:51], v[4:5], v[8:9], -v[50:51]
	v_fma_f64 v[8:9], v[6:7], v[8:9], v[10:11]
	v_add_f64 v[77:78], v[69:70], v[50:51]
	v_add_f64 v[79:80], v[8:9], v[71:72]
	v_mul_f64 v[8:9], v[6:7], v[40:41]
	v_fma_f64 v[8:9], v[4:5], v[38:39], -v[8:9]
	v_mul_f64 v[4:5], v[4:5], v[40:41]
	v_fma_f64 v[6:7], v[6:7], v[38:39], v[4:5]
	v_add_f64 v[4:5], v[42:43], v[8:9]
	v_add_f64 v[6:7], v[6:7], v[44:45]
	ds_read_b128 v[8:11], v54 offset:496
	ds_read_b128 v[42:45], v57 offset:15872
	;; [unrolled: 1-line block ×4, first 2 shown]
	s_waitcnt lgkmcnt(0)
	s_barrier
	buffer_gl0_inv
	v_mul_f64 v[38:39], v[10:11], v[44:45]
	v_mul_f64 v[40:41], v[8:9], v[44:45]
	v_fma_f64 v[38:39], v[8:9], v[42:43], -v[38:39]
	v_fma_f64 v[40:41], v[10:11], v[42:43], v[40:41]
	v_add_f64 v[46:47], v[46:47], v[38:39]
	v_mul_f64 v[38:39], v[10:11], v[52:53]
	v_add_f64 v[48:49], v[40:41], v[48:49]
	v_fma_f64 v[38:39], v[8:9], v[50:51], -v[38:39]
	v_mul_f64 v[8:9], v[8:9], v[52:53]
	v_add_f64 v[38:39], v[73:74], v[38:39]
	v_fma_f64 v[8:9], v[10:11], v[50:51], v[8:9]
	v_mul_f64 v[10:11], v[69:70], v[44:45]
	v_add_f64 v[40:41], v[8:9], v[75:76]
	v_mul_f64 v[8:9], v[71:72], v[44:45]
	v_fma_f64 v[10:11], v[71:72], v[42:43], v[10:11]
	v_fma_f64 v[8:9], v[69:70], v[42:43], -v[8:9]
	v_add_f64 v[44:45], v[10:11], v[79:80]
	v_mul_f64 v[10:11], v[69:70], v[52:53]
	v_add_f64 v[42:43], v[77:78], v[8:9]
	v_mul_f64 v[8:9], v[71:72], v[52:53]
	v_fma_f64 v[10:11], v[71:72], v[50:51], v[10:11]
	v_fma_f64 v[8:9], v[69:70], v[50:51], -v[8:9]
	v_add_f64 v[50:51], v[10:11], v[6:7]
	v_add_f64 v[52:53], v[4:5], v[8:9]
	s_cbranch_scc1 .LBB122_55
.LBB122_7:                              ;   Parent Loop BB122_4 Depth=1
                                        ; =>  This Inner Loop Header: Depth=2
	v_add_co_u32 v6, s5, v0, s22
	v_add_co_ci_u32_e64 v7, null, 0, s23, s5
	v_cmp_eq_u64_e64 s8, s[22:23], v[30:31]
	v_cmp_gt_i64_e64 s5, v[6:7], v[22:23]
	v_cmp_le_i64_e64 s6, s[30:31], v[6:7]
	s_and_b32 s38, s28, s8
	v_add_co_u32 v8, s8, v24, v55
	s_or_b32 s9, s3, s5
	v_add_co_ci_u32_e64 v9, null, 0, v25, s8
	s_or_b32 s8, s9, s38
	s_nor_b32 s8, s6, s8
	s_and_saveexec_b32 s9, s8
	s_xor_b32 s8, exec_lo, s9
	s_cbranch_execz .LBB122_9
; %bb.8:                                ;   in Loop: Header=BB122_7 Depth=2
	global_load_dwordx4 v[69:72], v[8:9], off offset:-256
	s_waitcnt vmcnt(0)
	ds_write2_b64 v56, v[69:70], v[71:72] offset1:1
.LBB122_9:                              ;   in Loop: Header=BB122_7 Depth=2
	s_or_saveexec_b32 s8, s8
	s_xor_b32 s37, s38, -1
	s_xor_b32 exec_lo, exec_lo, s8
	s_cbranch_execz .LBB122_15
; %bb.10:                               ;   in Loop: Header=BB122_7 Depth=2
	s_and_saveexec_b32 s9, s37
	s_xor_b32 s9, exec_lo, s9
	s_cbranch_execz .LBB122_12
; %bb.11:                               ;   in Loop: Header=BB122_7 Depth=2
	v_mov_b32_e32 v69, v2
	v_mov_b32_e32 v70, v2
	v_mov_b32_e32 v71, v2
	v_mov_b32_e32 v72, v2
	ds_write_b128 v56, v[69:72]
.LBB122_12:                             ;   in Loop: Header=BB122_7 Depth=2
	s_andn2_saveexec_b32 s9, s9
; %bb.13:                               ;   in Loop: Header=BB122_7 Depth=2
	v_mov_b32_e32 v4, v2
	v_mov_b32_e32 v5, v2
	ds_write_b128 v56, v[2:5]
; %bb.14:                               ;   in Loop: Header=BB122_7 Depth=2
	s_or_b32 exec_lo, exec_lo, s9
.LBB122_15:                             ;   in Loop: Header=BB122_7 Depth=2
	s_or_b32 exec_lo, exec_lo, s8
	v_add_co_u32 v4, s8, v6, 16
	v_add_co_ci_u32_e64 v5, null, 0, v7, s8
	v_cmp_eq_u64_e64 s9, s[22:23], v[34:35]
	v_cmp_gt_i64_e64 s10, v[4:5], v[22:23]
	v_cmp_le_i64_e64 s8, s[30:31], v[4:5]
	s_and_b32 s39, s28, s9
	s_or_b32 s9, s3, s10
	s_or_b32 s9, s9, s39
	s_nor_b32 s9, s8, s9
	s_and_saveexec_b32 s10, s9
	s_xor_b32 s9, exec_lo, s10
	s_cbranch_execz .LBB122_17
; %bb.16:                               ;   in Loop: Header=BB122_7 Depth=2
	global_load_dwordx4 v[8:11], v[8:9], off
	s_waitcnt vmcnt(0)
	ds_write2_b64 v59, v[8:9], v[10:11] offset1:1
.LBB122_17:                             ;   in Loop: Header=BB122_7 Depth=2
	s_andn2_saveexec_b32 s9, s9
	s_cbranch_execz .LBB122_23
; %bb.18:                               ;   in Loop: Header=BB122_7 Depth=2
	s_xor_b32 s10, s39, -1
	s_and_saveexec_b32 s39, s10
	s_xor_b32 s10, exec_lo, s39
	s_cbranch_execz .LBB122_20
; %bb.19:                               ;   in Loop: Header=BB122_7 Depth=2
	v_mov_b32_e32 v8, v2
	v_mov_b32_e32 v9, v2
	;; [unrolled: 1-line block ×4, first 2 shown]
	ds_write_b128 v56, v[8:11] offset:256
.LBB122_20:                             ;   in Loop: Header=BB122_7 Depth=2
	s_andn2_saveexec_b32 s10, s10
; %bb.21:                               ;   in Loop: Header=BB122_7 Depth=2
	v_mov_b32_e32 v4, v2
	v_mov_b32_e32 v5, v2
	ds_write_b128 v56, v[2:5] offset:256
; %bb.22:                               ;   in Loop: Header=BB122_7 Depth=2
	s_or_b32 exec_lo, exec_lo, s10
.LBB122_23:                             ;   in Loop: Header=BB122_7 Depth=2
	s_or_b32 exec_lo, exec_lo, s9
	v_cmp_eq_u64_e64 s9, s[22:23], v[32:33]
	v_cmp_gt_i64_e64 s10, v[6:7], v[28:29]
	s_and_b32 s39, s28, s9
	v_add_co_u32 v6, s9, v26, v55
	s_or_b32 s10, s4, s10
	v_add_co_ci_u32_e64 v7, null, 0, v27, s9
	s_or_b32 s9, s10, s39
	s_nor_b32 s6, s6, s9
	s_and_saveexec_b32 s9, s6
	s_xor_b32 s6, exec_lo, s9
	s_cbranch_execz .LBB122_25
; %bb.24:                               ;   in Loop: Header=BB122_7 Depth=2
	global_load_dwordx4 v[8:11], v[6:7], off offset:-256
	s_waitcnt vmcnt(0)
	ds_write2_b64 v60, v[8:9], v[10:11] offset1:1
.LBB122_25:                             ;   in Loop: Header=BB122_7 Depth=2
	s_andn2_saveexec_b32 s6, s6
	s_cbranch_execz .LBB122_31
; %bb.26:                               ;   in Loop: Header=BB122_7 Depth=2
	s_xor_b32 s9, s39, -1
	s_and_saveexec_b32 s10, s9
	s_xor_b32 s9, exec_lo, s10
	s_cbranch_execz .LBB122_28
; %bb.27:                               ;   in Loop: Header=BB122_7 Depth=2
	v_mov_b32_e32 v8, v2
	v_mov_b32_e32 v9, v2
	;; [unrolled: 1-line block ×4, first 2 shown]
	ds_write_b128 v56, v[8:11] offset:8192
.LBB122_28:                             ;   in Loop: Header=BB122_7 Depth=2
	s_andn2_saveexec_b32 s9, s9
; %bb.29:                               ;   in Loop: Header=BB122_7 Depth=2
	v_mov_b32_e32 v4, v2
	v_mov_b32_e32 v5, v2
	ds_write_b128 v56, v[2:5] offset:8192
; %bb.30:                               ;   in Loop: Header=BB122_7 Depth=2
	s_or_b32 exec_lo, exec_lo, s9
.LBB122_31:                             ;   in Loop: Header=BB122_7 Depth=2
	s_or_b32 exec_lo, exec_lo, s6
	s_or_b32 s5, s4, s5
	s_or_b32 s5, s5, s38
	s_nor_b32 s5, s8, s5
	s_and_saveexec_b32 s6, s5
	s_xor_b32 s5, exec_lo, s6
	s_cbranch_execz .LBB122_33
; %bb.32:                               ;   in Loop: Header=BB122_7 Depth=2
	global_load_dwordx4 v[4:7], v[6:7], off
	s_waitcnt vmcnt(0)
	ds_write2_b64 v61, v[4:5], v[6:7] offset1:1
.LBB122_33:                             ;   in Loop: Header=BB122_7 Depth=2
	s_andn2_saveexec_b32 s5, s5
	s_cbranch_execz .LBB122_39
; %bb.34:                               ;   in Loop: Header=BB122_7 Depth=2
	s_and_saveexec_b32 s6, s37
	s_xor_b32 s6, exec_lo, s6
	s_cbranch_execz .LBB122_36
; %bb.35:                               ;   in Loop: Header=BB122_7 Depth=2
	v_mov_b32_e32 v4, v2
	v_mov_b32_e32 v5, v2
	;; [unrolled: 1-line block ×4, first 2 shown]
	ds_write_b128 v56, v[4:7] offset:8448
.LBB122_36:                             ;   in Loop: Header=BB122_7 Depth=2
	s_andn2_saveexec_b32 s6, s6
; %bb.37:                               ;   in Loop: Header=BB122_7 Depth=2
	v_mov_b32_e32 v4, v2
	v_mov_b32_e32 v5, v2
	ds_write_b128 v56, v[2:5] offset:8448
; %bb.38:                               ;   in Loop: Header=BB122_7 Depth=2
	s_or_b32 exec_lo, exec_lo, s6
.LBB122_39:                             ;   in Loop: Header=BB122_7 Depth=2
	s_or_b32 exec_lo, exec_lo, s5
	v_add_co_u32 v4, s5, v1, s22
	v_add_co_ci_u32_e64 v5, null, 0, s23, s5
	v_add_co_u32 v6, s6, v36, v17
	v_add_co_ci_u32_e64 v7, null, v37, v67, s6
	v_cmp_le_i64_e64 s5, s[30:31], v[4:5]
	s_nor_b32 s6, s5, vcc_lo
	s_and_saveexec_b32 s8, s6
	s_xor_b32 s6, exec_lo, s8
	s_cbranch_execz .LBB122_41
; %bb.40:                               ;   in Loop: Header=BB122_7 Depth=2
	global_load_dwordx4 v[8:11], v[6:7], off offset:-256
	s_waitcnt vmcnt(0)
	ds_write2_b64 v58, v[8:9], v[10:11] offset1:1
.LBB122_41:                             ;   in Loop: Header=BB122_7 Depth=2
	s_andn2_saveexec_b32 s6, s6
	s_cbranch_execz .LBB122_43
; %bb.42:                               ;   in Loop: Header=BB122_7 Depth=2
	v_mov_b32_e32 v8, v2
	v_mov_b32_e32 v9, v2
	;; [unrolled: 1-line block ×4, first 2 shown]
	ds_write_b128 v58, v[8:11]
.LBB122_43:                             ;   in Loop: Header=BB122_7 Depth=2
	s_or_b32 exec_lo, exec_lo, s6
	s_nor_b32 s5, s5, s0
	s_and_saveexec_b32 s6, s5
	s_xor_b32 s5, exec_lo, s6
	s_cbranch_execz .LBB122_45
; %bb.44:                               ;   in Loop: Header=BB122_7 Depth=2
	global_load_dwordx4 v[6:9], v[6:7], off
	s_waitcnt vmcnt(0)
	ds_write2_b64 v62, v[6:7], v[8:9] offset1:1
.LBB122_45:                             ;   in Loop: Header=BB122_7 Depth=2
	s_andn2_saveexec_b32 s5, s5
	s_cbranch_execz .LBB122_47
; %bb.46:                               ;   in Loop: Header=BB122_7 Depth=2
	v_mov_b32_e32 v6, v2
	v_mov_b32_e32 v7, v2
	;; [unrolled: 1-line block ×4, first 2 shown]
	ds_write_b128 v58, v[6:9] offset:256
.LBB122_47:                             ;   in Loop: Header=BB122_7 Depth=2
	s_or_b32 exec_lo, exec_lo, s5
	v_cmp_le_i64_e64 s5, s[26:27], v[4:5]
	v_add_co_u32 v4, s6, v36, v16
	v_add_co_ci_u32_e64 v5, null, v37, v68, s6
	s_nor_b32 s6, s5, vcc_lo
	s_and_saveexec_b32 s8, s6
	s_xor_b32 s6, exec_lo, s8
	s_cbranch_execz .LBB122_49
; %bb.48:                               ;   in Loop: Header=BB122_7 Depth=2
	global_load_dwordx4 v[6:9], v[4:5], off
	s_waitcnt vmcnt(0)
	ds_write2_b64 v63, v[6:7], v[8:9] offset1:1
.LBB122_49:                             ;   in Loop: Header=BB122_7 Depth=2
	s_andn2_saveexec_b32 s6, s6
	s_cbranch_execz .LBB122_51
; %bb.50:                               ;   in Loop: Header=BB122_7 Depth=2
	v_mov_b32_e32 v6, v2
	v_mov_b32_e32 v7, v2
	;; [unrolled: 1-line block ×4, first 2 shown]
	ds_write_b128 v58, v[6:9] offset:8192
.LBB122_51:                             ;   in Loop: Header=BB122_7 Depth=2
	s_or_b32 exec_lo, exec_lo, s6
	s_nor_b32 s5, s5, s0
	s_and_saveexec_b32 s6, s5
	s_xor_b32 s5, exec_lo, s6
	s_cbranch_execz .LBB122_53
; %bb.52:                               ;   in Loop: Header=BB122_7 Depth=2
	global_load_dwordx4 v[4:7], v[4:5], off offset:256
	s_waitcnt vmcnt(0)
	ds_write2_b64 v64, v[4:5], v[6:7] offset1:1
.LBB122_53:                             ;   in Loop: Header=BB122_7 Depth=2
	s_andn2_saveexec_b32 s5, s5
	s_cbranch_execz .LBB122_6
; %bb.54:                               ;   in Loop: Header=BB122_7 Depth=2
	v_mov_b32_e32 v4, v2
	v_mov_b32_e32 v5, v2
	;; [unrolled: 1-line block ×4, first 2 shown]
	ds_write_b128 v58, v[4:7] offset:8448
	s_branch .LBB122_6
.LBB122_55:                             ;   in Loop: Header=BB122_4 Depth=1
	v_mul_lo_u32 v6, s45, v22
	v_mul_lo_u32 v7, s44, v23
	v_mad_u64_u32 v[4:5], null, s44, v22, 0
	v_cmp_gt_i32_e64 s3, s30, v22
	v_add3_u32 v5, v5, v7, v6
	v_lshlrev_b64 v[4:5], 4, v[4:5]
	v_add_co_u32 v4, s4, s34, v4
	v_add_co_ci_u32_e64 v5, null, s35, v5, s4
	s_and_b32 s4, s1, s3
	s_and_saveexec_b32 s5, s4
	s_cbranch_execz .LBB122_57
; %bb.56:                               ;   in Loop: Header=BB122_4 Depth=1
	v_add_co_u32 v10, s4, v4, v12
	v_add_co_ci_u32_e64 v11, null, v5, v13, s4
	v_mul_f64 v[23:24], s[14:15], v[48:49]
	v_mul_f64 v[25:26], s[12:13], v[48:49]
	global_load_dwordx4 v[6:9], v[10:11], off
	v_fma_f64 v[23:24], s[12:13], v[46:47], -v[23:24]
	v_fma_f64 v[25:26], s[14:15], v[46:47], v[25:26]
	s_waitcnt vmcnt(0)
	v_add_f64 v[6:7], v[6:7], v[23:24]
	v_add_f64 v[8:9], v[25:26], v[8:9]
	global_store_dwordx4 v[10:11], v[6:9], off
.LBB122_57:                             ;   in Loop: Header=BB122_4 Depth=1
	s_or_b32 exec_lo, exec_lo, s5
	s_and_b32 s3, s2, s3
	s_and_saveexec_b32 s4, s3
	s_cbranch_execz .LBB122_59
; %bb.58:                               ;   in Loop: Header=BB122_4 Depth=1
	v_add_co_u32 v8, s3, v4, v20
	v_add_co_ci_u32_e64 v9, null, v5, v21, s3
	v_mul_f64 v[10:11], s[14:15], v[40:41]
	v_mul_f64 v[23:24], s[12:13], v[40:41]
	global_load_dwordx4 v[4:7], v[8:9], off
	v_fma_f64 v[10:11], s[12:13], v[38:39], -v[10:11]
	v_fma_f64 v[23:24], s[14:15], v[38:39], v[23:24]
	s_waitcnt vmcnt(0)
	v_add_f64 v[4:5], v[4:5], v[10:11]
	v_add_f64 v[6:7], v[23:24], v[6:7]
	global_store_dwordx4 v[8:9], v[4:7], off
.LBB122_59:                             ;   in Loop: Header=BB122_4 Depth=1
	s_or_b32 exec_lo, exec_lo, s4
	v_add_nc_u32_e32 v6, 16, v22
	v_ashrrev_i32_e32 v7, 31, v6
	v_mul_lo_u32 v8, s45, v6
	v_mad_u64_u32 v[4:5], null, s44, v6, 0
	v_cmp_gt_i32_e64 s3, s30, v6
	v_mul_lo_u32 v7, s44, v7
	v_add3_u32 v5, v5, v7, v8
	v_lshlrev_b64 v[4:5], 4, v[4:5]
	v_add_co_u32 v4, s4, s34, v4
	v_add_co_ci_u32_e64 v5, null, s35, v5, s4
	s_and_b32 s4, s1, s3
	s_and_saveexec_b32 s5, s4
	s_cbranch_execz .LBB122_61
; %bb.60:                               ;   in Loop: Header=BB122_4 Depth=1
	v_add_co_u32 v10, s4, v4, v12
	v_add_co_ci_u32_e64 v11, null, v5, v13, s4
	v_mul_f64 v[22:23], s[14:15], v[44:45]
	v_mul_f64 v[24:25], s[12:13], v[44:45]
	global_load_dwordx4 v[6:9], v[10:11], off
	v_fma_f64 v[22:23], s[12:13], v[42:43], -v[22:23]
	v_fma_f64 v[24:25], s[14:15], v[42:43], v[24:25]
	s_waitcnt vmcnt(0)
	v_add_f64 v[6:7], v[6:7], v[22:23]
	v_add_f64 v[8:9], v[24:25], v[8:9]
	global_store_dwordx4 v[10:11], v[6:9], off
.LBB122_61:                             ;   in Loop: Header=BB122_4 Depth=1
	s_or_b32 exec_lo, exec_lo, s5
	s_and_b32 s3, s2, s3
	s_and_saveexec_b32 s4, s3
	s_cbranch_execz .LBB122_3
; %bb.62:                               ;   in Loop: Header=BB122_4 Depth=1
	v_add_co_u32 v8, s3, v4, v20
	v_add_co_ci_u32_e64 v9, null, v5, v21, s3
	v_mul_f64 v[10:11], s[14:15], v[50:51]
	v_mul_f64 v[22:23], s[12:13], v[50:51]
	global_load_dwordx4 v[4:7], v[8:9], off
	v_fma_f64 v[10:11], s[12:13], v[52:53], -v[10:11]
	v_fma_f64 v[22:23], s[14:15], v[52:53], v[22:23]
	s_waitcnt vmcnt(0)
	v_add_f64 v[4:5], v[4:5], v[10:11]
	v_add_f64 v[6:7], v[22:23], v[6:7]
	global_store_dwordx4 v[8:9], v[4:7], off
	s_branch .LBB122_3
.LBB122_63:
	s_endpgm
	.section	.rodata,"a",@progbits
	.p2align	6, 0x0
	.amdhsa_kernel _ZL30rocblas_trmm_outofplace_kernelI19rocblas_complex_numIdELi32ELi2ELb0ELb1ELb0ELb0EPKS1_S2_S1_Ev17rocblas_diagonal_iiT6_lPT7_lllS7_lllPT8_llli
		.amdhsa_group_segment_fixed_size 32768
		.amdhsa_private_segment_fixed_size 0
		.amdhsa_kernarg_size 392
		.amdhsa_user_sgpr_count 6
		.amdhsa_user_sgpr_private_segment_buffer 1
		.amdhsa_user_sgpr_dispatch_ptr 0
		.amdhsa_user_sgpr_queue_ptr 0
		.amdhsa_user_sgpr_kernarg_segment_ptr 1
		.amdhsa_user_sgpr_dispatch_id 0
		.amdhsa_user_sgpr_flat_scratch_init 0
		.amdhsa_user_sgpr_private_segment_size 0
		.amdhsa_wavefront_size32 1
		.amdhsa_uses_dynamic_stack 0
		.amdhsa_system_sgpr_private_segment_wavefront_offset 0
		.amdhsa_system_sgpr_workgroup_id_x 1
		.amdhsa_system_sgpr_workgroup_id_y 1
		.amdhsa_system_sgpr_workgroup_id_z 1
		.amdhsa_system_sgpr_workgroup_info 0
		.amdhsa_system_vgpr_workitem_id 1
		.amdhsa_next_free_vgpr 87
		.amdhsa_next_free_sgpr 48
		.amdhsa_reserve_vcc 1
		.amdhsa_reserve_flat_scratch 0
		.amdhsa_float_round_mode_32 0
		.amdhsa_float_round_mode_16_64 0
		.amdhsa_float_denorm_mode_32 3
		.amdhsa_float_denorm_mode_16_64 3
		.amdhsa_dx10_clamp 1
		.amdhsa_ieee_mode 1
		.amdhsa_fp16_overflow 0
		.amdhsa_workgroup_processor_mode 1
		.amdhsa_memory_ordered 1
		.amdhsa_forward_progress 1
		.amdhsa_shared_vgpr_count 0
		.amdhsa_exception_fp_ieee_invalid_op 0
		.amdhsa_exception_fp_denorm_src 0
		.amdhsa_exception_fp_ieee_div_zero 0
		.amdhsa_exception_fp_ieee_overflow 0
		.amdhsa_exception_fp_ieee_underflow 0
		.amdhsa_exception_fp_ieee_inexact 0
		.amdhsa_exception_int_div_zero 0
	.end_amdhsa_kernel
	.section	.text._ZL30rocblas_trmm_outofplace_kernelI19rocblas_complex_numIdELi32ELi2ELb0ELb1ELb0ELb0EPKS1_S2_S1_Ev17rocblas_diagonal_iiT6_lPT7_lllS7_lllPT8_llli,"axG",@progbits,_ZL30rocblas_trmm_outofplace_kernelI19rocblas_complex_numIdELi32ELi2ELb0ELb1ELb0ELb0EPKS1_S2_S1_Ev17rocblas_diagonal_iiT6_lPT7_lllS7_lllPT8_llli,comdat
.Lfunc_end122:
	.size	_ZL30rocblas_trmm_outofplace_kernelI19rocblas_complex_numIdELi32ELi2ELb0ELb1ELb0ELb0EPKS1_S2_S1_Ev17rocblas_diagonal_iiT6_lPT7_lllS7_lllPT8_llli, .Lfunc_end122-_ZL30rocblas_trmm_outofplace_kernelI19rocblas_complex_numIdELi32ELi2ELb0ELb1ELb0ELb0EPKS1_S2_S1_Ev17rocblas_diagonal_iiT6_lPT7_lllS7_lllPT8_llli
                                        ; -- End function
	.set _ZL30rocblas_trmm_outofplace_kernelI19rocblas_complex_numIdELi32ELi2ELb0ELb1ELb0ELb0EPKS1_S2_S1_Ev17rocblas_diagonal_iiT6_lPT7_lllS7_lllPT8_llli.num_vgpr, 87
	.set _ZL30rocblas_trmm_outofplace_kernelI19rocblas_complex_numIdELi32ELi2ELb0ELb1ELb0ELb0EPKS1_S2_S1_Ev17rocblas_diagonal_iiT6_lPT7_lllS7_lllPT8_llli.num_agpr, 0
	.set _ZL30rocblas_trmm_outofplace_kernelI19rocblas_complex_numIdELi32ELi2ELb0ELb1ELb0ELb0EPKS1_S2_S1_Ev17rocblas_diagonal_iiT6_lPT7_lllS7_lllPT8_llli.numbered_sgpr, 48
	.set _ZL30rocblas_trmm_outofplace_kernelI19rocblas_complex_numIdELi32ELi2ELb0ELb1ELb0ELb0EPKS1_S2_S1_Ev17rocblas_diagonal_iiT6_lPT7_lllS7_lllPT8_llli.num_named_barrier, 0
	.set _ZL30rocblas_trmm_outofplace_kernelI19rocblas_complex_numIdELi32ELi2ELb0ELb1ELb0ELb0EPKS1_S2_S1_Ev17rocblas_diagonal_iiT6_lPT7_lllS7_lllPT8_llli.private_seg_size, 0
	.set _ZL30rocblas_trmm_outofplace_kernelI19rocblas_complex_numIdELi32ELi2ELb0ELb1ELb0ELb0EPKS1_S2_S1_Ev17rocblas_diagonal_iiT6_lPT7_lllS7_lllPT8_llli.uses_vcc, 1
	.set _ZL30rocblas_trmm_outofplace_kernelI19rocblas_complex_numIdELi32ELi2ELb0ELb1ELb0ELb0EPKS1_S2_S1_Ev17rocblas_diagonal_iiT6_lPT7_lllS7_lllPT8_llli.uses_flat_scratch, 0
	.set _ZL30rocblas_trmm_outofplace_kernelI19rocblas_complex_numIdELi32ELi2ELb0ELb1ELb0ELb0EPKS1_S2_S1_Ev17rocblas_diagonal_iiT6_lPT7_lllS7_lllPT8_llli.has_dyn_sized_stack, 0
	.set _ZL30rocblas_trmm_outofplace_kernelI19rocblas_complex_numIdELi32ELi2ELb0ELb1ELb0ELb0EPKS1_S2_S1_Ev17rocblas_diagonal_iiT6_lPT7_lllS7_lllPT8_llli.has_recursion, 0
	.set _ZL30rocblas_trmm_outofplace_kernelI19rocblas_complex_numIdELi32ELi2ELb0ELb1ELb0ELb0EPKS1_S2_S1_Ev17rocblas_diagonal_iiT6_lPT7_lllS7_lllPT8_llli.has_indirect_call, 0
	.section	.AMDGPU.csdata,"",@progbits
; Kernel info:
; codeLenInByte = 10136
; TotalNumSgprs: 50
; NumVgprs: 87
; ScratchSize: 0
; MemoryBound: 0
; FloatMode: 240
; IeeeMode: 1
; LDSByteSize: 32768 bytes/workgroup (compile time only)
; SGPRBlocks: 0
; VGPRBlocks: 10
; NumSGPRsForWavesPerEU: 50
; NumVGPRsForWavesPerEU: 87
; Occupancy: 10
; WaveLimiterHint : 0
; COMPUTE_PGM_RSRC2:SCRATCH_EN: 0
; COMPUTE_PGM_RSRC2:USER_SGPR: 6
; COMPUTE_PGM_RSRC2:TRAP_HANDLER: 0
; COMPUTE_PGM_RSRC2:TGID_X_EN: 1
; COMPUTE_PGM_RSRC2:TGID_Y_EN: 1
; COMPUTE_PGM_RSRC2:TGID_Z_EN: 1
; COMPUTE_PGM_RSRC2:TIDIG_COMP_CNT: 1
	.section	.text._ZL30rocblas_trmm_outofplace_kernelI19rocblas_complex_numIdELi32ELi2ELb0ELb1ELb0ELb0ES1_KS1_S1_Ev17rocblas_diagonal_iiT6_lPT7_lllS6_lllPT8_llli,"axG",@progbits,_ZL30rocblas_trmm_outofplace_kernelI19rocblas_complex_numIdELi32ELi2ELb0ELb1ELb0ELb0ES1_KS1_S1_Ev17rocblas_diagonal_iiT6_lPT7_lllS6_lllPT8_llli,comdat
	.globl	_ZL30rocblas_trmm_outofplace_kernelI19rocblas_complex_numIdELi32ELi2ELb0ELb1ELb0ELb0ES1_KS1_S1_Ev17rocblas_diagonal_iiT6_lPT7_lllS6_lllPT8_llli ; -- Begin function _ZL30rocblas_trmm_outofplace_kernelI19rocblas_complex_numIdELi32ELi2ELb0ELb1ELb0ELb0ES1_KS1_S1_Ev17rocblas_diagonal_iiT6_lPT7_lllS6_lllPT8_llli
	.p2align	8
	.type	_ZL30rocblas_trmm_outofplace_kernelI19rocblas_complex_numIdELi32ELi2ELb0ELb1ELb0ELb0ES1_KS1_S1_Ev17rocblas_diagonal_iiT6_lPT7_lllS6_lllPT8_llli,@function
_ZL30rocblas_trmm_outofplace_kernelI19rocblas_complex_numIdELi32ELi2ELb0ELb1ELb0ELb0ES1_KS1_S1_Ev17rocblas_diagonal_iiT6_lPT7_lllS6_lllPT8_llli: ; @_ZL30rocblas_trmm_outofplace_kernelI19rocblas_complex_numIdELi32ELi2ELb0ELb1ELb0ELb0ES1_KS1_S1_Ev17rocblas_diagonal_iiT6_lPT7_lllS6_lllPT8_llli
; %bb.0:
	s_load_dwordx4 s[28:31], s[4:5], 0x10
	s_waitcnt lgkmcnt(0)
	v_cmp_eq_f64_e64 s0, s[28:29], 0
	v_cmp_eq_f64_e64 s1, s[30:31], 0
	s_and_b32 s0, s0, s1
	s_and_b32 vcc_lo, exec_lo, s0
	s_cbranch_vccnz .LBB123_63
; %bb.1:
	s_load_dwordx4 s[44:47], s[4:5], 0x0
	s_waitcnt lgkmcnt(0)
	s_add_i32 s0, s46, -1
	s_ashr_i32 s1, s0, 31
	s_lshr_b32 s1, s1, 27
	s_add_i32 s0, s0, s1
	s_ashr_i32 s11, s0, 5
	s_cmp_gt_i32 s7, s11
	s_cbranch_scc1 .LBB123_63
; %bb.2:
	s_clause 0x2
	s_load_dwordx16 s[12:27], s[4:5], 0x28
	s_load_dwordx8 s[36:43], s[4:5], 0x68
	s_load_dword s33, s[4:5], 0x94
	v_lshl_add_u32 v3, s6, 5, v0
	v_lshlrev_b32_e32 v55, 4, v0
	v_lshlrev_b32_e32 v54, 9, v1
	v_mov_b32_e32 v2, 0
	v_lshl_add_u32 v18, s7, 5, v1
	v_ashrrev_i32_e32 v4, 31, v3
	v_sub_co_u32 v5, vcc_lo, s45, v3
	v_or_b32_e32 v57, 0x4000, v55
	v_add_nc_u32_e32 v56, v54, v55
	v_lshlrev_b64 v[12:13], 4, v[3:4]
	v_add_nc_u32_e32 v58, v57, v54
	v_add_nc_u32_e32 v59, 0x100, v56
	;; [unrolled: 1-line block ×4, first 2 shown]
	s_waitcnt lgkmcnt(0)
	s_mul_i32 s1, s27, s8
	s_mul_hi_u32 s2, s26, s8
	s_mul_i32 s0, s26, s8
	s_add_i32 s1, s2, s1
	s_mul_i32 s3, s43, s8
	s_lshl_b64 s[0:1], s[0:1], 4
	s_mul_hi_u32 s4, s42, s8
	s_add_u32 s5, s20, s0
	s_addc_u32 s6, s21, s1
	s_lshl_b64 s[0:1], s[22:23], 4
	s_mul_i32 s2, s42, s8
	s_add_u32 s5, s5, s0
	s_addc_u32 s6, s6, s1
	s_add_i32 s3, s4, s3
	v_mad_u64_u32 v[7:8], null, s24, v1, 0
	s_lshl_b64 s[0:1], s[2:3], 4
	s_mul_hi_u32 s4, s18, s8
	s_add_u32 s2, s36, s0
	s_addc_u32 s3, s37, s1
	s_lshl_b64 s[0:1], s[38:39], 4
	v_add_nc_u32_e32 v62, 0x100, v58
	s_add_u32 s26, s2, s0
	s_addc_u32 s27, s3, s1
	s_cmpk_eq_i32 s44, 0x84
	v_cmp_gt_i32_e64 s1, s45, v3
	s_cselect_b32 s34, -1, 0
	s_ashr_i32 s0, s45, 31
	v_sub_co_u32 v65, s3, 0, v0
	v_sub_co_ci_u32_e64 v6, null, s0, v4, vcc_lo
	v_add_co_u32 v14, vcc_lo, s5, v12
	v_add_co_ci_u32_e64 v15, null, s6, v13, vcc_lo
	v_cmp_gt_i64_e32 vcc_lo, 1, v[5:6]
	v_cmp_gt_i64_e64 s0, 17, v[5:6]
	v_mov_b32_e32 v6, v8
	v_add_nc_u32_e32 v4, 16, v3
	s_ashr_i32 s47, s46, 31
	s_lshl_b64 s[20:21], s[24:25], 9
	v_sub_co_ci_u32_e64 v66, null, 0, 0, s3
	v_mad_u64_u32 v[8:9], null, s25, v1, v[6:7]
	v_lshl_add_u32 v9, v1, 4, 0x100
	s_mul_i32 s3, s19, s8
	s_add_u32 s22, s46, -16
	s_addc_u32 s23, s47, -1
	v_ashrrev_i32_e32 v5, 31, v4
	v_mad_u64_u32 v[16:17], null, s24, v9, 0
	v_lshlrev_b64 v[6:7], 4, v[7:8]
	s_add_i32 s5, s4, s3
	s_mul_i32 s4, s18, s8
	s_lshl_b64 s[8:9], s[14:15], 4
	s_lshl_b64 s[4:5], s[4:5], 4
	s_lshl_b32 s24, s33, 5
	v_mov_b32_e32 v3, v17
	v_add_co_u32 v17, s3, 0x100, v6
	v_add_co_ci_u32_e64 v67, null, 0, v7, s3
	v_mad_u64_u32 v[8:9], null, s25, v9, v[3:4]
	s_add_u32 s3, s4, s8
	s_addc_u32 s4, s5, s9
	v_lshlrev_b64 v[20:21], 4, v[4:5]
	v_add_nc_u32_e32 v63, 0x2000, v58
	v_add_nc_u32_e32 v64, 0x2100, v58
	v_cmp_gt_i32_e64 s2, s45, v4
	s_add_u32 s3, s12, s3
	v_mov_b32_e32 v68, v8
	v_mov_b32_e32 v3, 0x3ff00000
	s_addc_u32 s4, s13, s4
	s_add_u32 s12, s3, 0x100
	s_addc_u32 s13, s4, 0
	s_lshl_b64 s[14:15], s[16:17], 4
	s_branch .LBB123_4
.LBB123_3:                              ;   in Loop: Header=BB123_4 Depth=1
	s_or_b32 exec_lo, exec_lo, s4
	v_add_nc_u32_e32 v18, s24, v18
	s_add_i32 s7, s33, s7
	s_cmp_le_i32 s7, s11
	s_cbranch_scc0 .LBB123_63
.LBB123_4:                              ; =>This Loop Header: Depth=1
                                        ;     Child Loop BB123_7 Depth 2
	s_lshl_b32 s25, s7, 5
	v_mov_b32_e32 v46, 0
	v_add_nc_u32_e32 v22, s25, v1
	v_mov_b32_e32 v48, 0
	v_mov_b32_e32 v38, 0
	;; [unrolled: 1-line block ×15, first 2 shown]
	v_ashrrev_i32_e32 v23, 31, v22
	s_cmp_lt_i32 s7, 0
	s_cbranch_scc1 .LBB123_55
; %bb.5:                                ;   in Loop: Header=BB123_4 Depth=1
	v_ashrrev_i32_e32 v19, 31, v18
	v_add_co_u32 v28, s4, v22, 16
	v_add_co_ci_u32_e64 v29, null, 0, v23, s4
	v_lshlrev_b64 v[4:5], 4, v[18:19]
	v_add_co_u32 v30, s4, v65, v18
	v_mad_u64_u32 v[24:25], null, s14, v18, s[12:13]
	v_mul_lo_u32 v6, s15, v18
	v_add_co_u32 v4, s3, 0x100, v4
	v_add_co_ci_u32_e64 v5, null, 0, v5, s3
	v_mul_lo_u32 v7, s14, v19
	v_mul_lo_u32 v8, s17, v4
	v_mad_u64_u32 v[26:27], null, s16, v4, s[12:13]
	v_mul_lo_u32 v5, s16, v5
	v_add_co_ci_u32_e64 v31, null, v66, v19, s4
	v_add_co_u32 v32, s5, v30, 16
	v_cmp_le_i64_e64 s4, s[46:47], v[28:29]
	v_add_co_ci_u32_e64 v33, null, 0, v31, s5
	v_add_co_u32 v34, s5, v30, -16
	v_mov_b32_e32 v50, 0
	v_mov_b32_e32 v52, 0
	v_mov_b32_e32 v44, 0
	v_mov_b32_e32 v42, 0
	v_mov_b32_e32 v40, 0
	v_mov_b32_e32 v38, 0
	v_mov_b32_e32 v48, 0
	v_mov_b32_e32 v46, 0
	v_mov_b32_e32 v37, v15
	v_cmp_le_i32_e64 s3, s46, v22
	v_add3_u32 v25, v6, v25, v7
	v_add3_u32 v27, v8, v27, v5
	v_add_co_ci_u32_e64 v35, null, -1, v31, s5
	v_mov_b32_e32 v51, 0
	v_mov_b32_e32 v53, 0
	;; [unrolled: 1-line block ×9, first 2 shown]
	s_mov_b64 s[18:19], 0
	s_branch .LBB123_7
.LBB123_6:                              ;   in Loop: Header=BB123_7 Depth=2
	s_or_b32 exec_lo, exec_lo, s5
	s_waitcnt lgkmcnt(0)
	s_barrier
	buffer_gl0_inv
	ds_read_b128 v[69:72], v54
	ds_read_b128 v[73:76], v54 offset:16
	ds_read_b128 v[8:11], v54 offset:32
	;; [unrolled: 1-line block ×3, first 2 shown]
	ds_read_b128 v[77:80], v57
	v_add_co_u32 v36, s5, v36, s20
	v_add_co_ci_u32_e64 v37, null, s21, v37, s5
	v_add_co_u32 v26, s5, 0x200, v26
	v_add_co_ci_u32_e64 v27, null, 0, v27, s5
	v_add_co_u32 v24, s5, 0x200, v24
	s_add_u32 s18, s18, 32
	v_add_co_ci_u32_e64 v25, null, 0, v25, s5
	s_addc_u32 s19, s19, 0
	s_sub_i32 s6, s18, 32
	s_cmp_ge_i32 s6, s25
	s_waitcnt lgkmcnt(0)
	v_mul_f64 v[81:82], v[71:72], v[79:80]
	v_mul_f64 v[83:84], v[69:70], v[79:80]
	v_fma_f64 v[81:82], v[69:70], v[77:78], -v[81:82]
	v_fma_f64 v[83:84], v[71:72], v[77:78], v[83:84]
	v_add_f64 v[81:82], v[46:47], v[81:82]
	v_add_f64 v[83:84], v[83:84], v[48:49]
	ds_read_b128 v[46:49], v57 offset:256
	s_waitcnt lgkmcnt(0)
	v_mul_f64 v[85:86], v[71:72], v[48:49]
	v_fma_f64 v[85:86], v[69:70], v[46:47], -v[85:86]
	v_mul_f64 v[69:70], v[69:70], v[48:49]
	v_fma_f64 v[69:70], v[71:72], v[46:47], v[69:70]
	v_add_f64 v[71:72], v[38:39], v[85:86]
	v_add_f64 v[69:70], v[69:70], v[40:41]
	ds_read_b128 v[38:41], v54 offset:8192
	s_waitcnt lgkmcnt(0)
	v_mul_f64 v[85:86], v[40:41], v[79:80]
	v_mul_f64 v[79:80], v[38:39], v[79:80]
	v_fma_f64 v[85:86], v[38:39], v[77:78], -v[85:86]
	v_fma_f64 v[77:78], v[40:41], v[77:78], v[79:80]
	v_add_f64 v[79:80], v[42:43], v[85:86]
	v_mul_f64 v[42:43], v[40:41], v[48:49]
	v_add_f64 v[77:78], v[77:78], v[44:45]
	v_fma_f64 v[42:43], v[38:39], v[46:47], -v[42:43]
	v_mul_f64 v[38:39], v[38:39], v[48:49]
	v_add_f64 v[52:53], v[52:53], v[42:43]
	v_fma_f64 v[38:39], v[40:41], v[46:47], v[38:39]
	v_add_f64 v[50:51], v[38:39], v[50:51]
	ds_read_b128 v[38:41], v57 offset:512
	s_waitcnt lgkmcnt(0)
	v_mul_f64 v[42:43], v[75:76], v[40:41]
	v_mul_f64 v[44:45], v[73:74], v[40:41]
	v_fma_f64 v[42:43], v[73:74], v[38:39], -v[42:43]
	v_fma_f64 v[44:45], v[75:76], v[38:39], v[44:45]
	v_add_f64 v[81:82], v[81:82], v[42:43]
	v_add_f64 v[83:84], v[44:45], v[83:84]
	ds_read_b128 v[42:45], v57 offset:768
	s_waitcnt lgkmcnt(0)
	v_mul_f64 v[46:47], v[75:76], v[44:45]
	v_mul_f64 v[48:49], v[73:74], v[44:45]
	v_fma_f64 v[46:47], v[73:74], v[42:43], -v[46:47]
	v_fma_f64 v[48:49], v[75:76], v[42:43], v[48:49]
	v_add_f64 v[71:72], v[71:72], v[46:47]
	v_add_f64 v[69:70], v[48:49], v[69:70]
	ds_read_b128 v[46:49], v54 offset:8208
	s_waitcnt lgkmcnt(0)
	v_mul_f64 v[73:74], v[48:49], v[40:41]
	v_mul_f64 v[40:41], v[46:47], v[40:41]
	v_fma_f64 v[73:74], v[46:47], v[38:39], -v[73:74]
	v_fma_f64 v[38:39], v[48:49], v[38:39], v[40:41]
	v_mul_f64 v[40:41], v[46:47], v[44:45]
	v_add_f64 v[73:74], v[79:80], v[73:74]
	v_add_f64 v[75:76], v[38:39], v[77:78]
	v_mul_f64 v[38:39], v[48:49], v[44:45]
	v_fma_f64 v[40:41], v[48:49], v[42:43], v[40:41]
	v_fma_f64 v[38:39], v[46:47], v[42:43], -v[38:39]
	v_add_f64 v[48:49], v[40:41], v[50:51]
	v_add_f64 v[46:47], v[52:53], v[38:39]
	ds_read_b128 v[38:41], v57 offset:1024
	s_waitcnt lgkmcnt(0)
	v_mul_f64 v[42:43], v[10:11], v[40:41]
	v_mul_f64 v[44:45], v[8:9], v[40:41]
	v_fma_f64 v[42:43], v[8:9], v[38:39], -v[42:43]
	v_fma_f64 v[44:45], v[10:11], v[38:39], v[44:45]
	v_add_f64 v[50:51], v[81:82], v[42:43]
	v_add_f64 v[52:53], v[44:45], v[83:84]
	ds_read_b128 v[42:45], v57 offset:1280
	s_waitcnt lgkmcnt(0)
	v_mul_f64 v[77:78], v[10:11], v[44:45]
	v_fma_f64 v[77:78], v[8:9], v[42:43], -v[77:78]
	v_mul_f64 v[8:9], v[8:9], v[44:45]
	v_add_f64 v[71:72], v[71:72], v[77:78]
	v_fma_f64 v[8:9], v[10:11], v[42:43], v[8:9]
	v_add_f64 v[69:70], v[8:9], v[69:70]
	ds_read_b128 v[8:11], v54 offset:8224
	s_waitcnt lgkmcnt(0)
	v_mul_f64 v[77:78], v[10:11], v[40:41]
	v_mul_f64 v[40:41], v[8:9], v[40:41]
	v_fma_f64 v[77:78], v[8:9], v[38:39], -v[77:78]
	v_fma_f64 v[38:39], v[10:11], v[38:39], v[40:41]
	v_add_f64 v[73:74], v[73:74], v[77:78]
	v_add_f64 v[75:76], v[38:39], v[75:76]
	v_mul_f64 v[38:39], v[10:11], v[44:45]
	v_fma_f64 v[38:39], v[8:9], v[42:43], -v[38:39]
	v_mul_f64 v[8:9], v[8:9], v[44:45]
	v_fma_f64 v[8:9], v[10:11], v[42:43], v[8:9]
	v_add_f64 v[42:43], v[46:47], v[38:39]
	v_add_f64 v[44:45], v[8:9], v[48:49]
	ds_read_b128 v[8:11], v57 offset:1536
	s_waitcnt lgkmcnt(0)
	v_mul_f64 v[38:39], v[6:7], v[10:11]
	v_mul_f64 v[40:41], v[4:5], v[10:11]
	v_fma_f64 v[38:39], v[4:5], v[8:9], -v[38:39]
	v_fma_f64 v[40:41], v[6:7], v[8:9], v[40:41]
	v_add_f64 v[46:47], v[50:51], v[38:39]
	v_add_f64 v[48:49], v[40:41], v[52:53]
	ds_read_b128 v[38:41], v57 offset:1792
	s_waitcnt lgkmcnt(0)
	v_mul_f64 v[50:51], v[6:7], v[40:41]
	v_fma_f64 v[50:51], v[4:5], v[38:39], -v[50:51]
	v_mul_f64 v[4:5], v[4:5], v[40:41]
	v_add_f64 v[50:51], v[71:72], v[50:51]
	v_fma_f64 v[4:5], v[6:7], v[38:39], v[4:5]
	v_add_f64 v[52:53], v[4:5], v[69:70]
	ds_read_b128 v[4:7], v54 offset:8240
	s_waitcnt lgkmcnt(0)
	v_mul_f64 v[69:70], v[6:7], v[10:11]
	v_mul_f64 v[10:11], v[4:5], v[10:11]
	v_fma_f64 v[69:70], v[4:5], v[8:9], -v[69:70]
	v_fma_f64 v[8:9], v[6:7], v[8:9], v[10:11]
	v_add_f64 v[69:70], v[73:74], v[69:70]
	v_add_f64 v[71:72], v[8:9], v[75:76]
	v_mul_f64 v[8:9], v[6:7], v[40:41]
	v_fma_f64 v[8:9], v[4:5], v[38:39], -v[8:9]
	v_mul_f64 v[4:5], v[4:5], v[40:41]
	v_add_f64 v[42:43], v[42:43], v[8:9]
	v_fma_f64 v[4:5], v[6:7], v[38:39], v[4:5]
	v_add_f64 v[44:45], v[4:5], v[44:45]
	ds_read_b128 v[4:7], v54 offset:64
	ds_read_b128 v[8:11], v57 offset:2048
	s_waitcnt lgkmcnt(0)
	v_mul_f64 v[38:39], v[6:7], v[10:11]
	v_mul_f64 v[40:41], v[4:5], v[10:11]
	v_fma_f64 v[38:39], v[4:5], v[8:9], -v[38:39]
	v_fma_f64 v[40:41], v[6:7], v[8:9], v[40:41]
	v_add_f64 v[46:47], v[46:47], v[38:39]
	v_add_f64 v[48:49], v[40:41], v[48:49]
	ds_read_b128 v[38:41], v57 offset:2304
	s_waitcnt lgkmcnt(0)
	v_mul_f64 v[73:74], v[6:7], v[40:41]
	v_fma_f64 v[73:74], v[4:5], v[38:39], -v[73:74]
	v_mul_f64 v[4:5], v[4:5], v[40:41]
	v_add_f64 v[50:51], v[50:51], v[73:74]
	v_fma_f64 v[4:5], v[6:7], v[38:39], v[4:5]
	v_add_f64 v[52:53], v[4:5], v[52:53]
	ds_read_b128 v[4:7], v54 offset:8256
	s_waitcnt lgkmcnt(0)
	v_mul_f64 v[73:74], v[6:7], v[10:11]
	v_mul_f64 v[10:11], v[4:5], v[10:11]
	v_fma_f64 v[73:74], v[4:5], v[8:9], -v[73:74]
	v_fma_f64 v[8:9], v[6:7], v[8:9], v[10:11]
	v_add_f64 v[69:70], v[69:70], v[73:74]
	v_add_f64 v[71:72], v[8:9], v[71:72]
	v_mul_f64 v[8:9], v[6:7], v[40:41]
	v_fma_f64 v[8:9], v[4:5], v[38:39], -v[8:9]
	v_mul_f64 v[4:5], v[4:5], v[40:41]
	v_add_f64 v[42:43], v[42:43], v[8:9]
	v_fma_f64 v[4:5], v[6:7], v[38:39], v[4:5]
	v_add_f64 v[44:45], v[4:5], v[44:45]
	ds_read_b128 v[4:7], v54 offset:80
	;; [unrolled: 31-line block ×27, first 2 shown]
	ds_read_b128 v[8:11], v57 offset:15360
	s_waitcnt lgkmcnt(0)
	v_mul_f64 v[38:39], v[6:7], v[10:11]
	v_mul_f64 v[40:41], v[4:5], v[10:11]
	v_fma_f64 v[38:39], v[4:5], v[8:9], -v[38:39]
	v_fma_f64 v[40:41], v[6:7], v[8:9], v[40:41]
	v_add_f64 v[46:47], v[46:47], v[38:39]
	v_add_f64 v[48:49], v[40:41], v[48:49]
	ds_read_b128 v[38:41], v57 offset:15616
	s_waitcnt lgkmcnt(0)
	v_mul_f64 v[73:74], v[6:7], v[40:41]
	v_fma_f64 v[73:74], v[4:5], v[38:39], -v[73:74]
	v_mul_f64 v[4:5], v[4:5], v[40:41]
	v_add_f64 v[73:74], v[50:51], v[73:74]
	v_fma_f64 v[4:5], v[6:7], v[38:39], v[4:5]
	v_add_f64 v[75:76], v[4:5], v[52:53]
	ds_read_b128 v[4:7], v54 offset:8672
	s_waitcnt lgkmcnt(0)
	v_mul_f64 v[50:51], v[6:7], v[10:11]
	v_mul_f64 v[10:11], v[4:5], v[10:11]
	v_fma_f64 v[50:51], v[4:5], v[8:9], -v[50:51]
	v_fma_f64 v[8:9], v[6:7], v[8:9], v[10:11]
	v_add_f64 v[77:78], v[69:70], v[50:51]
	v_add_f64 v[79:80], v[8:9], v[71:72]
	v_mul_f64 v[8:9], v[6:7], v[40:41]
	v_fma_f64 v[8:9], v[4:5], v[38:39], -v[8:9]
	v_mul_f64 v[4:5], v[4:5], v[40:41]
	v_fma_f64 v[6:7], v[6:7], v[38:39], v[4:5]
	v_add_f64 v[4:5], v[42:43], v[8:9]
	v_add_f64 v[6:7], v[6:7], v[44:45]
	ds_read_b128 v[8:11], v54 offset:496
	ds_read_b128 v[42:45], v57 offset:15872
	;; [unrolled: 1-line block ×4, first 2 shown]
	s_waitcnt lgkmcnt(0)
	s_barrier
	buffer_gl0_inv
	v_mul_f64 v[38:39], v[10:11], v[44:45]
	v_mul_f64 v[40:41], v[8:9], v[44:45]
	v_fma_f64 v[38:39], v[8:9], v[42:43], -v[38:39]
	v_fma_f64 v[40:41], v[10:11], v[42:43], v[40:41]
	v_add_f64 v[46:47], v[46:47], v[38:39]
	v_mul_f64 v[38:39], v[10:11], v[52:53]
	v_add_f64 v[48:49], v[40:41], v[48:49]
	v_fma_f64 v[38:39], v[8:9], v[50:51], -v[38:39]
	v_mul_f64 v[8:9], v[8:9], v[52:53]
	v_add_f64 v[38:39], v[73:74], v[38:39]
	v_fma_f64 v[8:9], v[10:11], v[50:51], v[8:9]
	v_mul_f64 v[10:11], v[69:70], v[44:45]
	v_add_f64 v[40:41], v[8:9], v[75:76]
	v_mul_f64 v[8:9], v[71:72], v[44:45]
	v_fma_f64 v[10:11], v[71:72], v[42:43], v[10:11]
	v_fma_f64 v[8:9], v[69:70], v[42:43], -v[8:9]
	v_add_f64 v[44:45], v[10:11], v[79:80]
	v_mul_f64 v[10:11], v[69:70], v[52:53]
	v_add_f64 v[42:43], v[77:78], v[8:9]
	v_mul_f64 v[8:9], v[71:72], v[52:53]
	v_fma_f64 v[10:11], v[71:72], v[50:51], v[10:11]
	v_fma_f64 v[8:9], v[69:70], v[50:51], -v[8:9]
	v_add_f64 v[50:51], v[10:11], v[6:7]
	v_add_f64 v[52:53], v[4:5], v[8:9]
	s_cbranch_scc1 .LBB123_55
.LBB123_7:                              ;   Parent Loop BB123_4 Depth=1
                                        ; =>  This Inner Loop Header: Depth=2
	v_add_co_u32 v6, s5, v0, s18
	v_add_co_ci_u32_e64 v7, null, 0, s19, s5
	v_cmp_eq_u64_e64 s8, s[18:19], v[30:31]
	v_cmp_gt_i64_e64 s5, v[6:7], v[22:23]
	v_cmp_le_i64_e64 s6, s[46:47], v[6:7]
	s_and_b32 s36, s34, s8
	v_add_co_u32 v8, s8, v24, v55
	s_or_b32 s9, s3, s5
	v_add_co_ci_u32_e64 v9, null, 0, v25, s8
	s_or_b32 s8, s9, s36
	s_nor_b32 s8, s6, s8
	s_and_saveexec_b32 s9, s8
	s_xor_b32 s8, exec_lo, s9
	s_cbranch_execz .LBB123_9
; %bb.8:                                ;   in Loop: Header=BB123_7 Depth=2
	global_load_dwordx4 v[69:72], v[8:9], off offset:-256
	s_waitcnt vmcnt(0)
	ds_write2_b64 v56, v[69:70], v[71:72] offset1:1
.LBB123_9:                              ;   in Loop: Header=BB123_7 Depth=2
	s_or_saveexec_b32 s8, s8
	s_xor_b32 s35, s36, -1
	s_xor_b32 exec_lo, exec_lo, s8
	s_cbranch_execz .LBB123_15
; %bb.10:                               ;   in Loop: Header=BB123_7 Depth=2
	s_and_saveexec_b32 s9, s35
	s_xor_b32 s9, exec_lo, s9
	s_cbranch_execz .LBB123_12
; %bb.11:                               ;   in Loop: Header=BB123_7 Depth=2
	v_mov_b32_e32 v69, v2
	v_mov_b32_e32 v70, v2
	;; [unrolled: 1-line block ×4, first 2 shown]
	ds_write_b128 v56, v[69:72]
.LBB123_12:                             ;   in Loop: Header=BB123_7 Depth=2
	s_andn2_saveexec_b32 s9, s9
; %bb.13:                               ;   in Loop: Header=BB123_7 Depth=2
	v_mov_b32_e32 v4, v2
	v_mov_b32_e32 v5, v2
	ds_write_b128 v56, v[2:5]
; %bb.14:                               ;   in Loop: Header=BB123_7 Depth=2
	s_or_b32 exec_lo, exec_lo, s9
.LBB123_15:                             ;   in Loop: Header=BB123_7 Depth=2
	s_or_b32 exec_lo, exec_lo, s8
	v_add_co_u32 v4, s8, v6, 16
	v_add_co_ci_u32_e64 v5, null, 0, v7, s8
	v_cmp_eq_u64_e64 s9, s[18:19], v[34:35]
	v_cmp_gt_i64_e64 s10, v[4:5], v[22:23]
	v_cmp_le_i64_e64 s8, s[46:47], v[4:5]
	s_and_b32 s37, s34, s9
	s_or_b32 s9, s3, s10
	s_or_b32 s9, s9, s37
	s_nor_b32 s9, s8, s9
	s_and_saveexec_b32 s10, s9
	s_xor_b32 s9, exec_lo, s10
	s_cbranch_execz .LBB123_17
; %bb.16:                               ;   in Loop: Header=BB123_7 Depth=2
	global_load_dwordx4 v[8:11], v[8:9], off
	s_waitcnt vmcnt(0)
	ds_write2_b64 v59, v[8:9], v[10:11] offset1:1
.LBB123_17:                             ;   in Loop: Header=BB123_7 Depth=2
	s_andn2_saveexec_b32 s9, s9
	s_cbranch_execz .LBB123_23
; %bb.18:                               ;   in Loop: Header=BB123_7 Depth=2
	s_xor_b32 s10, s37, -1
	s_and_saveexec_b32 s37, s10
	s_xor_b32 s10, exec_lo, s37
	s_cbranch_execz .LBB123_20
; %bb.19:                               ;   in Loop: Header=BB123_7 Depth=2
	v_mov_b32_e32 v8, v2
	v_mov_b32_e32 v9, v2
	;; [unrolled: 1-line block ×4, first 2 shown]
	ds_write_b128 v56, v[8:11] offset:256
.LBB123_20:                             ;   in Loop: Header=BB123_7 Depth=2
	s_andn2_saveexec_b32 s10, s10
; %bb.21:                               ;   in Loop: Header=BB123_7 Depth=2
	v_mov_b32_e32 v4, v2
	v_mov_b32_e32 v5, v2
	ds_write_b128 v56, v[2:5] offset:256
; %bb.22:                               ;   in Loop: Header=BB123_7 Depth=2
	s_or_b32 exec_lo, exec_lo, s10
.LBB123_23:                             ;   in Loop: Header=BB123_7 Depth=2
	s_or_b32 exec_lo, exec_lo, s9
	v_cmp_eq_u64_e64 s9, s[18:19], v[32:33]
	v_cmp_gt_i64_e64 s10, v[6:7], v[28:29]
	s_and_b32 s37, s34, s9
	v_add_co_u32 v6, s9, v26, v55
	s_or_b32 s10, s4, s10
	v_add_co_ci_u32_e64 v7, null, 0, v27, s9
	s_or_b32 s9, s10, s37
	s_nor_b32 s6, s6, s9
	s_and_saveexec_b32 s9, s6
	s_xor_b32 s6, exec_lo, s9
	s_cbranch_execz .LBB123_25
; %bb.24:                               ;   in Loop: Header=BB123_7 Depth=2
	global_load_dwordx4 v[8:11], v[6:7], off offset:-256
	s_waitcnt vmcnt(0)
	ds_write2_b64 v60, v[8:9], v[10:11] offset1:1
.LBB123_25:                             ;   in Loop: Header=BB123_7 Depth=2
	s_andn2_saveexec_b32 s6, s6
	s_cbranch_execz .LBB123_31
; %bb.26:                               ;   in Loop: Header=BB123_7 Depth=2
	s_xor_b32 s9, s37, -1
	s_and_saveexec_b32 s10, s9
	s_xor_b32 s9, exec_lo, s10
	s_cbranch_execz .LBB123_28
; %bb.27:                               ;   in Loop: Header=BB123_7 Depth=2
	v_mov_b32_e32 v8, v2
	v_mov_b32_e32 v9, v2
	v_mov_b32_e32 v10, v2
	v_mov_b32_e32 v11, v2
	ds_write_b128 v56, v[8:11] offset:8192
.LBB123_28:                             ;   in Loop: Header=BB123_7 Depth=2
	s_andn2_saveexec_b32 s9, s9
; %bb.29:                               ;   in Loop: Header=BB123_7 Depth=2
	v_mov_b32_e32 v4, v2
	v_mov_b32_e32 v5, v2
	ds_write_b128 v56, v[2:5] offset:8192
; %bb.30:                               ;   in Loop: Header=BB123_7 Depth=2
	s_or_b32 exec_lo, exec_lo, s9
.LBB123_31:                             ;   in Loop: Header=BB123_7 Depth=2
	s_or_b32 exec_lo, exec_lo, s6
	s_or_b32 s5, s4, s5
	s_or_b32 s5, s5, s36
	s_nor_b32 s5, s8, s5
	s_and_saveexec_b32 s6, s5
	s_xor_b32 s5, exec_lo, s6
	s_cbranch_execz .LBB123_33
; %bb.32:                               ;   in Loop: Header=BB123_7 Depth=2
	global_load_dwordx4 v[4:7], v[6:7], off
	s_waitcnt vmcnt(0)
	ds_write2_b64 v61, v[4:5], v[6:7] offset1:1
.LBB123_33:                             ;   in Loop: Header=BB123_7 Depth=2
	s_andn2_saveexec_b32 s5, s5
	s_cbranch_execz .LBB123_39
; %bb.34:                               ;   in Loop: Header=BB123_7 Depth=2
	s_and_saveexec_b32 s6, s35
	s_xor_b32 s6, exec_lo, s6
	s_cbranch_execz .LBB123_36
; %bb.35:                               ;   in Loop: Header=BB123_7 Depth=2
	v_mov_b32_e32 v4, v2
	v_mov_b32_e32 v5, v2
	;; [unrolled: 1-line block ×4, first 2 shown]
	ds_write_b128 v56, v[4:7] offset:8448
.LBB123_36:                             ;   in Loop: Header=BB123_7 Depth=2
	s_andn2_saveexec_b32 s6, s6
; %bb.37:                               ;   in Loop: Header=BB123_7 Depth=2
	v_mov_b32_e32 v4, v2
	v_mov_b32_e32 v5, v2
	ds_write_b128 v56, v[2:5] offset:8448
; %bb.38:                               ;   in Loop: Header=BB123_7 Depth=2
	s_or_b32 exec_lo, exec_lo, s6
.LBB123_39:                             ;   in Loop: Header=BB123_7 Depth=2
	s_or_b32 exec_lo, exec_lo, s5
	v_add_co_u32 v4, s5, v1, s18
	v_add_co_ci_u32_e64 v5, null, 0, s19, s5
	v_add_co_u32 v6, s6, v36, v17
	v_add_co_ci_u32_e64 v7, null, v37, v67, s6
	v_cmp_le_i64_e64 s5, s[46:47], v[4:5]
	s_nor_b32 s6, s5, vcc_lo
	s_and_saveexec_b32 s8, s6
	s_xor_b32 s6, exec_lo, s8
	s_cbranch_execz .LBB123_41
; %bb.40:                               ;   in Loop: Header=BB123_7 Depth=2
	global_load_dwordx4 v[8:11], v[6:7], off offset:-256
	s_waitcnt vmcnt(0)
	ds_write2_b64 v58, v[8:9], v[10:11] offset1:1
.LBB123_41:                             ;   in Loop: Header=BB123_7 Depth=2
	s_andn2_saveexec_b32 s6, s6
	s_cbranch_execz .LBB123_43
; %bb.42:                               ;   in Loop: Header=BB123_7 Depth=2
	v_mov_b32_e32 v8, v2
	v_mov_b32_e32 v9, v2
	v_mov_b32_e32 v10, v2
	v_mov_b32_e32 v11, v2
	ds_write_b128 v58, v[8:11]
.LBB123_43:                             ;   in Loop: Header=BB123_7 Depth=2
	s_or_b32 exec_lo, exec_lo, s6
	s_nor_b32 s5, s5, s0
	s_and_saveexec_b32 s6, s5
	s_xor_b32 s5, exec_lo, s6
	s_cbranch_execz .LBB123_45
; %bb.44:                               ;   in Loop: Header=BB123_7 Depth=2
	global_load_dwordx4 v[6:9], v[6:7], off
	s_waitcnt vmcnt(0)
	ds_write2_b64 v62, v[6:7], v[8:9] offset1:1
.LBB123_45:                             ;   in Loop: Header=BB123_7 Depth=2
	s_andn2_saveexec_b32 s5, s5
	s_cbranch_execz .LBB123_47
; %bb.46:                               ;   in Loop: Header=BB123_7 Depth=2
	v_mov_b32_e32 v6, v2
	v_mov_b32_e32 v7, v2
	;; [unrolled: 1-line block ×4, first 2 shown]
	ds_write_b128 v58, v[6:9] offset:256
.LBB123_47:                             ;   in Loop: Header=BB123_7 Depth=2
	s_or_b32 exec_lo, exec_lo, s5
	v_cmp_le_i64_e64 s5, s[22:23], v[4:5]
	v_add_co_u32 v4, s6, v36, v16
	v_add_co_ci_u32_e64 v5, null, v37, v68, s6
	s_nor_b32 s6, s5, vcc_lo
	s_and_saveexec_b32 s8, s6
	s_xor_b32 s6, exec_lo, s8
	s_cbranch_execz .LBB123_49
; %bb.48:                               ;   in Loop: Header=BB123_7 Depth=2
	global_load_dwordx4 v[6:9], v[4:5], off
	s_waitcnt vmcnt(0)
	ds_write2_b64 v63, v[6:7], v[8:9] offset1:1
.LBB123_49:                             ;   in Loop: Header=BB123_7 Depth=2
	s_andn2_saveexec_b32 s6, s6
	s_cbranch_execz .LBB123_51
; %bb.50:                               ;   in Loop: Header=BB123_7 Depth=2
	v_mov_b32_e32 v6, v2
	v_mov_b32_e32 v7, v2
	;; [unrolled: 1-line block ×4, first 2 shown]
	ds_write_b128 v58, v[6:9] offset:8192
.LBB123_51:                             ;   in Loop: Header=BB123_7 Depth=2
	s_or_b32 exec_lo, exec_lo, s6
	s_nor_b32 s5, s5, s0
	s_and_saveexec_b32 s6, s5
	s_xor_b32 s5, exec_lo, s6
	s_cbranch_execz .LBB123_53
; %bb.52:                               ;   in Loop: Header=BB123_7 Depth=2
	global_load_dwordx4 v[4:7], v[4:5], off offset:256
	s_waitcnt vmcnt(0)
	ds_write2_b64 v64, v[4:5], v[6:7] offset1:1
.LBB123_53:                             ;   in Loop: Header=BB123_7 Depth=2
	s_andn2_saveexec_b32 s5, s5
	s_cbranch_execz .LBB123_6
; %bb.54:                               ;   in Loop: Header=BB123_7 Depth=2
	v_mov_b32_e32 v4, v2
	v_mov_b32_e32 v5, v2
	;; [unrolled: 1-line block ×4, first 2 shown]
	ds_write_b128 v58, v[4:7] offset:8448
	s_branch .LBB123_6
.LBB123_55:                             ;   in Loop: Header=BB123_4 Depth=1
	v_mul_lo_u32 v6, s41, v22
	v_mul_lo_u32 v7, s40, v23
	v_mad_u64_u32 v[4:5], null, s40, v22, 0
	v_cmp_gt_i32_e64 s3, s46, v22
	v_add3_u32 v5, v5, v7, v6
	v_lshlrev_b64 v[4:5], 4, v[4:5]
	v_add_co_u32 v4, s4, s26, v4
	v_add_co_ci_u32_e64 v5, null, s27, v5, s4
	s_and_b32 s4, s1, s3
	s_and_saveexec_b32 s5, s4
	s_cbranch_execz .LBB123_57
; %bb.56:                               ;   in Loop: Header=BB123_4 Depth=1
	v_add_co_u32 v10, s4, v4, v12
	v_add_co_ci_u32_e64 v11, null, v5, v13, s4
	v_mul_f64 v[23:24], s[30:31], v[48:49]
	v_mul_f64 v[25:26], s[28:29], v[48:49]
	global_load_dwordx4 v[6:9], v[10:11], off
	v_fma_f64 v[23:24], s[28:29], v[46:47], -v[23:24]
	v_fma_f64 v[25:26], s[30:31], v[46:47], v[25:26]
	s_waitcnt vmcnt(0)
	v_add_f64 v[6:7], v[6:7], v[23:24]
	v_add_f64 v[8:9], v[25:26], v[8:9]
	global_store_dwordx4 v[10:11], v[6:9], off
.LBB123_57:                             ;   in Loop: Header=BB123_4 Depth=1
	s_or_b32 exec_lo, exec_lo, s5
	s_and_b32 s3, s2, s3
	s_and_saveexec_b32 s4, s3
	s_cbranch_execz .LBB123_59
; %bb.58:                               ;   in Loop: Header=BB123_4 Depth=1
	v_add_co_u32 v8, s3, v4, v20
	v_add_co_ci_u32_e64 v9, null, v5, v21, s3
	v_mul_f64 v[10:11], s[30:31], v[40:41]
	v_mul_f64 v[23:24], s[28:29], v[40:41]
	global_load_dwordx4 v[4:7], v[8:9], off
	v_fma_f64 v[10:11], s[28:29], v[38:39], -v[10:11]
	v_fma_f64 v[23:24], s[30:31], v[38:39], v[23:24]
	s_waitcnt vmcnt(0)
	v_add_f64 v[4:5], v[4:5], v[10:11]
	v_add_f64 v[6:7], v[23:24], v[6:7]
	global_store_dwordx4 v[8:9], v[4:7], off
.LBB123_59:                             ;   in Loop: Header=BB123_4 Depth=1
	s_or_b32 exec_lo, exec_lo, s4
	v_add_nc_u32_e32 v6, 16, v22
	v_ashrrev_i32_e32 v7, 31, v6
	v_mul_lo_u32 v8, s41, v6
	v_mad_u64_u32 v[4:5], null, s40, v6, 0
	v_cmp_gt_i32_e64 s3, s46, v6
	v_mul_lo_u32 v7, s40, v7
	v_add3_u32 v5, v5, v7, v8
	v_lshlrev_b64 v[4:5], 4, v[4:5]
	v_add_co_u32 v4, s4, s26, v4
	v_add_co_ci_u32_e64 v5, null, s27, v5, s4
	s_and_b32 s4, s1, s3
	s_and_saveexec_b32 s5, s4
	s_cbranch_execz .LBB123_61
; %bb.60:                               ;   in Loop: Header=BB123_4 Depth=1
	v_add_co_u32 v10, s4, v4, v12
	v_add_co_ci_u32_e64 v11, null, v5, v13, s4
	v_mul_f64 v[22:23], s[30:31], v[44:45]
	v_mul_f64 v[24:25], s[28:29], v[44:45]
	global_load_dwordx4 v[6:9], v[10:11], off
	v_fma_f64 v[22:23], s[28:29], v[42:43], -v[22:23]
	v_fma_f64 v[24:25], s[30:31], v[42:43], v[24:25]
	s_waitcnt vmcnt(0)
	v_add_f64 v[6:7], v[6:7], v[22:23]
	v_add_f64 v[8:9], v[24:25], v[8:9]
	global_store_dwordx4 v[10:11], v[6:9], off
.LBB123_61:                             ;   in Loop: Header=BB123_4 Depth=1
	s_or_b32 exec_lo, exec_lo, s5
	s_and_b32 s3, s2, s3
	s_and_saveexec_b32 s4, s3
	s_cbranch_execz .LBB123_3
; %bb.62:                               ;   in Loop: Header=BB123_4 Depth=1
	v_add_co_u32 v8, s3, v4, v20
	v_add_co_ci_u32_e64 v9, null, v5, v21, s3
	v_mul_f64 v[10:11], s[30:31], v[50:51]
	v_mul_f64 v[22:23], s[28:29], v[50:51]
	global_load_dwordx4 v[4:7], v[8:9], off
	v_fma_f64 v[10:11], s[28:29], v[52:53], -v[10:11]
	v_fma_f64 v[22:23], s[30:31], v[52:53], v[22:23]
	s_waitcnt vmcnt(0)
	v_add_f64 v[4:5], v[4:5], v[10:11]
	v_add_f64 v[6:7], v[22:23], v[6:7]
	global_store_dwordx4 v[8:9], v[4:7], off
	s_branch .LBB123_3
.LBB123_63:
	s_endpgm
	.section	.rodata,"a",@progbits
	.p2align	6, 0x0
	.amdhsa_kernel _ZL30rocblas_trmm_outofplace_kernelI19rocblas_complex_numIdELi32ELi2ELb0ELb1ELb0ELb0ES1_KS1_S1_Ev17rocblas_diagonal_iiT6_lPT7_lllS6_lllPT8_llli
		.amdhsa_group_segment_fixed_size 32768
		.amdhsa_private_segment_fixed_size 0
		.amdhsa_kernarg_size 400
		.amdhsa_user_sgpr_count 6
		.amdhsa_user_sgpr_private_segment_buffer 1
		.amdhsa_user_sgpr_dispatch_ptr 0
		.amdhsa_user_sgpr_queue_ptr 0
		.amdhsa_user_sgpr_kernarg_segment_ptr 1
		.amdhsa_user_sgpr_dispatch_id 0
		.amdhsa_user_sgpr_flat_scratch_init 0
		.amdhsa_user_sgpr_private_segment_size 0
		.amdhsa_wavefront_size32 1
		.amdhsa_uses_dynamic_stack 0
		.amdhsa_system_sgpr_private_segment_wavefront_offset 0
		.amdhsa_system_sgpr_workgroup_id_x 1
		.amdhsa_system_sgpr_workgroup_id_y 1
		.amdhsa_system_sgpr_workgroup_id_z 1
		.amdhsa_system_sgpr_workgroup_info 0
		.amdhsa_system_vgpr_workitem_id 1
		.amdhsa_next_free_vgpr 87
		.amdhsa_next_free_sgpr 48
		.amdhsa_reserve_vcc 1
		.amdhsa_reserve_flat_scratch 0
		.amdhsa_float_round_mode_32 0
		.amdhsa_float_round_mode_16_64 0
		.amdhsa_float_denorm_mode_32 3
		.amdhsa_float_denorm_mode_16_64 3
		.amdhsa_dx10_clamp 1
		.amdhsa_ieee_mode 1
		.amdhsa_fp16_overflow 0
		.amdhsa_workgroup_processor_mode 1
		.amdhsa_memory_ordered 1
		.amdhsa_forward_progress 1
		.amdhsa_shared_vgpr_count 0
		.amdhsa_exception_fp_ieee_invalid_op 0
		.amdhsa_exception_fp_denorm_src 0
		.amdhsa_exception_fp_ieee_div_zero 0
		.amdhsa_exception_fp_ieee_overflow 0
		.amdhsa_exception_fp_ieee_underflow 0
		.amdhsa_exception_fp_ieee_inexact 0
		.amdhsa_exception_int_div_zero 0
	.end_amdhsa_kernel
	.section	.text._ZL30rocblas_trmm_outofplace_kernelI19rocblas_complex_numIdELi32ELi2ELb0ELb1ELb0ELb0ES1_KS1_S1_Ev17rocblas_diagonal_iiT6_lPT7_lllS6_lllPT8_llli,"axG",@progbits,_ZL30rocblas_trmm_outofplace_kernelI19rocblas_complex_numIdELi32ELi2ELb0ELb1ELb0ELb0ES1_KS1_S1_Ev17rocblas_diagonal_iiT6_lPT7_lllS6_lllPT8_llli,comdat
.Lfunc_end123:
	.size	_ZL30rocblas_trmm_outofplace_kernelI19rocblas_complex_numIdELi32ELi2ELb0ELb1ELb0ELb0ES1_KS1_S1_Ev17rocblas_diagonal_iiT6_lPT7_lllS6_lllPT8_llli, .Lfunc_end123-_ZL30rocblas_trmm_outofplace_kernelI19rocblas_complex_numIdELi32ELi2ELb0ELb1ELb0ELb0ES1_KS1_S1_Ev17rocblas_diagonal_iiT6_lPT7_lllS6_lllPT8_llli
                                        ; -- End function
	.set _ZL30rocblas_trmm_outofplace_kernelI19rocblas_complex_numIdELi32ELi2ELb0ELb1ELb0ELb0ES1_KS1_S1_Ev17rocblas_diagonal_iiT6_lPT7_lllS6_lllPT8_llli.num_vgpr, 87
	.set _ZL30rocblas_trmm_outofplace_kernelI19rocblas_complex_numIdELi32ELi2ELb0ELb1ELb0ELb0ES1_KS1_S1_Ev17rocblas_diagonal_iiT6_lPT7_lllS6_lllPT8_llli.num_agpr, 0
	.set _ZL30rocblas_trmm_outofplace_kernelI19rocblas_complex_numIdELi32ELi2ELb0ELb1ELb0ELb0ES1_KS1_S1_Ev17rocblas_diagonal_iiT6_lPT7_lllS6_lllPT8_llli.numbered_sgpr, 48
	.set _ZL30rocblas_trmm_outofplace_kernelI19rocblas_complex_numIdELi32ELi2ELb0ELb1ELb0ELb0ES1_KS1_S1_Ev17rocblas_diagonal_iiT6_lPT7_lllS6_lllPT8_llli.num_named_barrier, 0
	.set _ZL30rocblas_trmm_outofplace_kernelI19rocblas_complex_numIdELi32ELi2ELb0ELb1ELb0ELb0ES1_KS1_S1_Ev17rocblas_diagonal_iiT6_lPT7_lllS6_lllPT8_llli.private_seg_size, 0
	.set _ZL30rocblas_trmm_outofplace_kernelI19rocblas_complex_numIdELi32ELi2ELb0ELb1ELb0ELb0ES1_KS1_S1_Ev17rocblas_diagonal_iiT6_lPT7_lllS6_lllPT8_llli.uses_vcc, 1
	.set _ZL30rocblas_trmm_outofplace_kernelI19rocblas_complex_numIdELi32ELi2ELb0ELb1ELb0ELb0ES1_KS1_S1_Ev17rocblas_diagonal_iiT6_lPT7_lllS6_lllPT8_llli.uses_flat_scratch, 0
	.set _ZL30rocblas_trmm_outofplace_kernelI19rocblas_complex_numIdELi32ELi2ELb0ELb1ELb0ELb0ES1_KS1_S1_Ev17rocblas_diagonal_iiT6_lPT7_lllS6_lllPT8_llli.has_dyn_sized_stack, 0
	.set _ZL30rocblas_trmm_outofplace_kernelI19rocblas_complex_numIdELi32ELi2ELb0ELb1ELb0ELb0ES1_KS1_S1_Ev17rocblas_diagonal_iiT6_lPT7_lllS6_lllPT8_llli.has_recursion, 0
	.set _ZL30rocblas_trmm_outofplace_kernelI19rocblas_complex_numIdELi32ELi2ELb0ELb1ELb0ELb0ES1_KS1_S1_Ev17rocblas_diagonal_iiT6_lPT7_lllS6_lllPT8_llli.has_indirect_call, 0
	.section	.AMDGPU.csdata,"",@progbits
; Kernel info:
; codeLenInByte = 10096
; TotalNumSgprs: 50
; NumVgprs: 87
; ScratchSize: 0
; MemoryBound: 0
; FloatMode: 240
; IeeeMode: 1
; LDSByteSize: 32768 bytes/workgroup (compile time only)
; SGPRBlocks: 0
; VGPRBlocks: 10
; NumSGPRsForWavesPerEU: 50
; NumVGPRsForWavesPerEU: 87
; Occupancy: 10
; WaveLimiterHint : 0
; COMPUTE_PGM_RSRC2:SCRATCH_EN: 0
; COMPUTE_PGM_RSRC2:USER_SGPR: 6
; COMPUTE_PGM_RSRC2:TRAP_HANDLER: 0
; COMPUTE_PGM_RSRC2:TGID_X_EN: 1
; COMPUTE_PGM_RSRC2:TGID_Y_EN: 1
; COMPUTE_PGM_RSRC2:TGID_Z_EN: 1
; COMPUTE_PGM_RSRC2:TIDIG_COMP_CNT: 1
	.section	.text._ZL30rocblas_trmm_outofplace_kernelI19rocblas_complex_numIdELi32ELi2ELb0ELb0ELb1ELb0EPKS1_S2_S1_Ev17rocblas_diagonal_iiT6_lPT7_lllS7_lllPT8_llli,"axG",@progbits,_ZL30rocblas_trmm_outofplace_kernelI19rocblas_complex_numIdELi32ELi2ELb0ELb0ELb1ELb0EPKS1_S2_S1_Ev17rocblas_diagonal_iiT6_lPT7_lllS7_lllPT8_llli,comdat
	.globl	_ZL30rocblas_trmm_outofplace_kernelI19rocblas_complex_numIdELi32ELi2ELb0ELb0ELb1ELb0EPKS1_S2_S1_Ev17rocblas_diagonal_iiT6_lPT7_lllS7_lllPT8_llli ; -- Begin function _ZL30rocblas_trmm_outofplace_kernelI19rocblas_complex_numIdELi32ELi2ELb0ELb0ELb1ELb0EPKS1_S2_S1_Ev17rocblas_diagonal_iiT6_lPT7_lllS7_lllPT8_llli
	.p2align	8
	.type	_ZL30rocblas_trmm_outofplace_kernelI19rocblas_complex_numIdELi32ELi2ELb0ELb0ELb1ELb0EPKS1_S2_S1_Ev17rocblas_diagonal_iiT6_lPT7_lllS7_lllPT8_llli,@function
_ZL30rocblas_trmm_outofplace_kernelI19rocblas_complex_numIdELi32ELi2ELb0ELb0ELb1ELb0EPKS1_S2_S1_Ev17rocblas_diagonal_iiT6_lPT7_lllS7_lllPT8_llli: ; @_ZL30rocblas_trmm_outofplace_kernelI19rocblas_complex_numIdELi32ELi2ELb0ELb0ELb1ELb0EPKS1_S2_S1_Ev17rocblas_diagonal_iiT6_lPT7_lllS7_lllPT8_llli
; %bb.0:
	s_load_dwordx16 s[12:27], s[4:5], 0x10
	s_waitcnt lgkmcnt(0)
	s_mul_i32 s1, s15, s8
	s_mul_hi_u32 s2, s14, s8
	s_mul_i32 s0, s14, s8
	s_add_i32 s1, s2, s1
	s_lshl_b64 s[0:1], s[0:1], 4
	s_add_u32 s0, s12, s0
	s_addc_u32 s1, s13, s1
	s_load_dwordx4 s[12:15], s[0:1], 0x0
	s_waitcnt lgkmcnt(0)
	v_cmp_eq_f64_e64 s0, s[12:13], 0
	v_cmp_eq_f64_e64 s1, s[14:15], 0
	s_and_b32 s0, s0, s1
	s_and_b32 vcc_lo, exec_lo, s0
	s_cbranch_vccnz .LBB124_63
; %bb.1:
	s_load_dwordx4 s[28:31], s[4:5], 0x0
	s_waitcnt lgkmcnt(0)
	s_add_i32 s0, s30, -1
	s_ashr_i32 s1, s0, 31
	s_lshr_b32 s1, s1, 27
	s_add_i32 s0, s0, s1
	s_ashr_i32 s11, s0, 5
	s_cmp_gt_i32 s7, s11
	s_cbranch_scc1 .LBB124_63
; %bb.2:
	s_clause 0x1
	s_load_dwordx8 s[36:43], s[4:5], 0x50
	s_load_dwordx4 s[44:47], s[4:5], 0x70
	v_lshl_add_u32 v3, s6, 5, v0
	s_load_dword s33, s[4:5], 0x8c
	v_lshlrev_b32_e32 v18, 4, v0
	v_lshlrev_b32_e32 v60, 9, v1
	v_lshl_add_u32 v21, v1, 4, 0x100
	v_ashrrev_i32_e32 v4, 31, v3
	v_add_nc_u32_e32 v8, 16, v3
	v_or_b32_e32 v62, 0x4000, v18
	v_add_nc_u32_e32 v61, v60, v18
	v_mov_b32_e32 v2, 0
	v_lshlrev_b64 v[12:13], 4, v[3:4]
	v_ashrrev_i32_e32 v9, 31, v8
	v_add_nc_u32_e32 v63, v62, v60
	v_add_nc_u32_e32 v64, 0x100, v61
	;; [unrolled: 1-line block ×4, first 2 shown]
	v_lshlrev_b64 v[24:25], 4, v[8:9]
	v_add_nc_u32_e32 v67, 0x100, v63
	s_waitcnt lgkmcnt(0)
	s_mul_i32 s1, s39, s8
	s_mul_hi_u32 s2, s38, s8
	s_mul_i32 s0, s38, s8
	s_add_i32 s1, s2, s1
	s_mul_i32 s3, s47, s8
	s_lshl_b64 s[0:1], s[0:1], 4
	s_mul_hi_u32 s4, s46, s8
	s_add_u32 s5, s24, s0
	s_addc_u32 s6, s25, s1
	s_lshl_b64 s[0:1], s[26:27], 4
	s_mul_i32 s2, s46, s8
	s_add_u32 s5, s5, s0
	s_addc_u32 s6, s6, s1
	s_add_i32 s3, s4, s3
	v_add_co_u32 v14, vcc_lo, s5, v12
	s_lshl_b64 s[0:1], s[2:3], 4
	v_add_co_ci_u32_e64 v15, null, s6, v13, vcc_lo
	s_add_u32 s2, s40, s0
	s_addc_u32 s3, s41, s1
	s_lshl_b64 s[0:1], s[42:43], 4
	v_sub_co_u32 v5, vcc_lo, s29, v3
	s_add_u32 s38, s2, s0
	s_addc_u32 s39, s3, s1
	s_cmpk_eq_i32 s28, 0x84
	v_cmp_gt_i32_e64 s1, s29, v3
	s_cselect_b32 s28, -1, 0
	s_ashr_i32 s0, s29, 31
	s_ashr_i32 s31, s30, 31
	v_sub_co_ci_u32_e64 v6, null, s0, v4, vcc_lo
	s_lshl_b64 s[24:25], s[20:21], 9
	s_lshl_b64 s[26:27], s[36:37], 9
	s_mul_i32 s3, s23, s8
	v_cmp_gt_i64_e32 vcc_lo, 1, v[5:6]
	v_cmp_gt_i64_e64 s0, 17, v[5:6]
	v_mad_u64_u32 v[4:5], null, s36, v1, 0
	v_mad_u64_u32 v[6:7], null, s20, v0, 0
	s_mul_hi_u32 s4, s22, s8
	s_add_u32 s34, s30, -16
	s_addc_u32 s35, s31, -1
	s_add_i32 s5, s4, s3
	v_mov_b32_e32 v3, v5
	s_mul_i32 s4, s22, s8
	v_mov_b32_e32 v5, v7
	s_lshl_b64 s[8:9], s[18:19], 4
	s_lshl_b32 s23, s33, 5
	v_mad_u64_u32 v[10:11], null, s37, v1, v[3:4]
	v_mad_u64_u32 v[16:17], null, s21, v0, v[5:6]
	s_lshl_b64 s[4:5], s[4:5], 4
	s_add_u32 s3, s16, s8
	v_add_nc_u32_e32 v11, 0x100, v18
	s_addc_u32 s6, s17, s9
	s_add_u32 s4, s3, s4
	s_addc_u32 s5, s6, s5
	v_mov_b32_e32 v7, v16
	v_mad_u64_u32 v[16:17], null, s20, v11, s[4:5]
	v_mad_u64_u32 v[18:19], null, s36, v21, 0
	v_mov_b32_e32 v5, v10
	v_lshlrev_b64 v[6:7], 4, v[6:7]
	v_sub_co_u32 v70, s3, 0, v0
	v_sub_co_ci_u32_e64 v71, null, 0, 0, s3
	v_lshlrev_b64 v[3:4], 4, v[4:5]
	v_mov_b32_e32 v5, v17
	v_mov_b32_e32 v10, v19
	v_add_co_u32 v17, s3, s4, v6
	v_add_co_ci_u32_e64 v23, null, s5, v7, s3
	v_mad_u64_u32 v[5:6], null, s21, v11, v[5:6]
	v_mad_u64_u32 v[6:7], null, s37, v21, v[10:11]
	v_add_co_u32 v19, s3, 0x100, v3
	v_add_co_ci_u32_e64 v72, null, 0, v4, s3
	v_add_co_u32 v22, s3, 0x100, v17
	v_add_nc_u32_e32 v68, 0x2000, v63
	v_add_nc_u32_e32 v69, 0x2100, v63
	v_cmp_gt_i32_e64 s2, s29, v8
	v_lshl_add_u32 v20, s7, 5, v1
	v_add_co_ci_u32_e64 v23, null, 0, v23, s3
	v_mov_b32_e32 v17, v5
	v_mov_b32_e32 v73, v6
	;; [unrolled: 1-line block ×3, first 2 shown]
	s_branch .LBB124_4
.LBB124_3:                              ;   in Loop: Header=BB124_4 Depth=1
	s_or_b32 exec_lo, exec_lo, s4
	v_add_nc_u32_e32 v20, s23, v20
	s_add_i32 s7, s33, s7
	s_cmp_le_i32 s7, s11
	s_cbranch_scc0 .LBB124_63
.LBB124_4:                              ; =>This Loop Header: Depth=1
                                        ;     Child Loop BB124_7 Depth 2
	s_lshl_b32 s18, s7, 5
	v_mov_b32_e32 v52, 0
	v_add_nc_u32_e32 v26, s18, v1
	v_mov_b32_e32 v54, 0
	v_mov_b32_e32 v44, 0
	;; [unrolled: 1-line block ×15, first 2 shown]
	v_ashrrev_i32_e32 v27, 31, v26
	s_cmp_lt_i32 s7, 0
	s_cbranch_scc1 .LBB124_55
; %bb.5:                                ;   in Loop: Header=BB124_4 Depth=1
	v_ashrrev_i32_e32 v21, 31, v20
	v_add_co_u32 v28, s3, v26, 16
	v_add_co_ci_u32_e64 v29, null, 0, v27, s3
	v_add_co_u32 v30, s3, v70, v20
	v_add_co_ci_u32_e64 v31, null, v71, v21, s3
	v_lshlrev_b64 v[32:33], 4, v[20:21]
	v_add_co_u32 v34, s5, v30, 16
	v_add_co_ci_u32_e64 v35, null, 0, v31, s5
	v_add_co_u32 v36, s5, v30, -16
	v_cmp_le_i64_e64 s4, s[30:31], v[28:29]
	v_mov_b32_e32 v56, 0
	v_mov_b32_e32 v39, v17
	v_mov_b32_e32 v41, v23
	v_mov_b32_e32 v58, 0
	v_mov_b32_e32 v50, 0
	v_mov_b32_e32 v48, 0
	v_mov_b32_e32 v46, 0
	v_mov_b32_e32 v44, 0
	v_mov_b32_e32 v54, 0
	v_mov_b32_e32 v52, 0
	v_mov_b32_e32 v43, v15
	v_cmp_le_i32_e64 s3, s30, v26
	v_add_co_ci_u32_e64 v37, null, -1, v31, s5
	v_mov_b32_e32 v57, 0
	v_mov_b32_e32 v38, v16
	;; [unrolled: 1-line block ×11, first 2 shown]
	s_mov_b64 s[16:17], 0
	s_branch .LBB124_7
.LBB124_6:                              ;   in Loop: Header=BB124_7 Depth=2
	s_or_b32 exec_lo, exec_lo, s5
	s_waitcnt lgkmcnt(0)
	s_barrier
	buffer_gl0_inv
	ds_read_b128 v[74:77], v60
	ds_read_b128 v[78:81], v60 offset:16
	ds_read_b128 v[8:11], v60 offset:32
	;; [unrolled: 1-line block ×3, first 2 shown]
	ds_read_b128 v[82:85], v62
	v_add_co_u32 v42, s5, v42, s26
	v_add_co_ci_u32_e64 v43, null, s27, v43, s5
	v_add_co_u32 v40, s5, v40, s24
	v_add_co_ci_u32_e64 v41, null, s25, v41, s5
	v_add_co_u32 v38, s5, v38, s24
	s_add_u32 s16, s16, 32
	v_add_co_ci_u32_e64 v39, null, s25, v39, s5
	s_addc_u32 s17, s17, 0
	s_sub_i32 s6, s16, 32
	s_cmp_ge_i32 s6, s18
	s_waitcnt lgkmcnt(0)
	v_mul_f64 v[86:87], v[76:77], v[84:85]
	v_mul_f64 v[88:89], v[74:75], v[84:85]
	v_fma_f64 v[86:87], v[74:75], v[82:83], -v[86:87]
	v_fma_f64 v[88:89], v[76:77], v[82:83], v[88:89]
	v_add_f64 v[86:87], v[52:53], v[86:87]
	v_add_f64 v[88:89], v[88:89], v[54:55]
	ds_read_b128 v[52:55], v62 offset:256
	s_waitcnt lgkmcnt(0)
	v_mul_f64 v[90:91], v[76:77], v[54:55]
	v_fma_f64 v[90:91], v[74:75], v[52:53], -v[90:91]
	v_mul_f64 v[74:75], v[74:75], v[54:55]
	v_fma_f64 v[74:75], v[76:77], v[52:53], v[74:75]
	v_add_f64 v[76:77], v[44:45], v[90:91]
	v_add_f64 v[74:75], v[74:75], v[46:47]
	ds_read_b128 v[44:47], v60 offset:8192
	s_waitcnt lgkmcnt(0)
	v_mul_f64 v[90:91], v[46:47], v[84:85]
	v_mul_f64 v[84:85], v[44:45], v[84:85]
	v_fma_f64 v[90:91], v[44:45], v[82:83], -v[90:91]
	v_fma_f64 v[82:83], v[46:47], v[82:83], v[84:85]
	v_add_f64 v[84:85], v[48:49], v[90:91]
	v_mul_f64 v[48:49], v[46:47], v[54:55]
	v_add_f64 v[82:83], v[82:83], v[50:51]
	v_fma_f64 v[48:49], v[44:45], v[52:53], -v[48:49]
	v_mul_f64 v[44:45], v[44:45], v[54:55]
	v_add_f64 v[58:59], v[58:59], v[48:49]
	v_fma_f64 v[44:45], v[46:47], v[52:53], v[44:45]
	v_add_f64 v[56:57], v[44:45], v[56:57]
	ds_read_b128 v[44:47], v62 offset:512
	s_waitcnt lgkmcnt(0)
	v_mul_f64 v[48:49], v[80:81], v[46:47]
	v_mul_f64 v[50:51], v[78:79], v[46:47]
	v_fma_f64 v[48:49], v[78:79], v[44:45], -v[48:49]
	v_fma_f64 v[50:51], v[80:81], v[44:45], v[50:51]
	v_add_f64 v[86:87], v[86:87], v[48:49]
	v_add_f64 v[88:89], v[50:51], v[88:89]
	ds_read_b128 v[48:51], v62 offset:768
	s_waitcnt lgkmcnt(0)
	v_mul_f64 v[52:53], v[80:81], v[50:51]
	v_mul_f64 v[54:55], v[78:79], v[50:51]
	v_fma_f64 v[52:53], v[78:79], v[48:49], -v[52:53]
	v_fma_f64 v[54:55], v[80:81], v[48:49], v[54:55]
	v_add_f64 v[76:77], v[76:77], v[52:53]
	v_add_f64 v[74:75], v[54:55], v[74:75]
	ds_read_b128 v[52:55], v60 offset:8208
	s_waitcnt lgkmcnt(0)
	v_mul_f64 v[78:79], v[54:55], v[46:47]
	v_mul_f64 v[46:47], v[52:53], v[46:47]
	v_fma_f64 v[78:79], v[52:53], v[44:45], -v[78:79]
	v_fma_f64 v[44:45], v[54:55], v[44:45], v[46:47]
	v_mul_f64 v[46:47], v[52:53], v[50:51]
	v_add_f64 v[78:79], v[84:85], v[78:79]
	v_add_f64 v[80:81], v[44:45], v[82:83]
	v_mul_f64 v[44:45], v[54:55], v[50:51]
	v_fma_f64 v[46:47], v[54:55], v[48:49], v[46:47]
	v_fma_f64 v[44:45], v[52:53], v[48:49], -v[44:45]
	v_add_f64 v[54:55], v[46:47], v[56:57]
	v_add_f64 v[52:53], v[58:59], v[44:45]
	ds_read_b128 v[44:47], v62 offset:1024
	s_waitcnt lgkmcnt(0)
	v_mul_f64 v[48:49], v[10:11], v[46:47]
	v_mul_f64 v[50:51], v[8:9], v[46:47]
	v_fma_f64 v[48:49], v[8:9], v[44:45], -v[48:49]
	v_fma_f64 v[50:51], v[10:11], v[44:45], v[50:51]
	v_add_f64 v[56:57], v[86:87], v[48:49]
	v_add_f64 v[58:59], v[50:51], v[88:89]
	ds_read_b128 v[48:51], v62 offset:1280
	s_waitcnt lgkmcnt(0)
	v_mul_f64 v[82:83], v[10:11], v[50:51]
	v_fma_f64 v[82:83], v[8:9], v[48:49], -v[82:83]
	v_mul_f64 v[8:9], v[8:9], v[50:51]
	v_add_f64 v[76:77], v[76:77], v[82:83]
	v_fma_f64 v[8:9], v[10:11], v[48:49], v[8:9]
	v_add_f64 v[74:75], v[8:9], v[74:75]
	ds_read_b128 v[8:11], v60 offset:8224
	s_waitcnt lgkmcnt(0)
	v_mul_f64 v[82:83], v[10:11], v[46:47]
	v_mul_f64 v[46:47], v[8:9], v[46:47]
	v_fma_f64 v[82:83], v[8:9], v[44:45], -v[82:83]
	v_fma_f64 v[44:45], v[10:11], v[44:45], v[46:47]
	v_add_f64 v[78:79], v[78:79], v[82:83]
	v_add_f64 v[80:81], v[44:45], v[80:81]
	v_mul_f64 v[44:45], v[10:11], v[50:51]
	v_fma_f64 v[44:45], v[8:9], v[48:49], -v[44:45]
	v_mul_f64 v[8:9], v[8:9], v[50:51]
	v_fma_f64 v[8:9], v[10:11], v[48:49], v[8:9]
	v_add_f64 v[48:49], v[52:53], v[44:45]
	v_add_f64 v[50:51], v[8:9], v[54:55]
	ds_read_b128 v[8:11], v62 offset:1536
	s_waitcnt lgkmcnt(0)
	v_mul_f64 v[44:45], v[6:7], v[10:11]
	v_mul_f64 v[46:47], v[4:5], v[10:11]
	v_fma_f64 v[44:45], v[4:5], v[8:9], -v[44:45]
	v_fma_f64 v[46:47], v[6:7], v[8:9], v[46:47]
	v_add_f64 v[52:53], v[56:57], v[44:45]
	v_add_f64 v[54:55], v[46:47], v[58:59]
	ds_read_b128 v[44:47], v62 offset:1792
	s_waitcnt lgkmcnt(0)
	v_mul_f64 v[56:57], v[6:7], v[46:47]
	v_fma_f64 v[56:57], v[4:5], v[44:45], -v[56:57]
	v_mul_f64 v[4:5], v[4:5], v[46:47]
	v_add_f64 v[56:57], v[76:77], v[56:57]
	v_fma_f64 v[4:5], v[6:7], v[44:45], v[4:5]
	v_add_f64 v[58:59], v[4:5], v[74:75]
	ds_read_b128 v[4:7], v60 offset:8240
	s_waitcnt lgkmcnt(0)
	v_mul_f64 v[74:75], v[6:7], v[10:11]
	v_mul_f64 v[10:11], v[4:5], v[10:11]
	v_fma_f64 v[74:75], v[4:5], v[8:9], -v[74:75]
	v_fma_f64 v[8:9], v[6:7], v[8:9], v[10:11]
	v_add_f64 v[74:75], v[78:79], v[74:75]
	v_add_f64 v[76:77], v[8:9], v[80:81]
	v_mul_f64 v[8:9], v[6:7], v[46:47]
	v_fma_f64 v[8:9], v[4:5], v[44:45], -v[8:9]
	v_mul_f64 v[4:5], v[4:5], v[46:47]
	v_add_f64 v[48:49], v[48:49], v[8:9]
	v_fma_f64 v[4:5], v[6:7], v[44:45], v[4:5]
	v_add_f64 v[50:51], v[4:5], v[50:51]
	ds_read_b128 v[4:7], v60 offset:64
	ds_read_b128 v[8:11], v62 offset:2048
	s_waitcnt lgkmcnt(0)
	v_mul_f64 v[44:45], v[6:7], v[10:11]
	v_mul_f64 v[46:47], v[4:5], v[10:11]
	v_fma_f64 v[44:45], v[4:5], v[8:9], -v[44:45]
	v_fma_f64 v[46:47], v[6:7], v[8:9], v[46:47]
	v_add_f64 v[52:53], v[52:53], v[44:45]
	v_add_f64 v[54:55], v[46:47], v[54:55]
	ds_read_b128 v[44:47], v62 offset:2304
	s_waitcnt lgkmcnt(0)
	v_mul_f64 v[78:79], v[6:7], v[46:47]
	v_fma_f64 v[78:79], v[4:5], v[44:45], -v[78:79]
	v_mul_f64 v[4:5], v[4:5], v[46:47]
	v_add_f64 v[56:57], v[56:57], v[78:79]
	v_fma_f64 v[4:5], v[6:7], v[44:45], v[4:5]
	v_add_f64 v[58:59], v[4:5], v[58:59]
	ds_read_b128 v[4:7], v60 offset:8256
	s_waitcnt lgkmcnt(0)
	v_mul_f64 v[78:79], v[6:7], v[10:11]
	v_mul_f64 v[10:11], v[4:5], v[10:11]
	v_fma_f64 v[78:79], v[4:5], v[8:9], -v[78:79]
	v_fma_f64 v[8:9], v[6:7], v[8:9], v[10:11]
	v_add_f64 v[74:75], v[74:75], v[78:79]
	v_add_f64 v[76:77], v[8:9], v[76:77]
	v_mul_f64 v[8:9], v[6:7], v[46:47]
	v_fma_f64 v[8:9], v[4:5], v[44:45], -v[8:9]
	v_mul_f64 v[4:5], v[4:5], v[46:47]
	v_add_f64 v[48:49], v[48:49], v[8:9]
	v_fma_f64 v[4:5], v[6:7], v[44:45], v[4:5]
	v_add_f64 v[50:51], v[4:5], v[50:51]
	ds_read_b128 v[4:7], v60 offset:80
	;; [unrolled: 31-line block ×27, first 2 shown]
	ds_read_b128 v[8:11], v62 offset:15360
	s_waitcnt lgkmcnt(0)
	v_mul_f64 v[44:45], v[6:7], v[10:11]
	v_mul_f64 v[46:47], v[4:5], v[10:11]
	v_fma_f64 v[44:45], v[4:5], v[8:9], -v[44:45]
	v_fma_f64 v[46:47], v[6:7], v[8:9], v[46:47]
	v_add_f64 v[52:53], v[52:53], v[44:45]
	v_add_f64 v[54:55], v[46:47], v[54:55]
	ds_read_b128 v[44:47], v62 offset:15616
	s_waitcnt lgkmcnt(0)
	v_mul_f64 v[78:79], v[6:7], v[46:47]
	v_fma_f64 v[78:79], v[4:5], v[44:45], -v[78:79]
	v_mul_f64 v[4:5], v[4:5], v[46:47]
	v_add_f64 v[78:79], v[56:57], v[78:79]
	v_fma_f64 v[4:5], v[6:7], v[44:45], v[4:5]
	v_add_f64 v[80:81], v[4:5], v[58:59]
	ds_read_b128 v[4:7], v60 offset:8672
	s_waitcnt lgkmcnt(0)
	v_mul_f64 v[56:57], v[6:7], v[10:11]
	v_mul_f64 v[10:11], v[4:5], v[10:11]
	v_fma_f64 v[56:57], v[4:5], v[8:9], -v[56:57]
	v_fma_f64 v[8:9], v[6:7], v[8:9], v[10:11]
	v_add_f64 v[82:83], v[74:75], v[56:57]
	v_add_f64 v[84:85], v[8:9], v[76:77]
	v_mul_f64 v[8:9], v[6:7], v[46:47]
	v_fma_f64 v[8:9], v[4:5], v[44:45], -v[8:9]
	v_mul_f64 v[4:5], v[4:5], v[46:47]
	v_fma_f64 v[6:7], v[6:7], v[44:45], v[4:5]
	v_add_f64 v[4:5], v[48:49], v[8:9]
	v_add_f64 v[6:7], v[6:7], v[50:51]
	ds_read_b128 v[8:11], v60 offset:496
	ds_read_b128 v[48:51], v62 offset:15872
	;; [unrolled: 1-line block ×4, first 2 shown]
	s_waitcnt lgkmcnt(0)
	s_barrier
	buffer_gl0_inv
	v_mul_f64 v[44:45], v[10:11], v[50:51]
	v_mul_f64 v[46:47], v[8:9], v[50:51]
	v_fma_f64 v[44:45], v[8:9], v[48:49], -v[44:45]
	v_fma_f64 v[46:47], v[10:11], v[48:49], v[46:47]
	v_add_f64 v[52:53], v[52:53], v[44:45]
	v_mul_f64 v[44:45], v[10:11], v[58:59]
	v_add_f64 v[54:55], v[46:47], v[54:55]
	v_fma_f64 v[44:45], v[8:9], v[56:57], -v[44:45]
	v_mul_f64 v[8:9], v[8:9], v[58:59]
	v_add_f64 v[44:45], v[78:79], v[44:45]
	v_fma_f64 v[8:9], v[10:11], v[56:57], v[8:9]
	v_mul_f64 v[10:11], v[74:75], v[50:51]
	v_add_f64 v[46:47], v[8:9], v[80:81]
	v_mul_f64 v[8:9], v[76:77], v[50:51]
	v_fma_f64 v[10:11], v[76:77], v[48:49], v[10:11]
	v_fma_f64 v[8:9], v[74:75], v[48:49], -v[8:9]
	v_add_f64 v[50:51], v[10:11], v[84:85]
	v_mul_f64 v[10:11], v[74:75], v[58:59]
	v_add_f64 v[48:49], v[82:83], v[8:9]
	v_mul_f64 v[8:9], v[76:77], v[58:59]
	v_fma_f64 v[10:11], v[76:77], v[56:57], v[10:11]
	v_fma_f64 v[8:9], v[74:75], v[56:57], -v[8:9]
	v_add_f64 v[56:57], v[10:11], v[6:7]
	v_add_f64 v[58:59], v[4:5], v[8:9]
	s_cbranch_scc1 .LBB124_55
.LBB124_7:                              ;   Parent Loop BB124_4 Depth=1
                                        ; =>  This Inner Loop Header: Depth=2
	v_add_co_u32 v6, s5, v0, s16
	v_add_co_ci_u32_e64 v7, null, 0, s17, s5
	v_cmp_eq_u64_e64 s8, s[16:17], v[30:31]
	v_cmp_gt_i64_e64 s5, v[6:7], v[26:27]
	v_cmp_le_i64_e64 s6, s[30:31], v[6:7]
	s_and_b32 s20, s28, s8
	v_add_co_u32 v8, s8, v40, v32
	s_or_b32 s9, s3, s5
	v_add_co_ci_u32_e64 v9, null, v41, v33, s8
	s_or_b32 s8, s9, s20
	s_nor_b32 s8, s6, s8
	s_and_saveexec_b32 s9, s8
	s_xor_b32 s8, exec_lo, s9
	s_cbranch_execz .LBB124_9
; %bb.8:                                ;   in Loop: Header=BB124_7 Depth=2
	global_load_dwordx4 v[74:77], v[8:9], off offset:-256
	s_waitcnt vmcnt(0)
	ds_write2_b64 v61, v[74:75], v[76:77] offset1:1
.LBB124_9:                              ;   in Loop: Header=BB124_7 Depth=2
	s_or_saveexec_b32 s8, s8
	s_xor_b32 s19, s20, -1
	s_xor_b32 exec_lo, exec_lo, s8
	s_cbranch_execz .LBB124_15
; %bb.10:                               ;   in Loop: Header=BB124_7 Depth=2
	s_and_saveexec_b32 s9, s19
	s_xor_b32 s9, exec_lo, s9
	s_cbranch_execz .LBB124_12
; %bb.11:                               ;   in Loop: Header=BB124_7 Depth=2
	v_mov_b32_e32 v74, v2
	v_mov_b32_e32 v75, v2
	;; [unrolled: 1-line block ×4, first 2 shown]
	ds_write_b128 v61, v[74:77]
.LBB124_12:                             ;   in Loop: Header=BB124_7 Depth=2
	s_andn2_saveexec_b32 s9, s9
; %bb.13:                               ;   in Loop: Header=BB124_7 Depth=2
	v_mov_b32_e32 v4, v2
	v_mov_b32_e32 v5, v2
	ds_write_b128 v61, v[2:5]
; %bb.14:                               ;   in Loop: Header=BB124_7 Depth=2
	s_or_b32 exec_lo, exec_lo, s9
.LBB124_15:                             ;   in Loop: Header=BB124_7 Depth=2
	s_or_b32 exec_lo, exec_lo, s8
	v_add_co_u32 v4, s8, v6, 16
	v_add_co_ci_u32_e64 v5, null, 0, v7, s8
	v_cmp_eq_u64_e64 s9, s[16:17], v[36:37]
	v_cmp_gt_i64_e64 s10, v[4:5], v[26:27]
	v_cmp_le_i64_e64 s8, s[30:31], v[4:5]
	s_and_b32 s21, s28, s9
	s_or_b32 s9, s3, s10
	s_or_b32 s9, s9, s21
	s_nor_b32 s9, s8, s9
	s_and_saveexec_b32 s10, s9
	s_xor_b32 s10, exec_lo, s10
	s_cbranch_execz .LBB124_17
; %bb.16:                               ;   in Loop: Header=BB124_7 Depth=2
	v_add_co_u32 v4, s9, v38, v32
	v_add_co_ci_u32_e64 v5, null, v39, v33, s9
	global_load_dwordx4 v[74:77], v[4:5], off
	s_waitcnt vmcnt(0)
	ds_write2_b64 v64, v[74:75], v[76:77] offset1:1
.LBB124_17:                             ;   in Loop: Header=BB124_7 Depth=2
	s_andn2_saveexec_b32 s9, s10
	s_cbranch_execz .LBB124_23
; %bb.18:                               ;   in Loop: Header=BB124_7 Depth=2
	s_xor_b32 s10, s21, -1
	s_and_saveexec_b32 s21, s10
	s_xor_b32 s10, exec_lo, s21
	s_cbranch_execz .LBB124_20
; %bb.19:                               ;   in Loop: Header=BB124_7 Depth=2
	v_mov_b32_e32 v74, v2
	v_mov_b32_e32 v75, v2
	v_mov_b32_e32 v76, v2
	v_mov_b32_e32 v77, v2
	ds_write_b128 v61, v[74:77] offset:256
.LBB124_20:                             ;   in Loop: Header=BB124_7 Depth=2
	s_andn2_saveexec_b32 s10, s10
; %bb.21:                               ;   in Loop: Header=BB124_7 Depth=2
	v_mov_b32_e32 v4, v2
	v_mov_b32_e32 v5, v2
	ds_write_b128 v61, v[2:5] offset:256
; %bb.22:                               ;   in Loop: Header=BB124_7 Depth=2
	s_or_b32 exec_lo, exec_lo, s10
.LBB124_23:                             ;   in Loop: Header=BB124_7 Depth=2
	s_or_b32 exec_lo, exec_lo, s9
	v_cmp_eq_u64_e64 s9, s[16:17], v[34:35]
	v_cmp_gt_i64_e64 s10, v[6:7], v[28:29]
	s_and_b32 s9, s28, s9
	s_or_b32 s10, s4, s10
	s_or_b32 s10, s10, s9
	s_nor_b32 s6, s6, s10
	s_and_saveexec_b32 s10, s6
	s_xor_b32 s6, exec_lo, s10
	s_cbranch_execz .LBB124_25
; %bb.24:                               ;   in Loop: Header=BB124_7 Depth=2
	global_load_dwordx4 v[4:7], v[8:9], off
	s_waitcnt vmcnt(0)
	ds_write2_b64 v65, v[4:5], v[6:7] offset1:1
.LBB124_25:                             ;   in Loop: Header=BB124_7 Depth=2
	s_andn2_saveexec_b32 s6, s6
	s_cbranch_execz .LBB124_31
; %bb.26:                               ;   in Loop: Header=BB124_7 Depth=2
	s_xor_b32 s9, s9, -1
	s_and_saveexec_b32 s10, s9
	s_xor_b32 s9, exec_lo, s10
	s_cbranch_execz .LBB124_28
; %bb.27:                               ;   in Loop: Header=BB124_7 Depth=2
	v_mov_b32_e32 v4, v2
	v_mov_b32_e32 v5, v2
	;; [unrolled: 1-line block ×4, first 2 shown]
	ds_write_b128 v61, v[4:7] offset:8192
.LBB124_28:                             ;   in Loop: Header=BB124_7 Depth=2
	s_andn2_saveexec_b32 s9, s9
; %bb.29:                               ;   in Loop: Header=BB124_7 Depth=2
	v_mov_b32_e32 v4, v2
	v_mov_b32_e32 v5, v2
	ds_write_b128 v61, v[2:5] offset:8192
; %bb.30:                               ;   in Loop: Header=BB124_7 Depth=2
	s_or_b32 exec_lo, exec_lo, s9
.LBB124_31:                             ;   in Loop: Header=BB124_7 Depth=2
	s_or_b32 exec_lo, exec_lo, s6
	s_or_b32 s5, s4, s5
	s_or_b32 s5, s5, s20
	s_nor_b32 s5, s8, s5
	s_and_saveexec_b32 s6, s5
	s_xor_b32 s6, exec_lo, s6
	s_cbranch_execz .LBB124_33
; %bb.32:                               ;   in Loop: Header=BB124_7 Depth=2
	v_add_co_u32 v4, s5, v38, v32
	v_add_co_ci_u32_e64 v5, null, v39, v33, s5
	global_load_dwordx4 v[4:7], v[4:5], off offset:256
	s_waitcnt vmcnt(0)
	ds_write2_b64 v66, v[4:5], v[6:7] offset1:1
.LBB124_33:                             ;   in Loop: Header=BB124_7 Depth=2
	s_andn2_saveexec_b32 s5, s6
	s_cbranch_execz .LBB124_39
; %bb.34:                               ;   in Loop: Header=BB124_7 Depth=2
	s_and_saveexec_b32 s6, s19
	s_xor_b32 s6, exec_lo, s6
	s_cbranch_execz .LBB124_36
; %bb.35:                               ;   in Loop: Header=BB124_7 Depth=2
	v_mov_b32_e32 v4, v2
	v_mov_b32_e32 v5, v2
	;; [unrolled: 1-line block ×4, first 2 shown]
	ds_write_b128 v61, v[4:7] offset:8448
.LBB124_36:                             ;   in Loop: Header=BB124_7 Depth=2
	s_andn2_saveexec_b32 s6, s6
; %bb.37:                               ;   in Loop: Header=BB124_7 Depth=2
	v_mov_b32_e32 v4, v2
	v_mov_b32_e32 v5, v2
	ds_write_b128 v61, v[2:5] offset:8448
; %bb.38:                               ;   in Loop: Header=BB124_7 Depth=2
	s_or_b32 exec_lo, exec_lo, s6
.LBB124_39:                             ;   in Loop: Header=BB124_7 Depth=2
	s_or_b32 exec_lo, exec_lo, s5
	v_add_co_u32 v4, s5, v1, s16
	v_add_co_ci_u32_e64 v5, null, 0, s17, s5
	v_add_co_u32 v6, s6, v42, v19
	v_add_co_ci_u32_e64 v7, null, v43, v72, s6
	v_cmp_le_i64_e64 s5, s[30:31], v[4:5]
	s_nor_b32 s6, s5, vcc_lo
	s_and_saveexec_b32 s8, s6
	s_xor_b32 s6, exec_lo, s8
	s_cbranch_execz .LBB124_41
; %bb.40:                               ;   in Loop: Header=BB124_7 Depth=2
	global_load_dwordx4 v[8:11], v[6:7], off offset:-256
	s_waitcnt vmcnt(0)
	ds_write2_b64 v63, v[8:9], v[10:11] offset1:1
.LBB124_41:                             ;   in Loop: Header=BB124_7 Depth=2
	s_andn2_saveexec_b32 s6, s6
	s_cbranch_execz .LBB124_43
; %bb.42:                               ;   in Loop: Header=BB124_7 Depth=2
	v_mov_b32_e32 v8, v2
	v_mov_b32_e32 v9, v2
	;; [unrolled: 1-line block ×4, first 2 shown]
	ds_write_b128 v63, v[8:11]
.LBB124_43:                             ;   in Loop: Header=BB124_7 Depth=2
	s_or_b32 exec_lo, exec_lo, s6
	s_nor_b32 s5, s5, s0
	s_and_saveexec_b32 s6, s5
	s_xor_b32 s5, exec_lo, s6
	s_cbranch_execz .LBB124_45
; %bb.44:                               ;   in Loop: Header=BB124_7 Depth=2
	global_load_dwordx4 v[6:9], v[6:7], off
	s_waitcnt vmcnt(0)
	ds_write2_b64 v67, v[6:7], v[8:9] offset1:1
.LBB124_45:                             ;   in Loop: Header=BB124_7 Depth=2
	s_andn2_saveexec_b32 s5, s5
	s_cbranch_execz .LBB124_47
; %bb.46:                               ;   in Loop: Header=BB124_7 Depth=2
	v_mov_b32_e32 v6, v2
	v_mov_b32_e32 v7, v2
	;; [unrolled: 1-line block ×4, first 2 shown]
	ds_write_b128 v63, v[6:9] offset:256
.LBB124_47:                             ;   in Loop: Header=BB124_7 Depth=2
	s_or_b32 exec_lo, exec_lo, s5
	v_cmp_le_i64_e64 s5, s[34:35], v[4:5]
	v_add_co_u32 v4, s6, v42, v18
	v_add_co_ci_u32_e64 v5, null, v43, v73, s6
	s_nor_b32 s6, s5, vcc_lo
	s_and_saveexec_b32 s8, s6
	s_xor_b32 s6, exec_lo, s8
	s_cbranch_execz .LBB124_49
; %bb.48:                               ;   in Loop: Header=BB124_7 Depth=2
	global_load_dwordx4 v[6:9], v[4:5], off
	s_waitcnt vmcnt(0)
	ds_write2_b64 v68, v[6:7], v[8:9] offset1:1
.LBB124_49:                             ;   in Loop: Header=BB124_7 Depth=2
	s_andn2_saveexec_b32 s6, s6
	s_cbranch_execz .LBB124_51
; %bb.50:                               ;   in Loop: Header=BB124_7 Depth=2
	v_mov_b32_e32 v6, v2
	v_mov_b32_e32 v7, v2
	v_mov_b32_e32 v8, v2
	v_mov_b32_e32 v9, v2
	ds_write_b128 v63, v[6:9] offset:8192
.LBB124_51:                             ;   in Loop: Header=BB124_7 Depth=2
	s_or_b32 exec_lo, exec_lo, s6
	s_nor_b32 s5, s5, s0
	s_and_saveexec_b32 s6, s5
	s_xor_b32 s5, exec_lo, s6
	s_cbranch_execz .LBB124_53
; %bb.52:                               ;   in Loop: Header=BB124_7 Depth=2
	global_load_dwordx4 v[4:7], v[4:5], off offset:256
	s_waitcnt vmcnt(0)
	ds_write2_b64 v69, v[4:5], v[6:7] offset1:1
.LBB124_53:                             ;   in Loop: Header=BB124_7 Depth=2
	s_andn2_saveexec_b32 s5, s5
	s_cbranch_execz .LBB124_6
; %bb.54:                               ;   in Loop: Header=BB124_7 Depth=2
	v_mov_b32_e32 v4, v2
	v_mov_b32_e32 v5, v2
	;; [unrolled: 1-line block ×4, first 2 shown]
	ds_write_b128 v63, v[4:7] offset:8448
	s_branch .LBB124_6
.LBB124_55:                             ;   in Loop: Header=BB124_4 Depth=1
	v_mul_lo_u32 v6, s45, v26
	v_mul_lo_u32 v7, s44, v27
	v_mad_u64_u32 v[4:5], null, s44, v26, 0
	v_cmp_gt_i32_e64 s3, s30, v26
	v_add3_u32 v5, v5, v7, v6
	v_lshlrev_b64 v[4:5], 4, v[4:5]
	v_add_co_u32 v4, s4, s38, v4
	v_add_co_ci_u32_e64 v5, null, s39, v5, s4
	s_and_b32 s4, s1, s3
	s_and_saveexec_b32 s5, s4
	s_cbranch_execz .LBB124_57
; %bb.56:                               ;   in Loop: Header=BB124_4 Depth=1
	v_add_co_u32 v10, s4, v4, v12
	v_add_co_ci_u32_e64 v11, null, v5, v13, s4
	v_mul_f64 v[27:28], s[14:15], v[54:55]
	v_mul_f64 v[29:30], s[12:13], v[54:55]
	global_load_dwordx4 v[6:9], v[10:11], off
	v_fma_f64 v[27:28], s[12:13], v[52:53], -v[27:28]
	v_fma_f64 v[29:30], s[14:15], v[52:53], v[29:30]
	s_waitcnt vmcnt(0)
	v_add_f64 v[6:7], v[6:7], v[27:28]
	v_add_f64 v[8:9], v[29:30], v[8:9]
	global_store_dwordx4 v[10:11], v[6:9], off
.LBB124_57:                             ;   in Loop: Header=BB124_4 Depth=1
	s_or_b32 exec_lo, exec_lo, s5
	s_and_b32 s3, s2, s3
	s_and_saveexec_b32 s4, s3
	s_cbranch_execz .LBB124_59
; %bb.58:                               ;   in Loop: Header=BB124_4 Depth=1
	v_add_co_u32 v8, s3, v4, v24
	v_add_co_ci_u32_e64 v9, null, v5, v25, s3
	v_mul_f64 v[10:11], s[14:15], v[46:47]
	v_mul_f64 v[27:28], s[12:13], v[46:47]
	global_load_dwordx4 v[4:7], v[8:9], off
	v_fma_f64 v[10:11], s[12:13], v[44:45], -v[10:11]
	v_fma_f64 v[27:28], s[14:15], v[44:45], v[27:28]
	s_waitcnt vmcnt(0)
	v_add_f64 v[4:5], v[4:5], v[10:11]
	v_add_f64 v[6:7], v[27:28], v[6:7]
	global_store_dwordx4 v[8:9], v[4:7], off
.LBB124_59:                             ;   in Loop: Header=BB124_4 Depth=1
	s_or_b32 exec_lo, exec_lo, s4
	v_add_nc_u32_e32 v6, 16, v26
	v_ashrrev_i32_e32 v7, 31, v6
	v_mul_lo_u32 v8, s45, v6
	v_mad_u64_u32 v[4:5], null, s44, v6, 0
	v_cmp_gt_i32_e64 s3, s30, v6
	v_mul_lo_u32 v7, s44, v7
	v_add3_u32 v5, v5, v7, v8
	v_lshlrev_b64 v[4:5], 4, v[4:5]
	v_add_co_u32 v4, s4, s38, v4
	v_add_co_ci_u32_e64 v5, null, s39, v5, s4
	s_and_b32 s4, s1, s3
	s_and_saveexec_b32 s5, s4
	s_cbranch_execz .LBB124_61
; %bb.60:                               ;   in Loop: Header=BB124_4 Depth=1
	v_add_co_u32 v10, s4, v4, v12
	v_add_co_ci_u32_e64 v11, null, v5, v13, s4
	v_mul_f64 v[26:27], s[14:15], v[50:51]
	v_mul_f64 v[28:29], s[12:13], v[50:51]
	global_load_dwordx4 v[6:9], v[10:11], off
	v_fma_f64 v[26:27], s[12:13], v[48:49], -v[26:27]
	v_fma_f64 v[28:29], s[14:15], v[48:49], v[28:29]
	s_waitcnt vmcnt(0)
	v_add_f64 v[6:7], v[6:7], v[26:27]
	v_add_f64 v[8:9], v[28:29], v[8:9]
	global_store_dwordx4 v[10:11], v[6:9], off
.LBB124_61:                             ;   in Loop: Header=BB124_4 Depth=1
	s_or_b32 exec_lo, exec_lo, s5
	s_and_b32 s3, s2, s3
	s_and_saveexec_b32 s4, s3
	s_cbranch_execz .LBB124_3
; %bb.62:                               ;   in Loop: Header=BB124_4 Depth=1
	v_add_co_u32 v8, s3, v4, v24
	v_add_co_ci_u32_e64 v9, null, v5, v25, s3
	v_mul_f64 v[10:11], s[14:15], v[56:57]
	v_mul_f64 v[26:27], s[12:13], v[56:57]
	global_load_dwordx4 v[4:7], v[8:9], off
	v_fma_f64 v[10:11], s[12:13], v[58:59], -v[10:11]
	v_fma_f64 v[26:27], s[14:15], v[58:59], v[26:27]
	s_waitcnt vmcnt(0)
	v_add_f64 v[4:5], v[4:5], v[10:11]
	v_add_f64 v[6:7], v[26:27], v[6:7]
	global_store_dwordx4 v[8:9], v[4:7], off
	s_branch .LBB124_3
.LBB124_63:
	s_endpgm
	.section	.rodata,"a",@progbits
	.p2align	6, 0x0
	.amdhsa_kernel _ZL30rocblas_trmm_outofplace_kernelI19rocblas_complex_numIdELi32ELi2ELb0ELb0ELb1ELb0EPKS1_S2_S1_Ev17rocblas_diagonal_iiT6_lPT7_lllS7_lllPT8_llli
		.amdhsa_group_segment_fixed_size 32768
		.amdhsa_private_segment_fixed_size 0
		.amdhsa_kernarg_size 392
		.amdhsa_user_sgpr_count 6
		.amdhsa_user_sgpr_private_segment_buffer 1
		.amdhsa_user_sgpr_dispatch_ptr 0
		.amdhsa_user_sgpr_queue_ptr 0
		.amdhsa_user_sgpr_kernarg_segment_ptr 1
		.amdhsa_user_sgpr_dispatch_id 0
		.amdhsa_user_sgpr_flat_scratch_init 0
		.amdhsa_user_sgpr_private_segment_size 0
		.amdhsa_wavefront_size32 1
		.amdhsa_uses_dynamic_stack 0
		.amdhsa_system_sgpr_private_segment_wavefront_offset 0
		.amdhsa_system_sgpr_workgroup_id_x 1
		.amdhsa_system_sgpr_workgroup_id_y 1
		.amdhsa_system_sgpr_workgroup_id_z 1
		.amdhsa_system_sgpr_workgroup_info 0
		.amdhsa_system_vgpr_workitem_id 1
		.amdhsa_next_free_vgpr 92
		.amdhsa_next_free_sgpr 48
		.amdhsa_reserve_vcc 1
		.amdhsa_reserve_flat_scratch 0
		.amdhsa_float_round_mode_32 0
		.amdhsa_float_round_mode_16_64 0
		.amdhsa_float_denorm_mode_32 3
		.amdhsa_float_denorm_mode_16_64 3
		.amdhsa_dx10_clamp 1
		.amdhsa_ieee_mode 1
		.amdhsa_fp16_overflow 0
		.amdhsa_workgroup_processor_mode 1
		.amdhsa_memory_ordered 1
		.amdhsa_forward_progress 1
		.amdhsa_shared_vgpr_count 0
		.amdhsa_exception_fp_ieee_invalid_op 0
		.amdhsa_exception_fp_denorm_src 0
		.amdhsa_exception_fp_ieee_div_zero 0
		.amdhsa_exception_fp_ieee_overflow 0
		.amdhsa_exception_fp_ieee_underflow 0
		.amdhsa_exception_fp_ieee_inexact 0
		.amdhsa_exception_int_div_zero 0
	.end_amdhsa_kernel
	.section	.text._ZL30rocblas_trmm_outofplace_kernelI19rocblas_complex_numIdELi32ELi2ELb0ELb0ELb1ELb0EPKS1_S2_S1_Ev17rocblas_diagonal_iiT6_lPT7_lllS7_lllPT8_llli,"axG",@progbits,_ZL30rocblas_trmm_outofplace_kernelI19rocblas_complex_numIdELi32ELi2ELb0ELb0ELb1ELb0EPKS1_S2_S1_Ev17rocblas_diagonal_iiT6_lPT7_lllS7_lllPT8_llli,comdat
.Lfunc_end124:
	.size	_ZL30rocblas_trmm_outofplace_kernelI19rocblas_complex_numIdELi32ELi2ELb0ELb0ELb1ELb0EPKS1_S2_S1_Ev17rocblas_diagonal_iiT6_lPT7_lllS7_lllPT8_llli, .Lfunc_end124-_ZL30rocblas_trmm_outofplace_kernelI19rocblas_complex_numIdELi32ELi2ELb0ELb0ELb1ELb0EPKS1_S2_S1_Ev17rocblas_diagonal_iiT6_lPT7_lllS7_lllPT8_llli
                                        ; -- End function
	.set _ZL30rocblas_trmm_outofplace_kernelI19rocblas_complex_numIdELi32ELi2ELb0ELb0ELb1ELb0EPKS1_S2_S1_Ev17rocblas_diagonal_iiT6_lPT7_lllS7_lllPT8_llli.num_vgpr, 92
	.set _ZL30rocblas_trmm_outofplace_kernelI19rocblas_complex_numIdELi32ELi2ELb0ELb0ELb1ELb0EPKS1_S2_S1_Ev17rocblas_diagonal_iiT6_lPT7_lllS7_lllPT8_llli.num_agpr, 0
	.set _ZL30rocblas_trmm_outofplace_kernelI19rocblas_complex_numIdELi32ELi2ELb0ELb0ELb1ELb0EPKS1_S2_S1_Ev17rocblas_diagonal_iiT6_lPT7_lllS7_lllPT8_llli.numbered_sgpr, 48
	.set _ZL30rocblas_trmm_outofplace_kernelI19rocblas_complex_numIdELi32ELi2ELb0ELb0ELb1ELb0EPKS1_S2_S1_Ev17rocblas_diagonal_iiT6_lPT7_lllS7_lllPT8_llli.num_named_barrier, 0
	.set _ZL30rocblas_trmm_outofplace_kernelI19rocblas_complex_numIdELi32ELi2ELb0ELb0ELb1ELb0EPKS1_S2_S1_Ev17rocblas_diagonal_iiT6_lPT7_lllS7_lllPT8_llli.private_seg_size, 0
	.set _ZL30rocblas_trmm_outofplace_kernelI19rocblas_complex_numIdELi32ELi2ELb0ELb0ELb1ELb0EPKS1_S2_S1_Ev17rocblas_diagonal_iiT6_lPT7_lllS7_lllPT8_llli.uses_vcc, 1
	.set _ZL30rocblas_trmm_outofplace_kernelI19rocblas_complex_numIdELi32ELi2ELb0ELb0ELb1ELb0EPKS1_S2_S1_Ev17rocblas_diagonal_iiT6_lPT7_lllS7_lllPT8_llli.uses_flat_scratch, 0
	.set _ZL30rocblas_trmm_outofplace_kernelI19rocblas_complex_numIdELi32ELi2ELb0ELb0ELb1ELb0EPKS1_S2_S1_Ev17rocblas_diagonal_iiT6_lPT7_lllS7_lllPT8_llli.has_dyn_sized_stack, 0
	.set _ZL30rocblas_trmm_outofplace_kernelI19rocblas_complex_numIdELi32ELi2ELb0ELb0ELb1ELb0EPKS1_S2_S1_Ev17rocblas_diagonal_iiT6_lPT7_lllS7_lllPT8_llli.has_recursion, 0
	.set _ZL30rocblas_trmm_outofplace_kernelI19rocblas_complex_numIdELi32ELi2ELb0ELb0ELb1ELb0EPKS1_S2_S1_Ev17rocblas_diagonal_iiT6_lPT7_lllS7_lllPT8_llli.has_indirect_call, 0
	.section	.AMDGPU.csdata,"",@progbits
; Kernel info:
; codeLenInByte = 10168
; TotalNumSgprs: 50
; NumVgprs: 92
; ScratchSize: 0
; MemoryBound: 0
; FloatMode: 240
; IeeeMode: 1
; LDSByteSize: 32768 bytes/workgroup (compile time only)
; SGPRBlocks: 0
; VGPRBlocks: 11
; NumSGPRsForWavesPerEU: 50
; NumVGPRsForWavesPerEU: 92
; Occupancy: 10
; WaveLimiterHint : 0
; COMPUTE_PGM_RSRC2:SCRATCH_EN: 0
; COMPUTE_PGM_RSRC2:USER_SGPR: 6
; COMPUTE_PGM_RSRC2:TRAP_HANDLER: 0
; COMPUTE_PGM_RSRC2:TGID_X_EN: 1
; COMPUTE_PGM_RSRC2:TGID_Y_EN: 1
; COMPUTE_PGM_RSRC2:TGID_Z_EN: 1
; COMPUTE_PGM_RSRC2:TIDIG_COMP_CNT: 1
	.section	.text._ZL30rocblas_trmm_outofplace_kernelI19rocblas_complex_numIdELi32ELi2ELb0ELb0ELb1ELb0ES1_KS1_S1_Ev17rocblas_diagonal_iiT6_lPT7_lllS6_lllPT8_llli,"axG",@progbits,_ZL30rocblas_trmm_outofplace_kernelI19rocblas_complex_numIdELi32ELi2ELb0ELb0ELb1ELb0ES1_KS1_S1_Ev17rocblas_diagonal_iiT6_lPT7_lllS6_lllPT8_llli,comdat
	.globl	_ZL30rocblas_trmm_outofplace_kernelI19rocblas_complex_numIdELi32ELi2ELb0ELb0ELb1ELb0ES1_KS1_S1_Ev17rocblas_diagonal_iiT6_lPT7_lllS6_lllPT8_llli ; -- Begin function _ZL30rocblas_trmm_outofplace_kernelI19rocblas_complex_numIdELi32ELi2ELb0ELb0ELb1ELb0ES1_KS1_S1_Ev17rocblas_diagonal_iiT6_lPT7_lllS6_lllPT8_llli
	.p2align	8
	.type	_ZL30rocblas_trmm_outofplace_kernelI19rocblas_complex_numIdELi32ELi2ELb0ELb0ELb1ELb0ES1_KS1_S1_Ev17rocblas_diagonal_iiT6_lPT7_lllS6_lllPT8_llli,@function
_ZL30rocblas_trmm_outofplace_kernelI19rocblas_complex_numIdELi32ELi2ELb0ELb0ELb1ELb0ES1_KS1_S1_Ev17rocblas_diagonal_iiT6_lPT7_lllS6_lllPT8_llli: ; @_ZL30rocblas_trmm_outofplace_kernelI19rocblas_complex_numIdELi32ELi2ELb0ELb0ELb1ELb0ES1_KS1_S1_Ev17rocblas_diagonal_iiT6_lPT7_lllS6_lllPT8_llli
; %bb.0:
	s_load_dwordx4 s[28:31], s[4:5], 0x10
	s_waitcnt lgkmcnt(0)
	v_cmp_eq_f64_e64 s0, s[28:29], 0
	v_cmp_eq_f64_e64 s1, s[30:31], 0
	s_and_b32 s0, s0, s1
	s_and_b32 vcc_lo, exec_lo, s0
	s_cbranch_vccnz .LBB125_63
; %bb.1:
	s_load_dwordx4 s[44:47], s[4:5], 0x0
	s_waitcnt lgkmcnt(0)
	s_add_i32 s0, s46, -1
	s_ashr_i32 s1, s0, 31
	s_lshr_b32 s1, s1, 27
	s_add_i32 s0, s0, s1
	s_ashr_i32 s11, s0, 5
	s_cmp_gt_i32 s7, s11
	s_cbranch_scc1 .LBB125_63
; %bb.2:
	s_clause 0x1
	s_load_dwordx16 s[12:27], s[4:5], 0x28
	s_load_dwordx8 s[36:43], s[4:5], 0x68
	v_lshl_add_u32 v3, s6, 5, v0
	v_lshlrev_b32_e32 v18, 4, v0
	v_lshlrev_b32_e32 v60, 9, v1
	v_lshl_add_u32 v21, v1, 4, 0x100
	v_mov_b32_e32 v2, 0
	v_ashrrev_i32_e32 v4, 31, v3
	v_add_nc_u32_e32 v8, 16, v3
	v_add_nc_u32_e32 v61, v60, v18
	v_or_b32_e32 v62, 0x4000, v18
	v_lshl_add_u32 v20, s7, 5, v1
	v_lshlrev_b64 v[12:13], 4, v[3:4]
	v_ashrrev_i32_e32 v9, 31, v8
	v_add_nc_u32_e32 v64, 0x100, v61
	v_add_nc_u32_e32 v63, v62, v60
	;; [unrolled: 1-line block ×4, first 2 shown]
	v_lshlrev_b64 v[24:25], 4, v[8:9]
	v_add_nc_u32_e32 v67, 0x100, v63
	s_waitcnt lgkmcnt(0)
	s_mul_i32 s1, s27, s8
	s_mul_hi_u32 s2, s26, s8
	s_mul_i32 s0, s26, s8
	s_add_i32 s1, s2, s1
	s_mul_i32 s3, s43, s8
	s_lshl_b64 s[0:1], s[0:1], 4
	s_mul_hi_u32 s6, s42, s8
	s_add_u32 s9, s20, s0
	s_addc_u32 s10, s21, s1
	s_lshl_b64 s[0:1], s[22:23], 4
	s_mul_i32 s2, s42, s8
	s_add_u32 s9, s9, s0
	s_addc_u32 s10, s10, s1
	s_add_i32 s3, s6, s3
	v_add_co_u32 v14, vcc_lo, s9, v12
	s_lshl_b64 s[0:1], s[2:3], 4
	v_add_co_ci_u32_e64 v15, null, s10, v13, vcc_lo
	s_add_u32 s2, s36, s0
	s_addc_u32 s3, s37, s1
	s_lshl_b64 s[0:1], s[38:39], 4
	v_sub_co_u32 v5, vcc_lo, s45, v3
	s_add_u32 s33, s2, s0
	s_addc_u32 s34, s3, s1
	s_cmpk_eq_i32 s44, 0x84
	s_load_dword s36, s[4:5], 0x94
	s_cselect_b32 s35, -1, 0
	s_ashr_i32 s0, s45, 31
	v_cmp_gt_i32_e64 s1, s45, v3
	v_sub_co_ci_u32_e64 v6, null, s0, v4, vcc_lo
	s_ashr_i32 s47, s46, 31
	s_lshl_b64 s[20:21], s[16:17], 9
	s_lshl_b64 s[22:23], s[24:25], 9
	v_cmp_gt_i64_e32 vcc_lo, 1, v[5:6]
	v_cmp_gt_i64_e64 s0, 17, v[5:6]
	v_mad_u64_u32 v[4:5], null, s24, v1, 0
	v_mad_u64_u32 v[6:7], null, s16, v0, 0
	s_mul_i32 s3, s19, s8
	s_mul_hi_u32 s4, s18, s8
	s_add_u32 s26, s46, -16
	s_addc_u32 s27, s47, -1
	v_mov_b32_e32 v3, v5
	s_add_i32 s5, s4, s3
	v_mov_b32_e32 v5, v7
	s_mul_i32 s4, s18, s8
	s_lshl_b64 s[8:9], s[14:15], 4
	v_mad_u64_u32 v[10:11], null, s25, v1, v[3:4]
	v_mad_u64_u32 v[16:17], null, s17, v0, v[5:6]
	s_waitcnt lgkmcnt(0)
	s_lshl_b32 s19, s36, 5
	s_lshl_b64 s[4:5], s[4:5], 4
	s_add_u32 s3, s12, s8
	v_add_nc_u32_e32 v11, 0x100, v18
	s_addc_u32 s6, s13, s9
	s_add_u32 s4, s3, s4
	s_addc_u32 s5, s6, s5
	v_mov_b32_e32 v7, v16
	v_mad_u64_u32 v[16:17], null, s16, v11, s[4:5]
	v_mad_u64_u32 v[18:19], null, s24, v21, 0
	v_mov_b32_e32 v5, v10
	v_lshlrev_b64 v[6:7], 4, v[6:7]
	v_sub_co_u32 v70, s3, 0, v0
	v_sub_co_ci_u32_e64 v71, null, 0, 0, s3
	v_lshlrev_b64 v[3:4], 4, v[4:5]
	v_mov_b32_e32 v5, v17
	v_mov_b32_e32 v10, v19
	v_add_co_u32 v17, s3, s4, v6
	v_add_co_ci_u32_e64 v23, null, s5, v7, s3
	v_mad_u64_u32 v[5:6], null, s17, v11, v[5:6]
	v_mad_u64_u32 v[6:7], null, s25, v21, v[10:11]
	v_add_co_u32 v19, s3, 0x100, v3
	v_add_co_ci_u32_e64 v72, null, 0, v4, s3
	v_add_co_u32 v22, s3, 0x100, v17
	v_add_nc_u32_e32 v68, 0x2000, v63
	v_add_nc_u32_e32 v69, 0x2100, v63
	v_cmp_gt_i32_e64 s2, s45, v8
	v_add_co_ci_u32_e64 v23, null, 0, v23, s3
	v_mov_b32_e32 v17, v5
	v_mov_b32_e32 v73, v6
	;; [unrolled: 1-line block ×3, first 2 shown]
	s_branch .LBB125_4
.LBB125_3:                              ;   in Loop: Header=BB125_4 Depth=1
	s_or_b32 exec_lo, exec_lo, s4
	v_add_nc_u32_e32 v20, s19, v20
	s_add_i32 s7, s36, s7
	s_cmp_le_i32 s7, s11
	s_cbranch_scc0 .LBB125_63
.LBB125_4:                              ; =>This Loop Header: Depth=1
                                        ;     Child Loop BB125_7 Depth 2
	s_lshl_b32 s14, s7, 5
	v_mov_b32_e32 v52, 0
	v_add_nc_u32_e32 v26, s14, v1
	v_mov_b32_e32 v54, 0
	v_mov_b32_e32 v44, 0
	v_mov_b32_e32 v46, 0
	v_mov_b32_e32 v48, 0
	v_mov_b32_e32 v50, 0
	v_mov_b32_e32 v58, 0
	v_mov_b32_e32 v56, 0
	v_mov_b32_e32 v53, 0
	v_mov_b32_e32 v55, 0
	v_mov_b32_e32 v45, 0
	v_mov_b32_e32 v47, 0
	v_mov_b32_e32 v49, 0
	v_mov_b32_e32 v51, 0
	v_mov_b32_e32 v59, 0
	v_mov_b32_e32 v57, 0
	v_ashrrev_i32_e32 v27, 31, v26
	s_cmp_lt_i32 s7, 0
	s_cbranch_scc1 .LBB125_55
; %bb.5:                                ;   in Loop: Header=BB125_4 Depth=1
	v_ashrrev_i32_e32 v21, 31, v20
	v_add_co_u32 v28, s3, v26, 16
	v_add_co_ci_u32_e64 v29, null, 0, v27, s3
	v_add_co_u32 v30, s3, v70, v20
	v_add_co_ci_u32_e64 v31, null, v71, v21, s3
	v_lshlrev_b64 v[32:33], 4, v[20:21]
	v_add_co_u32 v34, s5, v30, 16
	v_add_co_ci_u32_e64 v35, null, 0, v31, s5
	v_add_co_u32 v36, s5, v30, -16
	v_cmp_le_i64_e64 s4, s[46:47], v[28:29]
	v_mov_b32_e32 v56, 0
	v_mov_b32_e32 v39, v17
	;; [unrolled: 1-line block ×11, first 2 shown]
	v_cmp_le_i32_e64 s3, s46, v26
	v_add_co_ci_u32_e64 v37, null, -1, v31, s5
	v_mov_b32_e32 v57, 0
	v_mov_b32_e32 v38, v16
	;; [unrolled: 1-line block ×11, first 2 shown]
	s_mov_b64 s[12:13], 0
	s_branch .LBB125_7
.LBB125_6:                              ;   in Loop: Header=BB125_7 Depth=2
	s_or_b32 exec_lo, exec_lo, s5
	s_waitcnt lgkmcnt(0)
	s_barrier
	buffer_gl0_inv
	ds_read_b128 v[74:77], v60
	ds_read_b128 v[78:81], v60 offset:16
	ds_read_b128 v[8:11], v60 offset:32
	;; [unrolled: 1-line block ×3, first 2 shown]
	ds_read_b128 v[82:85], v62
	v_add_co_u32 v42, s5, v42, s22
	v_add_co_ci_u32_e64 v43, null, s23, v43, s5
	v_add_co_u32 v40, s5, v40, s20
	v_add_co_ci_u32_e64 v41, null, s21, v41, s5
	v_add_co_u32 v38, s5, v38, s20
	s_add_u32 s12, s12, 32
	v_add_co_ci_u32_e64 v39, null, s21, v39, s5
	s_addc_u32 s13, s13, 0
	s_sub_i32 s6, s12, 32
	s_cmp_ge_i32 s6, s14
	s_waitcnt lgkmcnt(0)
	v_mul_f64 v[86:87], v[76:77], v[84:85]
	v_mul_f64 v[88:89], v[74:75], v[84:85]
	v_fma_f64 v[86:87], v[74:75], v[82:83], -v[86:87]
	v_fma_f64 v[88:89], v[76:77], v[82:83], v[88:89]
	v_add_f64 v[86:87], v[52:53], v[86:87]
	v_add_f64 v[88:89], v[88:89], v[54:55]
	ds_read_b128 v[52:55], v62 offset:256
	s_waitcnt lgkmcnt(0)
	v_mul_f64 v[90:91], v[76:77], v[54:55]
	v_fma_f64 v[90:91], v[74:75], v[52:53], -v[90:91]
	v_mul_f64 v[74:75], v[74:75], v[54:55]
	v_fma_f64 v[74:75], v[76:77], v[52:53], v[74:75]
	v_add_f64 v[76:77], v[44:45], v[90:91]
	v_add_f64 v[74:75], v[74:75], v[46:47]
	ds_read_b128 v[44:47], v60 offset:8192
	s_waitcnt lgkmcnt(0)
	v_mul_f64 v[90:91], v[46:47], v[84:85]
	v_mul_f64 v[84:85], v[44:45], v[84:85]
	v_fma_f64 v[90:91], v[44:45], v[82:83], -v[90:91]
	v_fma_f64 v[82:83], v[46:47], v[82:83], v[84:85]
	v_add_f64 v[84:85], v[48:49], v[90:91]
	v_mul_f64 v[48:49], v[46:47], v[54:55]
	v_add_f64 v[82:83], v[82:83], v[50:51]
	v_fma_f64 v[48:49], v[44:45], v[52:53], -v[48:49]
	v_mul_f64 v[44:45], v[44:45], v[54:55]
	v_add_f64 v[58:59], v[58:59], v[48:49]
	v_fma_f64 v[44:45], v[46:47], v[52:53], v[44:45]
	v_add_f64 v[56:57], v[44:45], v[56:57]
	ds_read_b128 v[44:47], v62 offset:512
	s_waitcnt lgkmcnt(0)
	v_mul_f64 v[48:49], v[80:81], v[46:47]
	v_mul_f64 v[50:51], v[78:79], v[46:47]
	v_fma_f64 v[48:49], v[78:79], v[44:45], -v[48:49]
	v_fma_f64 v[50:51], v[80:81], v[44:45], v[50:51]
	v_add_f64 v[86:87], v[86:87], v[48:49]
	v_add_f64 v[88:89], v[50:51], v[88:89]
	ds_read_b128 v[48:51], v62 offset:768
	s_waitcnt lgkmcnt(0)
	v_mul_f64 v[52:53], v[80:81], v[50:51]
	v_mul_f64 v[54:55], v[78:79], v[50:51]
	v_fma_f64 v[52:53], v[78:79], v[48:49], -v[52:53]
	v_fma_f64 v[54:55], v[80:81], v[48:49], v[54:55]
	v_add_f64 v[76:77], v[76:77], v[52:53]
	v_add_f64 v[74:75], v[54:55], v[74:75]
	ds_read_b128 v[52:55], v60 offset:8208
	s_waitcnt lgkmcnt(0)
	v_mul_f64 v[78:79], v[54:55], v[46:47]
	v_mul_f64 v[46:47], v[52:53], v[46:47]
	v_fma_f64 v[78:79], v[52:53], v[44:45], -v[78:79]
	v_fma_f64 v[44:45], v[54:55], v[44:45], v[46:47]
	v_mul_f64 v[46:47], v[52:53], v[50:51]
	v_add_f64 v[78:79], v[84:85], v[78:79]
	v_add_f64 v[80:81], v[44:45], v[82:83]
	v_mul_f64 v[44:45], v[54:55], v[50:51]
	v_fma_f64 v[46:47], v[54:55], v[48:49], v[46:47]
	v_fma_f64 v[44:45], v[52:53], v[48:49], -v[44:45]
	v_add_f64 v[54:55], v[46:47], v[56:57]
	v_add_f64 v[52:53], v[58:59], v[44:45]
	ds_read_b128 v[44:47], v62 offset:1024
	s_waitcnt lgkmcnt(0)
	v_mul_f64 v[48:49], v[10:11], v[46:47]
	v_mul_f64 v[50:51], v[8:9], v[46:47]
	v_fma_f64 v[48:49], v[8:9], v[44:45], -v[48:49]
	v_fma_f64 v[50:51], v[10:11], v[44:45], v[50:51]
	v_add_f64 v[56:57], v[86:87], v[48:49]
	v_add_f64 v[58:59], v[50:51], v[88:89]
	ds_read_b128 v[48:51], v62 offset:1280
	s_waitcnt lgkmcnt(0)
	v_mul_f64 v[82:83], v[10:11], v[50:51]
	v_fma_f64 v[82:83], v[8:9], v[48:49], -v[82:83]
	v_mul_f64 v[8:9], v[8:9], v[50:51]
	v_add_f64 v[76:77], v[76:77], v[82:83]
	v_fma_f64 v[8:9], v[10:11], v[48:49], v[8:9]
	v_add_f64 v[74:75], v[8:9], v[74:75]
	ds_read_b128 v[8:11], v60 offset:8224
	s_waitcnt lgkmcnt(0)
	v_mul_f64 v[82:83], v[10:11], v[46:47]
	v_mul_f64 v[46:47], v[8:9], v[46:47]
	v_fma_f64 v[82:83], v[8:9], v[44:45], -v[82:83]
	v_fma_f64 v[44:45], v[10:11], v[44:45], v[46:47]
	v_add_f64 v[78:79], v[78:79], v[82:83]
	v_add_f64 v[80:81], v[44:45], v[80:81]
	v_mul_f64 v[44:45], v[10:11], v[50:51]
	v_fma_f64 v[44:45], v[8:9], v[48:49], -v[44:45]
	v_mul_f64 v[8:9], v[8:9], v[50:51]
	v_fma_f64 v[8:9], v[10:11], v[48:49], v[8:9]
	v_add_f64 v[48:49], v[52:53], v[44:45]
	v_add_f64 v[50:51], v[8:9], v[54:55]
	ds_read_b128 v[8:11], v62 offset:1536
	s_waitcnt lgkmcnt(0)
	v_mul_f64 v[44:45], v[6:7], v[10:11]
	v_mul_f64 v[46:47], v[4:5], v[10:11]
	v_fma_f64 v[44:45], v[4:5], v[8:9], -v[44:45]
	v_fma_f64 v[46:47], v[6:7], v[8:9], v[46:47]
	v_add_f64 v[52:53], v[56:57], v[44:45]
	v_add_f64 v[54:55], v[46:47], v[58:59]
	ds_read_b128 v[44:47], v62 offset:1792
	s_waitcnt lgkmcnt(0)
	v_mul_f64 v[56:57], v[6:7], v[46:47]
	v_fma_f64 v[56:57], v[4:5], v[44:45], -v[56:57]
	v_mul_f64 v[4:5], v[4:5], v[46:47]
	v_add_f64 v[56:57], v[76:77], v[56:57]
	v_fma_f64 v[4:5], v[6:7], v[44:45], v[4:5]
	v_add_f64 v[58:59], v[4:5], v[74:75]
	ds_read_b128 v[4:7], v60 offset:8240
	s_waitcnt lgkmcnt(0)
	v_mul_f64 v[74:75], v[6:7], v[10:11]
	v_mul_f64 v[10:11], v[4:5], v[10:11]
	v_fma_f64 v[74:75], v[4:5], v[8:9], -v[74:75]
	v_fma_f64 v[8:9], v[6:7], v[8:9], v[10:11]
	v_add_f64 v[74:75], v[78:79], v[74:75]
	v_add_f64 v[76:77], v[8:9], v[80:81]
	v_mul_f64 v[8:9], v[6:7], v[46:47]
	v_fma_f64 v[8:9], v[4:5], v[44:45], -v[8:9]
	v_mul_f64 v[4:5], v[4:5], v[46:47]
	v_add_f64 v[48:49], v[48:49], v[8:9]
	v_fma_f64 v[4:5], v[6:7], v[44:45], v[4:5]
	v_add_f64 v[50:51], v[4:5], v[50:51]
	ds_read_b128 v[4:7], v60 offset:64
	ds_read_b128 v[8:11], v62 offset:2048
	s_waitcnt lgkmcnt(0)
	v_mul_f64 v[44:45], v[6:7], v[10:11]
	v_mul_f64 v[46:47], v[4:5], v[10:11]
	v_fma_f64 v[44:45], v[4:5], v[8:9], -v[44:45]
	v_fma_f64 v[46:47], v[6:7], v[8:9], v[46:47]
	v_add_f64 v[52:53], v[52:53], v[44:45]
	v_add_f64 v[54:55], v[46:47], v[54:55]
	ds_read_b128 v[44:47], v62 offset:2304
	s_waitcnt lgkmcnt(0)
	v_mul_f64 v[78:79], v[6:7], v[46:47]
	v_fma_f64 v[78:79], v[4:5], v[44:45], -v[78:79]
	v_mul_f64 v[4:5], v[4:5], v[46:47]
	v_add_f64 v[56:57], v[56:57], v[78:79]
	v_fma_f64 v[4:5], v[6:7], v[44:45], v[4:5]
	v_add_f64 v[58:59], v[4:5], v[58:59]
	ds_read_b128 v[4:7], v60 offset:8256
	s_waitcnt lgkmcnt(0)
	v_mul_f64 v[78:79], v[6:7], v[10:11]
	v_mul_f64 v[10:11], v[4:5], v[10:11]
	v_fma_f64 v[78:79], v[4:5], v[8:9], -v[78:79]
	v_fma_f64 v[8:9], v[6:7], v[8:9], v[10:11]
	v_add_f64 v[74:75], v[74:75], v[78:79]
	v_add_f64 v[76:77], v[8:9], v[76:77]
	v_mul_f64 v[8:9], v[6:7], v[46:47]
	v_fma_f64 v[8:9], v[4:5], v[44:45], -v[8:9]
	v_mul_f64 v[4:5], v[4:5], v[46:47]
	v_add_f64 v[48:49], v[48:49], v[8:9]
	v_fma_f64 v[4:5], v[6:7], v[44:45], v[4:5]
	v_add_f64 v[50:51], v[4:5], v[50:51]
	ds_read_b128 v[4:7], v60 offset:80
	;; [unrolled: 31-line block ×27, first 2 shown]
	ds_read_b128 v[8:11], v62 offset:15360
	s_waitcnt lgkmcnt(0)
	v_mul_f64 v[44:45], v[6:7], v[10:11]
	v_mul_f64 v[46:47], v[4:5], v[10:11]
	v_fma_f64 v[44:45], v[4:5], v[8:9], -v[44:45]
	v_fma_f64 v[46:47], v[6:7], v[8:9], v[46:47]
	v_add_f64 v[52:53], v[52:53], v[44:45]
	v_add_f64 v[54:55], v[46:47], v[54:55]
	ds_read_b128 v[44:47], v62 offset:15616
	s_waitcnt lgkmcnt(0)
	v_mul_f64 v[78:79], v[6:7], v[46:47]
	v_fma_f64 v[78:79], v[4:5], v[44:45], -v[78:79]
	v_mul_f64 v[4:5], v[4:5], v[46:47]
	v_add_f64 v[78:79], v[56:57], v[78:79]
	v_fma_f64 v[4:5], v[6:7], v[44:45], v[4:5]
	v_add_f64 v[80:81], v[4:5], v[58:59]
	ds_read_b128 v[4:7], v60 offset:8672
	s_waitcnt lgkmcnt(0)
	v_mul_f64 v[56:57], v[6:7], v[10:11]
	v_mul_f64 v[10:11], v[4:5], v[10:11]
	v_fma_f64 v[56:57], v[4:5], v[8:9], -v[56:57]
	v_fma_f64 v[8:9], v[6:7], v[8:9], v[10:11]
	v_add_f64 v[82:83], v[74:75], v[56:57]
	v_add_f64 v[84:85], v[8:9], v[76:77]
	v_mul_f64 v[8:9], v[6:7], v[46:47]
	v_fma_f64 v[8:9], v[4:5], v[44:45], -v[8:9]
	v_mul_f64 v[4:5], v[4:5], v[46:47]
	v_fma_f64 v[6:7], v[6:7], v[44:45], v[4:5]
	v_add_f64 v[4:5], v[48:49], v[8:9]
	v_add_f64 v[6:7], v[6:7], v[50:51]
	ds_read_b128 v[8:11], v60 offset:496
	ds_read_b128 v[48:51], v62 offset:15872
	;; [unrolled: 1-line block ×4, first 2 shown]
	s_waitcnt lgkmcnt(0)
	s_barrier
	buffer_gl0_inv
	v_mul_f64 v[44:45], v[10:11], v[50:51]
	v_mul_f64 v[46:47], v[8:9], v[50:51]
	v_fma_f64 v[44:45], v[8:9], v[48:49], -v[44:45]
	v_fma_f64 v[46:47], v[10:11], v[48:49], v[46:47]
	v_add_f64 v[52:53], v[52:53], v[44:45]
	v_mul_f64 v[44:45], v[10:11], v[58:59]
	v_add_f64 v[54:55], v[46:47], v[54:55]
	v_fma_f64 v[44:45], v[8:9], v[56:57], -v[44:45]
	v_mul_f64 v[8:9], v[8:9], v[58:59]
	v_add_f64 v[44:45], v[78:79], v[44:45]
	v_fma_f64 v[8:9], v[10:11], v[56:57], v[8:9]
	v_mul_f64 v[10:11], v[74:75], v[50:51]
	v_add_f64 v[46:47], v[8:9], v[80:81]
	v_mul_f64 v[8:9], v[76:77], v[50:51]
	v_fma_f64 v[10:11], v[76:77], v[48:49], v[10:11]
	v_fma_f64 v[8:9], v[74:75], v[48:49], -v[8:9]
	v_add_f64 v[50:51], v[10:11], v[84:85]
	v_mul_f64 v[10:11], v[74:75], v[58:59]
	v_add_f64 v[48:49], v[82:83], v[8:9]
	v_mul_f64 v[8:9], v[76:77], v[58:59]
	v_fma_f64 v[10:11], v[76:77], v[56:57], v[10:11]
	v_fma_f64 v[8:9], v[74:75], v[56:57], -v[8:9]
	v_add_f64 v[56:57], v[10:11], v[6:7]
	v_add_f64 v[58:59], v[4:5], v[8:9]
	s_cbranch_scc1 .LBB125_55
.LBB125_7:                              ;   Parent Loop BB125_4 Depth=1
                                        ; =>  This Inner Loop Header: Depth=2
	v_add_co_u32 v6, s5, v0, s12
	v_add_co_ci_u32_e64 v7, null, 0, s13, s5
	v_cmp_eq_u64_e64 s8, s[12:13], v[30:31]
	v_cmp_gt_i64_e64 s5, v[6:7], v[26:27]
	v_cmp_le_i64_e64 s6, s[46:47], v[6:7]
	s_and_b32 s16, s35, s8
	v_add_co_u32 v8, s8, v40, v32
	s_or_b32 s9, s3, s5
	v_add_co_ci_u32_e64 v9, null, v41, v33, s8
	s_or_b32 s8, s9, s16
	s_nor_b32 s8, s6, s8
	s_and_saveexec_b32 s9, s8
	s_xor_b32 s8, exec_lo, s9
	s_cbranch_execz .LBB125_9
; %bb.8:                                ;   in Loop: Header=BB125_7 Depth=2
	global_load_dwordx4 v[74:77], v[8:9], off offset:-256
	s_waitcnt vmcnt(0)
	ds_write2_b64 v61, v[74:75], v[76:77] offset1:1
.LBB125_9:                              ;   in Loop: Header=BB125_7 Depth=2
	s_or_saveexec_b32 s8, s8
	s_xor_b32 s15, s16, -1
	s_xor_b32 exec_lo, exec_lo, s8
	s_cbranch_execz .LBB125_15
; %bb.10:                               ;   in Loop: Header=BB125_7 Depth=2
	s_and_saveexec_b32 s9, s15
	s_xor_b32 s9, exec_lo, s9
	s_cbranch_execz .LBB125_12
; %bb.11:                               ;   in Loop: Header=BB125_7 Depth=2
	v_mov_b32_e32 v74, v2
	v_mov_b32_e32 v75, v2
	;; [unrolled: 1-line block ×4, first 2 shown]
	ds_write_b128 v61, v[74:77]
.LBB125_12:                             ;   in Loop: Header=BB125_7 Depth=2
	s_andn2_saveexec_b32 s9, s9
; %bb.13:                               ;   in Loop: Header=BB125_7 Depth=2
	v_mov_b32_e32 v4, v2
	v_mov_b32_e32 v5, v2
	ds_write_b128 v61, v[2:5]
; %bb.14:                               ;   in Loop: Header=BB125_7 Depth=2
	s_or_b32 exec_lo, exec_lo, s9
.LBB125_15:                             ;   in Loop: Header=BB125_7 Depth=2
	s_or_b32 exec_lo, exec_lo, s8
	v_add_co_u32 v4, s8, v6, 16
	v_add_co_ci_u32_e64 v5, null, 0, v7, s8
	v_cmp_eq_u64_e64 s9, s[12:13], v[36:37]
	v_cmp_gt_i64_e64 s10, v[4:5], v[26:27]
	v_cmp_le_i64_e64 s8, s[46:47], v[4:5]
	s_and_b32 s17, s35, s9
	s_or_b32 s9, s3, s10
	s_or_b32 s9, s9, s17
	s_nor_b32 s9, s8, s9
	s_and_saveexec_b32 s10, s9
	s_xor_b32 s10, exec_lo, s10
	s_cbranch_execz .LBB125_17
; %bb.16:                               ;   in Loop: Header=BB125_7 Depth=2
	v_add_co_u32 v4, s9, v38, v32
	v_add_co_ci_u32_e64 v5, null, v39, v33, s9
	global_load_dwordx4 v[74:77], v[4:5], off
	s_waitcnt vmcnt(0)
	ds_write2_b64 v64, v[74:75], v[76:77] offset1:1
.LBB125_17:                             ;   in Loop: Header=BB125_7 Depth=2
	s_andn2_saveexec_b32 s9, s10
	s_cbranch_execz .LBB125_23
; %bb.18:                               ;   in Loop: Header=BB125_7 Depth=2
	s_xor_b32 s10, s17, -1
	s_and_saveexec_b32 s17, s10
	s_xor_b32 s10, exec_lo, s17
	s_cbranch_execz .LBB125_20
; %bb.19:                               ;   in Loop: Header=BB125_7 Depth=2
	v_mov_b32_e32 v74, v2
	v_mov_b32_e32 v75, v2
	;; [unrolled: 1-line block ×4, first 2 shown]
	ds_write_b128 v61, v[74:77] offset:256
.LBB125_20:                             ;   in Loop: Header=BB125_7 Depth=2
	s_andn2_saveexec_b32 s10, s10
; %bb.21:                               ;   in Loop: Header=BB125_7 Depth=2
	v_mov_b32_e32 v4, v2
	v_mov_b32_e32 v5, v2
	ds_write_b128 v61, v[2:5] offset:256
; %bb.22:                               ;   in Loop: Header=BB125_7 Depth=2
	s_or_b32 exec_lo, exec_lo, s10
.LBB125_23:                             ;   in Loop: Header=BB125_7 Depth=2
	s_or_b32 exec_lo, exec_lo, s9
	v_cmp_eq_u64_e64 s9, s[12:13], v[34:35]
	v_cmp_gt_i64_e64 s10, v[6:7], v[28:29]
	s_and_b32 s9, s35, s9
	s_or_b32 s10, s4, s10
	s_or_b32 s10, s10, s9
	s_nor_b32 s6, s6, s10
	s_and_saveexec_b32 s10, s6
	s_xor_b32 s6, exec_lo, s10
	s_cbranch_execz .LBB125_25
; %bb.24:                               ;   in Loop: Header=BB125_7 Depth=2
	global_load_dwordx4 v[4:7], v[8:9], off
	s_waitcnt vmcnt(0)
	ds_write2_b64 v65, v[4:5], v[6:7] offset1:1
.LBB125_25:                             ;   in Loop: Header=BB125_7 Depth=2
	s_andn2_saveexec_b32 s6, s6
	s_cbranch_execz .LBB125_31
; %bb.26:                               ;   in Loop: Header=BB125_7 Depth=2
	s_xor_b32 s9, s9, -1
	s_and_saveexec_b32 s10, s9
	s_xor_b32 s9, exec_lo, s10
	s_cbranch_execz .LBB125_28
; %bb.27:                               ;   in Loop: Header=BB125_7 Depth=2
	v_mov_b32_e32 v4, v2
	v_mov_b32_e32 v5, v2
	;; [unrolled: 1-line block ×4, first 2 shown]
	ds_write_b128 v61, v[4:7] offset:8192
.LBB125_28:                             ;   in Loop: Header=BB125_7 Depth=2
	s_andn2_saveexec_b32 s9, s9
; %bb.29:                               ;   in Loop: Header=BB125_7 Depth=2
	v_mov_b32_e32 v4, v2
	v_mov_b32_e32 v5, v2
	ds_write_b128 v61, v[2:5] offset:8192
; %bb.30:                               ;   in Loop: Header=BB125_7 Depth=2
	s_or_b32 exec_lo, exec_lo, s9
.LBB125_31:                             ;   in Loop: Header=BB125_7 Depth=2
	s_or_b32 exec_lo, exec_lo, s6
	s_or_b32 s5, s4, s5
	s_or_b32 s5, s5, s16
	s_nor_b32 s5, s8, s5
	s_and_saveexec_b32 s6, s5
	s_xor_b32 s6, exec_lo, s6
	s_cbranch_execz .LBB125_33
; %bb.32:                               ;   in Loop: Header=BB125_7 Depth=2
	v_add_co_u32 v4, s5, v38, v32
	v_add_co_ci_u32_e64 v5, null, v39, v33, s5
	global_load_dwordx4 v[4:7], v[4:5], off offset:256
	s_waitcnt vmcnt(0)
	ds_write2_b64 v66, v[4:5], v[6:7] offset1:1
.LBB125_33:                             ;   in Loop: Header=BB125_7 Depth=2
	s_andn2_saveexec_b32 s5, s6
	s_cbranch_execz .LBB125_39
; %bb.34:                               ;   in Loop: Header=BB125_7 Depth=2
	s_and_saveexec_b32 s6, s15
	s_xor_b32 s6, exec_lo, s6
	s_cbranch_execz .LBB125_36
; %bb.35:                               ;   in Loop: Header=BB125_7 Depth=2
	v_mov_b32_e32 v4, v2
	v_mov_b32_e32 v5, v2
	;; [unrolled: 1-line block ×4, first 2 shown]
	ds_write_b128 v61, v[4:7] offset:8448
.LBB125_36:                             ;   in Loop: Header=BB125_7 Depth=2
	s_andn2_saveexec_b32 s6, s6
; %bb.37:                               ;   in Loop: Header=BB125_7 Depth=2
	v_mov_b32_e32 v4, v2
	v_mov_b32_e32 v5, v2
	ds_write_b128 v61, v[2:5] offset:8448
; %bb.38:                               ;   in Loop: Header=BB125_7 Depth=2
	s_or_b32 exec_lo, exec_lo, s6
.LBB125_39:                             ;   in Loop: Header=BB125_7 Depth=2
	s_or_b32 exec_lo, exec_lo, s5
	v_add_co_u32 v4, s5, v1, s12
	v_add_co_ci_u32_e64 v5, null, 0, s13, s5
	v_add_co_u32 v6, s6, v42, v19
	v_add_co_ci_u32_e64 v7, null, v43, v72, s6
	v_cmp_le_i64_e64 s5, s[46:47], v[4:5]
	s_nor_b32 s6, s5, vcc_lo
	s_and_saveexec_b32 s8, s6
	s_xor_b32 s6, exec_lo, s8
	s_cbranch_execz .LBB125_41
; %bb.40:                               ;   in Loop: Header=BB125_7 Depth=2
	global_load_dwordx4 v[8:11], v[6:7], off offset:-256
	s_waitcnt vmcnt(0)
	ds_write2_b64 v63, v[8:9], v[10:11] offset1:1
.LBB125_41:                             ;   in Loop: Header=BB125_7 Depth=2
	s_andn2_saveexec_b32 s6, s6
	s_cbranch_execz .LBB125_43
; %bb.42:                               ;   in Loop: Header=BB125_7 Depth=2
	v_mov_b32_e32 v8, v2
	v_mov_b32_e32 v9, v2
	;; [unrolled: 1-line block ×4, first 2 shown]
	ds_write_b128 v63, v[8:11]
.LBB125_43:                             ;   in Loop: Header=BB125_7 Depth=2
	s_or_b32 exec_lo, exec_lo, s6
	s_nor_b32 s5, s5, s0
	s_and_saveexec_b32 s6, s5
	s_xor_b32 s5, exec_lo, s6
	s_cbranch_execz .LBB125_45
; %bb.44:                               ;   in Loop: Header=BB125_7 Depth=2
	global_load_dwordx4 v[6:9], v[6:7], off
	s_waitcnt vmcnt(0)
	ds_write2_b64 v67, v[6:7], v[8:9] offset1:1
.LBB125_45:                             ;   in Loop: Header=BB125_7 Depth=2
	s_andn2_saveexec_b32 s5, s5
	s_cbranch_execz .LBB125_47
; %bb.46:                               ;   in Loop: Header=BB125_7 Depth=2
	v_mov_b32_e32 v6, v2
	v_mov_b32_e32 v7, v2
	v_mov_b32_e32 v8, v2
	v_mov_b32_e32 v9, v2
	ds_write_b128 v63, v[6:9] offset:256
.LBB125_47:                             ;   in Loop: Header=BB125_7 Depth=2
	s_or_b32 exec_lo, exec_lo, s5
	v_cmp_le_i64_e64 s5, s[26:27], v[4:5]
	v_add_co_u32 v4, s6, v42, v18
	v_add_co_ci_u32_e64 v5, null, v43, v73, s6
	s_nor_b32 s6, s5, vcc_lo
	s_and_saveexec_b32 s8, s6
	s_xor_b32 s6, exec_lo, s8
	s_cbranch_execz .LBB125_49
; %bb.48:                               ;   in Loop: Header=BB125_7 Depth=2
	global_load_dwordx4 v[6:9], v[4:5], off
	s_waitcnt vmcnt(0)
	ds_write2_b64 v68, v[6:7], v[8:9] offset1:1
.LBB125_49:                             ;   in Loop: Header=BB125_7 Depth=2
	s_andn2_saveexec_b32 s6, s6
	s_cbranch_execz .LBB125_51
; %bb.50:                               ;   in Loop: Header=BB125_7 Depth=2
	v_mov_b32_e32 v6, v2
	v_mov_b32_e32 v7, v2
	;; [unrolled: 1-line block ×4, first 2 shown]
	ds_write_b128 v63, v[6:9] offset:8192
.LBB125_51:                             ;   in Loop: Header=BB125_7 Depth=2
	s_or_b32 exec_lo, exec_lo, s6
	s_nor_b32 s5, s5, s0
	s_and_saveexec_b32 s6, s5
	s_xor_b32 s5, exec_lo, s6
	s_cbranch_execz .LBB125_53
; %bb.52:                               ;   in Loop: Header=BB125_7 Depth=2
	global_load_dwordx4 v[4:7], v[4:5], off offset:256
	s_waitcnt vmcnt(0)
	ds_write2_b64 v69, v[4:5], v[6:7] offset1:1
.LBB125_53:                             ;   in Loop: Header=BB125_7 Depth=2
	s_andn2_saveexec_b32 s5, s5
	s_cbranch_execz .LBB125_6
; %bb.54:                               ;   in Loop: Header=BB125_7 Depth=2
	v_mov_b32_e32 v4, v2
	v_mov_b32_e32 v5, v2
	;; [unrolled: 1-line block ×4, first 2 shown]
	ds_write_b128 v63, v[4:7] offset:8448
	s_branch .LBB125_6
.LBB125_55:                             ;   in Loop: Header=BB125_4 Depth=1
	v_mul_lo_u32 v6, s41, v26
	v_mul_lo_u32 v7, s40, v27
	v_mad_u64_u32 v[4:5], null, s40, v26, 0
	v_cmp_gt_i32_e64 s3, s46, v26
	v_add3_u32 v5, v5, v7, v6
	v_lshlrev_b64 v[4:5], 4, v[4:5]
	v_add_co_u32 v4, s4, s33, v4
	v_add_co_ci_u32_e64 v5, null, s34, v5, s4
	s_and_b32 s4, s1, s3
	s_and_saveexec_b32 s5, s4
	s_cbranch_execz .LBB125_57
; %bb.56:                               ;   in Loop: Header=BB125_4 Depth=1
	v_add_co_u32 v10, s4, v4, v12
	v_add_co_ci_u32_e64 v11, null, v5, v13, s4
	v_mul_f64 v[27:28], s[30:31], v[54:55]
	v_mul_f64 v[29:30], s[28:29], v[54:55]
	global_load_dwordx4 v[6:9], v[10:11], off
	v_fma_f64 v[27:28], s[28:29], v[52:53], -v[27:28]
	v_fma_f64 v[29:30], s[30:31], v[52:53], v[29:30]
	s_waitcnt vmcnt(0)
	v_add_f64 v[6:7], v[6:7], v[27:28]
	v_add_f64 v[8:9], v[29:30], v[8:9]
	global_store_dwordx4 v[10:11], v[6:9], off
.LBB125_57:                             ;   in Loop: Header=BB125_4 Depth=1
	s_or_b32 exec_lo, exec_lo, s5
	s_and_b32 s3, s2, s3
	s_and_saveexec_b32 s4, s3
	s_cbranch_execz .LBB125_59
; %bb.58:                               ;   in Loop: Header=BB125_4 Depth=1
	v_add_co_u32 v8, s3, v4, v24
	v_add_co_ci_u32_e64 v9, null, v5, v25, s3
	v_mul_f64 v[10:11], s[30:31], v[46:47]
	v_mul_f64 v[27:28], s[28:29], v[46:47]
	global_load_dwordx4 v[4:7], v[8:9], off
	v_fma_f64 v[10:11], s[28:29], v[44:45], -v[10:11]
	v_fma_f64 v[27:28], s[30:31], v[44:45], v[27:28]
	s_waitcnt vmcnt(0)
	v_add_f64 v[4:5], v[4:5], v[10:11]
	v_add_f64 v[6:7], v[27:28], v[6:7]
	global_store_dwordx4 v[8:9], v[4:7], off
.LBB125_59:                             ;   in Loop: Header=BB125_4 Depth=1
	s_or_b32 exec_lo, exec_lo, s4
	v_add_nc_u32_e32 v6, 16, v26
	v_ashrrev_i32_e32 v7, 31, v6
	v_mul_lo_u32 v8, s41, v6
	v_mad_u64_u32 v[4:5], null, s40, v6, 0
	v_cmp_gt_i32_e64 s3, s46, v6
	v_mul_lo_u32 v7, s40, v7
	v_add3_u32 v5, v5, v7, v8
	v_lshlrev_b64 v[4:5], 4, v[4:5]
	v_add_co_u32 v4, s4, s33, v4
	v_add_co_ci_u32_e64 v5, null, s34, v5, s4
	s_and_b32 s4, s1, s3
	s_and_saveexec_b32 s5, s4
	s_cbranch_execz .LBB125_61
; %bb.60:                               ;   in Loop: Header=BB125_4 Depth=1
	v_add_co_u32 v10, s4, v4, v12
	v_add_co_ci_u32_e64 v11, null, v5, v13, s4
	v_mul_f64 v[26:27], s[30:31], v[50:51]
	v_mul_f64 v[28:29], s[28:29], v[50:51]
	global_load_dwordx4 v[6:9], v[10:11], off
	v_fma_f64 v[26:27], s[28:29], v[48:49], -v[26:27]
	v_fma_f64 v[28:29], s[30:31], v[48:49], v[28:29]
	s_waitcnt vmcnt(0)
	v_add_f64 v[6:7], v[6:7], v[26:27]
	v_add_f64 v[8:9], v[28:29], v[8:9]
	global_store_dwordx4 v[10:11], v[6:9], off
.LBB125_61:                             ;   in Loop: Header=BB125_4 Depth=1
	s_or_b32 exec_lo, exec_lo, s5
	s_and_b32 s3, s2, s3
	s_and_saveexec_b32 s4, s3
	s_cbranch_execz .LBB125_3
; %bb.62:                               ;   in Loop: Header=BB125_4 Depth=1
	v_add_co_u32 v8, s3, v4, v24
	v_add_co_ci_u32_e64 v9, null, v5, v25, s3
	v_mul_f64 v[10:11], s[30:31], v[56:57]
	v_mul_f64 v[26:27], s[28:29], v[56:57]
	global_load_dwordx4 v[4:7], v[8:9], off
	v_fma_f64 v[10:11], s[28:29], v[58:59], -v[10:11]
	v_fma_f64 v[26:27], s[30:31], v[58:59], v[26:27]
	s_waitcnt vmcnt(0)
	v_add_f64 v[4:5], v[4:5], v[10:11]
	v_add_f64 v[6:7], v[26:27], v[6:7]
	global_store_dwordx4 v[8:9], v[4:7], off
	s_branch .LBB125_3
.LBB125_63:
	s_endpgm
	.section	.rodata,"a",@progbits
	.p2align	6, 0x0
	.amdhsa_kernel _ZL30rocblas_trmm_outofplace_kernelI19rocblas_complex_numIdELi32ELi2ELb0ELb0ELb1ELb0ES1_KS1_S1_Ev17rocblas_diagonal_iiT6_lPT7_lllS6_lllPT8_llli
		.amdhsa_group_segment_fixed_size 32768
		.amdhsa_private_segment_fixed_size 0
		.amdhsa_kernarg_size 400
		.amdhsa_user_sgpr_count 6
		.amdhsa_user_sgpr_private_segment_buffer 1
		.amdhsa_user_sgpr_dispatch_ptr 0
		.amdhsa_user_sgpr_queue_ptr 0
		.amdhsa_user_sgpr_kernarg_segment_ptr 1
		.amdhsa_user_sgpr_dispatch_id 0
		.amdhsa_user_sgpr_flat_scratch_init 0
		.amdhsa_user_sgpr_private_segment_size 0
		.amdhsa_wavefront_size32 1
		.amdhsa_uses_dynamic_stack 0
		.amdhsa_system_sgpr_private_segment_wavefront_offset 0
		.amdhsa_system_sgpr_workgroup_id_x 1
		.amdhsa_system_sgpr_workgroup_id_y 1
		.amdhsa_system_sgpr_workgroup_id_z 1
		.amdhsa_system_sgpr_workgroup_info 0
		.amdhsa_system_vgpr_workitem_id 1
		.amdhsa_next_free_vgpr 92
		.amdhsa_next_free_sgpr 48
		.amdhsa_reserve_vcc 1
		.amdhsa_reserve_flat_scratch 0
		.amdhsa_float_round_mode_32 0
		.amdhsa_float_round_mode_16_64 0
		.amdhsa_float_denorm_mode_32 3
		.amdhsa_float_denorm_mode_16_64 3
		.amdhsa_dx10_clamp 1
		.amdhsa_ieee_mode 1
		.amdhsa_fp16_overflow 0
		.amdhsa_workgroup_processor_mode 1
		.amdhsa_memory_ordered 1
		.amdhsa_forward_progress 1
		.amdhsa_shared_vgpr_count 0
		.amdhsa_exception_fp_ieee_invalid_op 0
		.amdhsa_exception_fp_denorm_src 0
		.amdhsa_exception_fp_ieee_div_zero 0
		.amdhsa_exception_fp_ieee_overflow 0
		.amdhsa_exception_fp_ieee_underflow 0
		.amdhsa_exception_fp_ieee_inexact 0
		.amdhsa_exception_int_div_zero 0
	.end_amdhsa_kernel
	.section	.text._ZL30rocblas_trmm_outofplace_kernelI19rocblas_complex_numIdELi32ELi2ELb0ELb0ELb1ELb0ES1_KS1_S1_Ev17rocblas_diagonal_iiT6_lPT7_lllS6_lllPT8_llli,"axG",@progbits,_ZL30rocblas_trmm_outofplace_kernelI19rocblas_complex_numIdELi32ELi2ELb0ELb0ELb1ELb0ES1_KS1_S1_Ev17rocblas_diagonal_iiT6_lPT7_lllS6_lllPT8_llli,comdat
.Lfunc_end125:
	.size	_ZL30rocblas_trmm_outofplace_kernelI19rocblas_complex_numIdELi32ELi2ELb0ELb0ELb1ELb0ES1_KS1_S1_Ev17rocblas_diagonal_iiT6_lPT7_lllS6_lllPT8_llli, .Lfunc_end125-_ZL30rocblas_trmm_outofplace_kernelI19rocblas_complex_numIdELi32ELi2ELb0ELb0ELb1ELb0ES1_KS1_S1_Ev17rocblas_diagonal_iiT6_lPT7_lllS6_lllPT8_llli
                                        ; -- End function
	.set _ZL30rocblas_trmm_outofplace_kernelI19rocblas_complex_numIdELi32ELi2ELb0ELb0ELb1ELb0ES1_KS1_S1_Ev17rocblas_diagonal_iiT6_lPT7_lllS6_lllPT8_llli.num_vgpr, 92
	.set _ZL30rocblas_trmm_outofplace_kernelI19rocblas_complex_numIdELi32ELi2ELb0ELb0ELb1ELb0ES1_KS1_S1_Ev17rocblas_diagonal_iiT6_lPT7_lllS6_lllPT8_llli.num_agpr, 0
	.set _ZL30rocblas_trmm_outofplace_kernelI19rocblas_complex_numIdELi32ELi2ELb0ELb0ELb1ELb0ES1_KS1_S1_Ev17rocblas_diagonal_iiT6_lPT7_lllS6_lllPT8_llli.numbered_sgpr, 48
	.set _ZL30rocblas_trmm_outofplace_kernelI19rocblas_complex_numIdELi32ELi2ELb0ELb0ELb1ELb0ES1_KS1_S1_Ev17rocblas_diagonal_iiT6_lPT7_lllS6_lllPT8_llli.num_named_barrier, 0
	.set _ZL30rocblas_trmm_outofplace_kernelI19rocblas_complex_numIdELi32ELi2ELb0ELb0ELb1ELb0ES1_KS1_S1_Ev17rocblas_diagonal_iiT6_lPT7_lllS6_lllPT8_llli.private_seg_size, 0
	.set _ZL30rocblas_trmm_outofplace_kernelI19rocblas_complex_numIdELi32ELi2ELb0ELb0ELb1ELb0ES1_KS1_S1_Ev17rocblas_diagonal_iiT6_lPT7_lllS6_lllPT8_llli.uses_vcc, 1
	.set _ZL30rocblas_trmm_outofplace_kernelI19rocblas_complex_numIdELi32ELi2ELb0ELb0ELb1ELb0ES1_KS1_S1_Ev17rocblas_diagonal_iiT6_lPT7_lllS6_lllPT8_llli.uses_flat_scratch, 0
	.set _ZL30rocblas_trmm_outofplace_kernelI19rocblas_complex_numIdELi32ELi2ELb0ELb0ELb1ELb0ES1_KS1_S1_Ev17rocblas_diagonal_iiT6_lPT7_lllS6_lllPT8_llli.has_dyn_sized_stack, 0
	.set _ZL30rocblas_trmm_outofplace_kernelI19rocblas_complex_numIdELi32ELi2ELb0ELb0ELb1ELb0ES1_KS1_S1_Ev17rocblas_diagonal_iiT6_lPT7_lllS6_lllPT8_llli.has_recursion, 0
	.set _ZL30rocblas_trmm_outofplace_kernelI19rocblas_complex_numIdELi32ELi2ELb0ELb0ELb1ELb0ES1_KS1_S1_Ev17rocblas_diagonal_iiT6_lPT7_lllS6_lllPT8_llli.has_indirect_call, 0
	.section	.AMDGPU.csdata,"",@progbits
; Kernel info:
; codeLenInByte = 10132
; TotalNumSgprs: 50
; NumVgprs: 92
; ScratchSize: 0
; MemoryBound: 0
; FloatMode: 240
; IeeeMode: 1
; LDSByteSize: 32768 bytes/workgroup (compile time only)
; SGPRBlocks: 0
; VGPRBlocks: 11
; NumSGPRsForWavesPerEU: 50
; NumVGPRsForWavesPerEU: 92
; Occupancy: 10
; WaveLimiterHint : 0
; COMPUTE_PGM_RSRC2:SCRATCH_EN: 0
; COMPUTE_PGM_RSRC2:USER_SGPR: 6
; COMPUTE_PGM_RSRC2:TRAP_HANDLER: 0
; COMPUTE_PGM_RSRC2:TGID_X_EN: 1
; COMPUTE_PGM_RSRC2:TGID_Y_EN: 1
; COMPUTE_PGM_RSRC2:TGID_Z_EN: 1
; COMPUTE_PGM_RSRC2:TIDIG_COMP_CNT: 1
	.section	.text._ZL30rocblas_trmm_outofplace_kernelI19rocblas_complex_numIdELi32ELi2ELb0ELb1ELb1ELb0EPKS1_S2_S1_Ev17rocblas_diagonal_iiT6_lPT7_lllS7_lllPT8_llli,"axG",@progbits,_ZL30rocblas_trmm_outofplace_kernelI19rocblas_complex_numIdELi32ELi2ELb0ELb1ELb1ELb0EPKS1_S2_S1_Ev17rocblas_diagonal_iiT6_lPT7_lllS7_lllPT8_llli,comdat
	.globl	_ZL30rocblas_trmm_outofplace_kernelI19rocblas_complex_numIdELi32ELi2ELb0ELb1ELb1ELb0EPKS1_S2_S1_Ev17rocblas_diagonal_iiT6_lPT7_lllS7_lllPT8_llli ; -- Begin function _ZL30rocblas_trmm_outofplace_kernelI19rocblas_complex_numIdELi32ELi2ELb0ELb1ELb1ELb0EPKS1_S2_S1_Ev17rocblas_diagonal_iiT6_lPT7_lllS7_lllPT8_llli
	.p2align	8
	.type	_ZL30rocblas_trmm_outofplace_kernelI19rocblas_complex_numIdELi32ELi2ELb0ELb1ELb1ELb0EPKS1_S2_S1_Ev17rocblas_diagonal_iiT6_lPT7_lllS7_lllPT8_llli,@function
_ZL30rocblas_trmm_outofplace_kernelI19rocblas_complex_numIdELi32ELi2ELb0ELb1ELb1ELb0EPKS1_S2_S1_Ev17rocblas_diagonal_iiT6_lPT7_lllS7_lllPT8_llli: ; @_ZL30rocblas_trmm_outofplace_kernelI19rocblas_complex_numIdELi32ELi2ELb0ELb1ELb1ELb0EPKS1_S2_S1_Ev17rocblas_diagonal_iiT6_lPT7_lllS7_lllPT8_llli
; %bb.0:
	s_load_dwordx16 s[12:27], s[4:5], 0x10
	s_waitcnt lgkmcnt(0)
	s_mul_i32 s1, s15, s8
	s_mul_hi_u32 s2, s14, s8
	s_mul_i32 s0, s14, s8
	s_add_i32 s1, s2, s1
	s_lshl_b64 s[0:1], s[0:1], 4
	s_add_u32 s0, s12, s0
	s_addc_u32 s1, s13, s1
	s_load_dwordx4 s[12:15], s[0:1], 0x0
	s_waitcnt lgkmcnt(0)
	v_cmp_eq_f64_e64 s0, s[12:13], 0
	v_cmp_eq_f64_e64 s1, s[14:15], 0
	s_and_b32 s0, s0, s1
	s_and_b32 vcc_lo, exec_lo, s0
	s_cbranch_vccnz .LBB126_64
; %bb.1:
	s_load_dwordx4 s[28:31], s[4:5], 0x0
	s_waitcnt lgkmcnt(0)
	s_add_i32 s0, s30, -1
	s_ashr_i32 s1, s0, 31
	s_lshr_b32 s1, s1, 27
	s_add_i32 s0, s0, s1
	s_ashr_i32 s11, s0, 5
	s_cmp_gt_i32 s7, s11
	s_cbranch_scc1 .LBB126_64
; %bb.2:
	s_clause 0x2
	s_load_dwordx4 s[44:47], s[4:5], 0x70
	s_load_dwordx8 s[36:43], s[4:5], 0x50
	s_load_dword s33, s[4:5], 0x8c
	v_lshl_add_u32 v2, s6, 5, v0
	v_lshlrev_b32_e32 v3, 4, v0
	v_lshlrev_b32_e32 v60, 9, v1
	v_add_nc_u32_e32 v12, 16, v2
	v_or_b32_e32 v61, 0x4000, v3
	v_add_nc_u32_e32 v62, v60, v3
	v_ashrrev_i32_e32 v3, 31, v2
	v_sub_co_u32 v4, vcc_lo, s29, v2
	v_add_nc_u32_e32 v63, v61, v60
	v_add_nc_u32_e32 v64, 0x100, v62
	v_lshlrev_b64 v[16:17], 4, v[2:3]
	v_add_nc_u32_e32 v65, 0x2000, v62
	v_add_nc_u32_e32 v66, 0x2100, v62
	;; [unrolled: 1-line block ×3, first 2 shown]
	s_waitcnt lgkmcnt(0)
	s_mul_i32 s1, s47, s8
	s_mul_hi_u32 s2, s46, s8
	s_mul_i32 s0, s46, s8
	s_add_i32 s1, s2, s1
	s_mul_i32 s4, s39, s8
	s_lshl_b64 s[0:1], s[0:1], 4
	s_mul_hi_u32 s5, s38, s8
	s_add_u32 s2, s40, s0
	s_addc_u32 s3, s41, s1
	s_lshl_b64 s[0:1], s[42:43], 4
	v_add_nc_u32_e32 v68, 0x2000, v63
	s_add_u32 s46, s2, s0
	s_addc_u32 s47, s3, s1
	s_cmpk_eq_i32 s28, 0x84
	v_cmp_gt_i32_e64 s1, s29, v2
	s_cselect_b32 s48, -1, 0
	s_ashr_i32 s31, s30, 31
	s_ashr_i32 s0, s29, 31
	s_lshl_b64 s[34:35], s[20:21], 9
	s_lshl_b64 s[40:41], s[36:37], 9
	s_add_u32 s42, s30, -16
	s_addc_u32 s43, s31, -1
	s_lshl_b32 s3, s7, 5
	s_lshl_b32 s49, s33, 5
	s_add_u32 s28, s24, 0x100
	v_cmp_gt_i32_e64 s2, s29, v12
	s_addc_u32 s29, s25, 0
	s_add_i32 s5, s5, s4
	s_mul_i32 s4, s38, s8
	s_lshl_b64 s[38:39], s[26:27], 4
	s_lshl_b64 s[4:5], s[4:5], 4
	;; [unrolled: 1-line block ×3, first 2 shown]
	s_add_u32 s6, s4, s38
	s_addc_u32 s10, s5, s39
	s_mul_i32 s4, s23, s8
	s_mul_hi_u32 s5, s22, s8
	v_sub_co_ci_u32_e64 v5, null, s0, v3, vcc_lo
	s_add_i32 s5, s5, s4
	s_mul_i32 s4, s22, s8
	v_add_nc_u32_e32 v14, s3, v0
	v_add_nc_u32_e32 v18, s3, v1
	s_lshl_b64 s[4:5], s[4:5], 4
	s_lshl_b64 s[8:9], s[18:19], 4
	v_add_co_u32 v20, s3, s6, v16
	v_add_co_ci_u32_e64 v21, null, s10, v17, s3
	s_add_u32 s3, s4, s8
	v_cmp_gt_i64_e64 s0, 17, v[4:5]
	s_addc_u32 s4, s5, s9
	v_add_nc_u32_e32 v69, 0x2100, v63
	v_ashrrev_i32_e32 v13, 31, v12
	s_add_u32 s16, s16, s3
	v_mov_b32_e32 v2, 0
	v_mov_b32_e32 v3, 0x3ff00000
	s_addc_u32 s17, s17, s4
	s_add_u32 s18, s16, 0x100
	s_addc_u32 s19, s17, 0
	s_lshl_b64 s[22:23], s[20:21], 4
	v_cmp_gt_i64_e32 vcc_lo, 1, v[4:5]
	s_branch .LBB126_4
.LBB126_3:                              ;   in Loop: Header=BB126_4 Depth=1
	s_or_b32 exec_lo, exec_lo, s4
	v_add_nc_u32_e32 v14, s49, v14
	v_add_nc_u32_e32 v18, s49, v18
	s_add_i32 s7, s33, s7
	s_cmp_le_i32 s7, s11
	s_cbranch_scc0 .LBB126_64
.LBB126_4:                              ; =>This Loop Header: Depth=1
                                        ;     Child Loop BB126_7 Depth 2
	s_lshl_b32 s3, s7, 5
	v_ashrrev_i32_e32 v15, 31, v14
	v_add_nc_u32_e32 v22, s3, v1
	v_ashrrev_i32_e32 v19, 31, v18
	s_sub_i32 s50, s30, s3
	s_cmp_lt_i32 s50, 1
	v_ashrrev_i32_e32 v23, 31, v22
	s_cbranch_scc1 .LBB126_55
; %bb.5:                                ;   in Loop: Header=BB126_4 Depth=1
	v_lshlrev_b64 v[4:5], 4, v[14:15]
	v_lshlrev_b64 v[28:29], 4, v[18:19]
	v_sub_co_u32 v24, s3, v18, v14
	v_sub_co_ci_u32_e64 v25, null, v19, v15, s3
	v_add_co_u32 v4, s3, 0x100, v4
	v_add_co_ci_u32_e64 v5, null, 0, v5, s3
	v_add_co_u32 v9, s3, 0x100, v28
	v_add_co_ci_u32_e64 v10, null, 0, v29, s3
	v_mad_u64_u32 v[26:27], null, s26, v18, s[28:29]
	v_mul_lo_u32 v0, s26, v19
	v_mul_lo_u32 v6, s27, v18
	v_mad_u64_u32 v[30:31], null, s22, v14, s[18:19]
	v_mul_lo_u32 v7, s22, v15
	v_mul_lo_u32 v8, s23, v14
	;; [unrolled: 1-line block ×4, first 2 shown]
	v_mad_u64_u32 v[32:33], null, s20, v4, s[16:17]
	v_mul_lo_u32 v4, s36, v10
	v_mul_lo_u32 v10, s37, v9
	v_mad_u64_u32 v[34:35], null, s36, v9, s[24:25]
	v_add_co_u32 v36, s3, v22, 16
	v_add_co_ci_u32_e64 v37, null, 0, v23, s3
	v_add_co_u32 v38, s5, v24, 16
	v_add_co_ci_u32_e64 v39, null, 0, v25, s5
	v_add_co_u32 v40, s5, v24, -16
	v_cmp_le_i64_e64 s4, s[30:31], v[36:37]
	v_mov_b32_e32 v56, 0
	v_mov_b32_e32 v58, 0
	;; [unrolled: 1-line block ×9, first 2 shown]
	v_add3_u32 v27, v6, v27, v0
	v_add3_u32 v31, v8, v31, v7
	;; [unrolled: 1-line block ×4, first 2 shown]
	v_cmp_le_i32_e64 s3, s30, v22
	v_add_co_ci_u32_e64 v41, null, -1, v25, s5
	v_mov_b32_e32 v57, 0
	v_mov_b32_e32 v59, 0
	;; [unrolled: 1-line block ×9, first 2 shown]
	s_mov_b64 s[38:39], 0
	s_branch .LBB126_7
.LBB126_6:                              ;   in Loop: Header=BB126_7 Depth=2
	s_or_b32 exec_lo, exec_lo, s5
	s_waitcnt lgkmcnt(0)
	s_barrier
	buffer_gl0_inv
	ds_read_b128 v[70:73], v60
	ds_read_b128 v[74:77], v60 offset:16
	ds_read_b128 v[8:11], v60 offset:32
	;; [unrolled: 1-line block ×3, first 2 shown]
	ds_read_b128 v[78:81], v61
	v_add_co_u32 v42, s5, v42, s40
	v_add_co_ci_u32_e64 v43, null, s41, v43, s5
	v_add_co_u32 v30, s5, v30, s34
	v_add_co_ci_u32_e64 v31, null, s35, v31, s5
	;; [unrolled: 2-line block ×3, first 2 shown]
	s_add_u32 s38, s38, 32
	s_addc_u32 s39, s39, 0
	s_cmp_ge_i32 s38, s50
	s_waitcnt lgkmcnt(0)
	v_mul_f64 v[82:83], v[72:73], v[80:81]
	v_mul_f64 v[84:85], v[70:71], v[80:81]
	v_fma_f64 v[82:83], v[70:71], v[78:79], -v[82:83]
	v_fma_f64 v[84:85], v[72:73], v[78:79], v[84:85]
	v_add_f64 v[82:83], v[52:53], v[82:83]
	v_add_f64 v[84:85], v[84:85], v[54:55]
	ds_read_b128 v[52:55], v61 offset:256
	s_waitcnt lgkmcnt(0)
	v_mul_f64 v[86:87], v[72:73], v[54:55]
	v_fma_f64 v[86:87], v[70:71], v[52:53], -v[86:87]
	v_mul_f64 v[70:71], v[70:71], v[54:55]
	v_fma_f64 v[70:71], v[72:73], v[52:53], v[70:71]
	v_add_f64 v[72:73], v[44:45], v[86:87]
	v_add_f64 v[70:71], v[70:71], v[46:47]
	ds_read_b128 v[44:47], v60 offset:8192
	s_waitcnt lgkmcnt(0)
	v_mul_f64 v[86:87], v[46:47], v[80:81]
	v_mul_f64 v[80:81], v[44:45], v[80:81]
	v_fma_f64 v[86:87], v[44:45], v[78:79], -v[86:87]
	v_fma_f64 v[78:79], v[46:47], v[78:79], v[80:81]
	v_add_f64 v[80:81], v[48:49], v[86:87]
	v_mul_f64 v[48:49], v[46:47], v[54:55]
	v_add_f64 v[78:79], v[78:79], v[50:51]
	v_fma_f64 v[48:49], v[44:45], v[52:53], -v[48:49]
	v_mul_f64 v[44:45], v[44:45], v[54:55]
	v_add_f64 v[58:59], v[58:59], v[48:49]
	v_fma_f64 v[44:45], v[46:47], v[52:53], v[44:45]
	v_add_f64 v[56:57], v[44:45], v[56:57]
	ds_read_b128 v[44:47], v61 offset:512
	s_waitcnt lgkmcnt(0)
	v_mul_f64 v[48:49], v[76:77], v[46:47]
	v_mul_f64 v[50:51], v[74:75], v[46:47]
	v_fma_f64 v[48:49], v[74:75], v[44:45], -v[48:49]
	v_fma_f64 v[50:51], v[76:77], v[44:45], v[50:51]
	v_add_f64 v[82:83], v[82:83], v[48:49]
	v_add_f64 v[84:85], v[50:51], v[84:85]
	ds_read_b128 v[48:51], v61 offset:768
	s_waitcnt lgkmcnt(0)
	v_mul_f64 v[52:53], v[76:77], v[50:51]
	v_mul_f64 v[54:55], v[74:75], v[50:51]
	v_fma_f64 v[52:53], v[74:75], v[48:49], -v[52:53]
	v_fma_f64 v[54:55], v[76:77], v[48:49], v[54:55]
	v_add_f64 v[72:73], v[72:73], v[52:53]
	v_add_f64 v[70:71], v[54:55], v[70:71]
	ds_read_b128 v[52:55], v60 offset:8208
	s_waitcnt lgkmcnt(0)
	v_mul_f64 v[74:75], v[54:55], v[46:47]
	v_mul_f64 v[46:47], v[52:53], v[46:47]
	v_fma_f64 v[74:75], v[52:53], v[44:45], -v[74:75]
	v_fma_f64 v[44:45], v[54:55], v[44:45], v[46:47]
	v_mul_f64 v[46:47], v[52:53], v[50:51]
	v_add_f64 v[74:75], v[80:81], v[74:75]
	v_add_f64 v[76:77], v[44:45], v[78:79]
	v_mul_f64 v[44:45], v[54:55], v[50:51]
	v_fma_f64 v[46:47], v[54:55], v[48:49], v[46:47]
	v_fma_f64 v[44:45], v[52:53], v[48:49], -v[44:45]
	v_add_f64 v[54:55], v[46:47], v[56:57]
	v_add_f64 v[52:53], v[58:59], v[44:45]
	ds_read_b128 v[44:47], v61 offset:1024
	s_waitcnt lgkmcnt(0)
	v_mul_f64 v[48:49], v[10:11], v[46:47]
	v_mul_f64 v[50:51], v[8:9], v[46:47]
	v_fma_f64 v[48:49], v[8:9], v[44:45], -v[48:49]
	v_fma_f64 v[50:51], v[10:11], v[44:45], v[50:51]
	v_add_f64 v[56:57], v[82:83], v[48:49]
	v_add_f64 v[58:59], v[50:51], v[84:85]
	ds_read_b128 v[48:51], v61 offset:1280
	s_waitcnt lgkmcnt(0)
	v_mul_f64 v[78:79], v[10:11], v[50:51]
	v_fma_f64 v[78:79], v[8:9], v[48:49], -v[78:79]
	v_mul_f64 v[8:9], v[8:9], v[50:51]
	v_add_f64 v[72:73], v[72:73], v[78:79]
	v_fma_f64 v[8:9], v[10:11], v[48:49], v[8:9]
	v_add_f64 v[70:71], v[8:9], v[70:71]
	ds_read_b128 v[8:11], v60 offset:8224
	s_waitcnt lgkmcnt(0)
	v_mul_f64 v[78:79], v[10:11], v[46:47]
	v_mul_f64 v[46:47], v[8:9], v[46:47]
	v_fma_f64 v[78:79], v[8:9], v[44:45], -v[78:79]
	v_fma_f64 v[44:45], v[10:11], v[44:45], v[46:47]
	v_add_f64 v[74:75], v[74:75], v[78:79]
	v_add_f64 v[76:77], v[44:45], v[76:77]
	v_mul_f64 v[44:45], v[10:11], v[50:51]
	v_fma_f64 v[44:45], v[8:9], v[48:49], -v[44:45]
	v_mul_f64 v[8:9], v[8:9], v[50:51]
	v_fma_f64 v[8:9], v[10:11], v[48:49], v[8:9]
	v_add_f64 v[48:49], v[52:53], v[44:45]
	v_add_f64 v[50:51], v[8:9], v[54:55]
	ds_read_b128 v[8:11], v61 offset:1536
	s_waitcnt lgkmcnt(0)
	v_mul_f64 v[44:45], v[6:7], v[10:11]
	v_mul_f64 v[46:47], v[4:5], v[10:11]
	v_fma_f64 v[44:45], v[4:5], v[8:9], -v[44:45]
	v_fma_f64 v[46:47], v[6:7], v[8:9], v[46:47]
	v_add_f64 v[52:53], v[56:57], v[44:45]
	v_add_f64 v[54:55], v[46:47], v[58:59]
	ds_read_b128 v[44:47], v61 offset:1792
	s_waitcnt lgkmcnt(0)
	v_mul_f64 v[56:57], v[6:7], v[46:47]
	v_fma_f64 v[56:57], v[4:5], v[44:45], -v[56:57]
	v_mul_f64 v[4:5], v[4:5], v[46:47]
	v_add_f64 v[56:57], v[72:73], v[56:57]
	v_fma_f64 v[4:5], v[6:7], v[44:45], v[4:5]
	v_add_f64 v[58:59], v[4:5], v[70:71]
	ds_read_b128 v[4:7], v60 offset:8240
	s_waitcnt lgkmcnt(0)
	v_mul_f64 v[70:71], v[6:7], v[10:11]
	v_mul_f64 v[10:11], v[4:5], v[10:11]
	v_fma_f64 v[70:71], v[4:5], v[8:9], -v[70:71]
	v_fma_f64 v[8:9], v[6:7], v[8:9], v[10:11]
	v_add_f64 v[70:71], v[74:75], v[70:71]
	v_add_f64 v[72:73], v[8:9], v[76:77]
	v_mul_f64 v[8:9], v[6:7], v[46:47]
	v_fma_f64 v[8:9], v[4:5], v[44:45], -v[8:9]
	v_mul_f64 v[4:5], v[4:5], v[46:47]
	v_add_f64 v[48:49], v[48:49], v[8:9]
	v_fma_f64 v[4:5], v[6:7], v[44:45], v[4:5]
	v_add_f64 v[50:51], v[4:5], v[50:51]
	ds_read_b128 v[4:7], v60 offset:64
	ds_read_b128 v[8:11], v61 offset:2048
	s_waitcnt lgkmcnt(0)
	v_mul_f64 v[44:45], v[6:7], v[10:11]
	v_mul_f64 v[46:47], v[4:5], v[10:11]
	v_fma_f64 v[44:45], v[4:5], v[8:9], -v[44:45]
	v_fma_f64 v[46:47], v[6:7], v[8:9], v[46:47]
	v_add_f64 v[52:53], v[52:53], v[44:45]
	v_add_f64 v[54:55], v[46:47], v[54:55]
	ds_read_b128 v[44:47], v61 offset:2304
	s_waitcnt lgkmcnt(0)
	v_mul_f64 v[74:75], v[6:7], v[46:47]
	v_fma_f64 v[74:75], v[4:5], v[44:45], -v[74:75]
	v_mul_f64 v[4:5], v[4:5], v[46:47]
	v_add_f64 v[56:57], v[56:57], v[74:75]
	v_fma_f64 v[4:5], v[6:7], v[44:45], v[4:5]
	v_add_f64 v[58:59], v[4:5], v[58:59]
	ds_read_b128 v[4:7], v60 offset:8256
	s_waitcnt lgkmcnt(0)
	v_mul_f64 v[74:75], v[6:7], v[10:11]
	v_mul_f64 v[10:11], v[4:5], v[10:11]
	v_fma_f64 v[74:75], v[4:5], v[8:9], -v[74:75]
	v_fma_f64 v[8:9], v[6:7], v[8:9], v[10:11]
	v_add_f64 v[70:71], v[70:71], v[74:75]
	v_add_f64 v[72:73], v[8:9], v[72:73]
	v_mul_f64 v[8:9], v[6:7], v[46:47]
	v_fma_f64 v[8:9], v[4:5], v[44:45], -v[8:9]
	v_mul_f64 v[4:5], v[4:5], v[46:47]
	v_add_f64 v[48:49], v[48:49], v[8:9]
	v_fma_f64 v[4:5], v[6:7], v[44:45], v[4:5]
	v_add_f64 v[50:51], v[4:5], v[50:51]
	ds_read_b128 v[4:7], v60 offset:80
	;; [unrolled: 31-line block ×27, first 2 shown]
	ds_read_b128 v[8:11], v61 offset:15360
	s_waitcnt lgkmcnt(0)
	v_mul_f64 v[44:45], v[6:7], v[10:11]
	v_mul_f64 v[46:47], v[4:5], v[10:11]
	v_fma_f64 v[44:45], v[4:5], v[8:9], -v[44:45]
	v_fma_f64 v[46:47], v[6:7], v[8:9], v[46:47]
	v_add_f64 v[52:53], v[52:53], v[44:45]
	v_add_f64 v[54:55], v[46:47], v[54:55]
	ds_read_b128 v[44:47], v61 offset:15616
	s_waitcnt lgkmcnt(0)
	v_mul_f64 v[74:75], v[6:7], v[46:47]
	v_fma_f64 v[74:75], v[4:5], v[44:45], -v[74:75]
	v_mul_f64 v[4:5], v[4:5], v[46:47]
	v_add_f64 v[74:75], v[56:57], v[74:75]
	v_fma_f64 v[4:5], v[6:7], v[44:45], v[4:5]
	v_add_f64 v[76:77], v[4:5], v[58:59]
	ds_read_b128 v[4:7], v60 offset:8672
	s_waitcnt lgkmcnt(0)
	v_mul_f64 v[56:57], v[6:7], v[10:11]
	v_mul_f64 v[10:11], v[4:5], v[10:11]
	v_fma_f64 v[56:57], v[4:5], v[8:9], -v[56:57]
	v_fma_f64 v[8:9], v[6:7], v[8:9], v[10:11]
	v_add_f64 v[78:79], v[70:71], v[56:57]
	v_add_f64 v[80:81], v[8:9], v[72:73]
	v_mul_f64 v[8:9], v[6:7], v[46:47]
	v_fma_f64 v[8:9], v[4:5], v[44:45], -v[8:9]
	v_mul_f64 v[4:5], v[4:5], v[46:47]
	v_fma_f64 v[6:7], v[6:7], v[44:45], v[4:5]
	v_add_f64 v[4:5], v[48:49], v[8:9]
	v_add_f64 v[6:7], v[6:7], v[50:51]
	ds_read_b128 v[8:11], v60 offset:496
	ds_read_b128 v[48:51], v61 offset:15872
	;; [unrolled: 1-line block ×4, first 2 shown]
	s_waitcnt lgkmcnt(0)
	s_barrier
	buffer_gl0_inv
	v_mul_f64 v[44:45], v[10:11], v[50:51]
	v_mul_f64 v[46:47], v[8:9], v[50:51]
	v_fma_f64 v[44:45], v[8:9], v[48:49], -v[44:45]
	v_fma_f64 v[46:47], v[10:11], v[48:49], v[46:47]
	v_add_f64 v[52:53], v[52:53], v[44:45]
	v_mul_f64 v[44:45], v[10:11], v[58:59]
	v_add_f64 v[54:55], v[46:47], v[54:55]
	v_fma_f64 v[44:45], v[8:9], v[56:57], -v[44:45]
	v_mul_f64 v[8:9], v[8:9], v[58:59]
	v_add_f64 v[44:45], v[74:75], v[44:45]
	v_fma_f64 v[8:9], v[10:11], v[56:57], v[8:9]
	v_mul_f64 v[10:11], v[70:71], v[50:51]
	v_add_f64 v[46:47], v[8:9], v[76:77]
	v_mul_f64 v[8:9], v[72:73], v[50:51]
	v_fma_f64 v[10:11], v[72:73], v[48:49], v[10:11]
	v_fma_f64 v[8:9], v[70:71], v[48:49], -v[8:9]
	v_add_f64 v[50:51], v[10:11], v[80:81]
	v_mul_f64 v[10:11], v[70:71], v[58:59]
	v_add_f64 v[48:49], v[78:79], v[8:9]
	v_mul_f64 v[8:9], v[72:73], v[58:59]
	v_fma_f64 v[10:11], v[72:73], v[56:57], v[10:11]
	v_fma_f64 v[8:9], v[70:71], v[56:57], -v[8:9]
	v_add_f64 v[56:57], v[10:11], v[6:7]
	v_add_f64 v[58:59], v[4:5], v[8:9]
	s_cbranch_scc1 .LBB126_56
.LBB126_7:                              ;   Parent Loop BB126_4 Depth=1
                                        ; =>  This Inner Loop Header: Depth=2
	v_add_co_u32 v6, s5, v14, s38
	v_add_co_ci_u32_e64 v7, null, s39, v15, s5
	v_cmp_eq_u64_e64 s8, s[38:39], v[24:25]
	v_add_co_u32 v8, s9, v30, v28
	v_cmp_lt_i64_e64 s5, v[6:7], v[22:23]
	v_cmp_le_i64_e64 s6, s[30:31], v[6:7]
	v_add_co_ci_u32_e64 v9, null, v31, v29, s9
	s_and_b32 s52, s48, s8
	s_or_b32 s9, s3, s5
	s_or_b32 s8, s6, s9
	s_nor_b32 s8, s8, s52
	s_and_saveexec_b32 s9, s8
	s_xor_b32 s8, exec_lo, s9
	s_cbranch_execz .LBB126_9
; %bb.8:                                ;   in Loop: Header=BB126_7 Depth=2
	global_load_dwordx4 v[70:73], v[8:9], off offset:-256
	s_waitcnt vmcnt(0)
	ds_write2_b64 v62, v[70:71], v[72:73] offset1:1
.LBB126_9:                              ;   in Loop: Header=BB126_7 Depth=2
	s_or_saveexec_b32 s8, s8
	s_xor_b32 s51, s52, -1
	s_xor_b32 exec_lo, exec_lo, s8
	s_cbranch_execz .LBB126_15
; %bb.10:                               ;   in Loop: Header=BB126_7 Depth=2
	s_and_saveexec_b32 s9, s51
	s_xor_b32 s9, exec_lo, s9
	s_cbranch_execz .LBB126_12
; %bb.11:                               ;   in Loop: Header=BB126_7 Depth=2
	v_mov_b32_e32 v70, v2
	v_mov_b32_e32 v71, v2
	v_mov_b32_e32 v72, v2
	v_mov_b32_e32 v73, v2
	ds_write_b128 v62, v[70:73]
.LBB126_12:                             ;   in Loop: Header=BB126_7 Depth=2
	s_andn2_saveexec_b32 s9, s9
; %bb.13:                               ;   in Loop: Header=BB126_7 Depth=2
	v_mov_b32_e32 v4, v2
	v_mov_b32_e32 v5, v2
	ds_write_b128 v62, v[2:5]
; %bb.14:                               ;   in Loop: Header=BB126_7 Depth=2
	s_or_b32 exec_lo, exec_lo, s9
.LBB126_15:                             ;   in Loop: Header=BB126_7 Depth=2
	s_or_b32 exec_lo, exec_lo, s8
	v_add_co_u32 v4, s8, v6, 16
	v_add_co_ci_u32_e64 v5, null, 0, v7, s8
	v_cmp_eq_u64_e64 s10, s[38:39], v[40:41]
	v_cmp_lt_i64_e64 s9, v[4:5], v[22:23]
	v_cmp_le_i64_e64 s8, s[30:31], v[4:5]
	s_and_b32 s10, s48, s10
	s_or_b32 s9, s3, s9
	s_or_b32 s9, s8, s9
	s_nor_b32 s9, s9, s10
	s_and_saveexec_b32 s53, s9
	s_xor_b32 s53, exec_lo, s53
	s_cbranch_execz .LBB126_17
; %bb.16:                               ;   in Loop: Header=BB126_7 Depth=2
	v_add_co_u32 v4, s9, v32, v28
	v_add_co_ci_u32_e64 v5, null, v33, v29, s9
	global_load_dwordx4 v[70:73], v[4:5], off
	s_waitcnt vmcnt(0)
	ds_write2_b64 v64, v[70:71], v[72:73] offset1:1
.LBB126_17:                             ;   in Loop: Header=BB126_7 Depth=2
	s_andn2_saveexec_b32 s9, s53
	s_cbranch_execz .LBB126_23
; %bb.18:                               ;   in Loop: Header=BB126_7 Depth=2
	s_xor_b32 s10, s10, -1
	s_and_saveexec_b32 s53, s10
	s_xor_b32 s10, exec_lo, s53
	s_cbranch_execz .LBB126_20
; %bb.19:                               ;   in Loop: Header=BB126_7 Depth=2
	v_mov_b32_e32 v70, v2
	v_mov_b32_e32 v71, v2
	;; [unrolled: 1-line block ×4, first 2 shown]
	ds_write_b128 v62, v[70:73] offset:256
.LBB126_20:                             ;   in Loop: Header=BB126_7 Depth=2
	s_andn2_saveexec_b32 s10, s10
; %bb.21:                               ;   in Loop: Header=BB126_7 Depth=2
	v_mov_b32_e32 v4, v2
	v_mov_b32_e32 v5, v2
	ds_write_b128 v62, v[2:5] offset:256
; %bb.22:                               ;   in Loop: Header=BB126_7 Depth=2
	s_or_b32 exec_lo, exec_lo, s10
.LBB126_23:                             ;   in Loop: Header=BB126_7 Depth=2
	s_or_b32 exec_lo, exec_lo, s9
	v_cmp_eq_u64_e64 s9, s[38:39], v[38:39]
	v_cmp_lt_i64_e64 s10, v[6:7], v[36:37]
	s_and_b32 s9, s48, s9
	s_or_b32 s10, s4, s10
	s_or_b32 s10, s10, s9
	s_nor_b32 s6, s6, s10
	s_and_saveexec_b32 s10, s6
	s_xor_b32 s6, exec_lo, s10
	s_cbranch_execz .LBB126_25
; %bb.24:                               ;   in Loop: Header=BB126_7 Depth=2
	global_load_dwordx4 v[4:7], v[8:9], off
	s_waitcnt vmcnt(0)
	ds_write2_b64 v65, v[4:5], v[6:7] offset1:1
.LBB126_25:                             ;   in Loop: Header=BB126_7 Depth=2
	s_andn2_saveexec_b32 s6, s6
	s_cbranch_execz .LBB126_31
; %bb.26:                               ;   in Loop: Header=BB126_7 Depth=2
	s_xor_b32 s9, s9, -1
	s_and_saveexec_b32 s10, s9
	s_xor_b32 s9, exec_lo, s10
	s_cbranch_execz .LBB126_28
; %bb.27:                               ;   in Loop: Header=BB126_7 Depth=2
	v_mov_b32_e32 v4, v2
	v_mov_b32_e32 v5, v2
	;; [unrolled: 1-line block ×4, first 2 shown]
	ds_write_b128 v62, v[4:7] offset:8192
.LBB126_28:                             ;   in Loop: Header=BB126_7 Depth=2
	s_andn2_saveexec_b32 s9, s9
; %bb.29:                               ;   in Loop: Header=BB126_7 Depth=2
	v_mov_b32_e32 v4, v2
	v_mov_b32_e32 v5, v2
	ds_write_b128 v62, v[2:5] offset:8192
; %bb.30:                               ;   in Loop: Header=BB126_7 Depth=2
	s_or_b32 exec_lo, exec_lo, s9
.LBB126_31:                             ;   in Loop: Header=BB126_7 Depth=2
	s_or_b32 exec_lo, exec_lo, s6
	s_or_b32 s5, s4, s5
	s_or_b32 s5, s8, s5
	s_nor_b32 s5, s5, s52
	s_and_saveexec_b32 s6, s5
	s_xor_b32 s6, exec_lo, s6
	s_cbranch_execz .LBB126_33
; %bb.32:                               ;   in Loop: Header=BB126_7 Depth=2
	v_add_co_u32 v4, s5, v32, v28
	v_add_co_ci_u32_e64 v5, null, v33, v29, s5
	global_load_dwordx4 v[4:7], v[4:5], off offset:256
	s_waitcnt vmcnt(0)
	ds_write2_b64 v66, v[4:5], v[6:7] offset1:1
.LBB126_33:                             ;   in Loop: Header=BB126_7 Depth=2
	s_andn2_saveexec_b32 s5, s6
	s_cbranch_execz .LBB126_39
; %bb.34:                               ;   in Loop: Header=BB126_7 Depth=2
	s_and_saveexec_b32 s6, s51
	s_xor_b32 s6, exec_lo, s6
	s_cbranch_execz .LBB126_36
; %bb.35:                               ;   in Loop: Header=BB126_7 Depth=2
	v_mov_b32_e32 v4, v2
	v_mov_b32_e32 v5, v2
	;; [unrolled: 1-line block ×4, first 2 shown]
	ds_write_b128 v62, v[4:7] offset:8448
.LBB126_36:                             ;   in Loop: Header=BB126_7 Depth=2
	s_andn2_saveexec_b32 s6, s6
; %bb.37:                               ;   in Loop: Header=BB126_7 Depth=2
	v_mov_b32_e32 v4, v2
	v_mov_b32_e32 v5, v2
	ds_write_b128 v62, v[2:5] offset:8448
; %bb.38:                               ;   in Loop: Header=BB126_7 Depth=2
	s_or_b32 exec_lo, exec_lo, s6
.LBB126_39:                             ;   in Loop: Header=BB126_7 Depth=2
	s_or_b32 exec_lo, exec_lo, s5
	v_add_co_u32 v4, s5, v18, s38
	v_add_co_ci_u32_e64 v5, null, s39, v19, s5
	v_add_co_u32 v6, s6, v26, v42
	v_add_co_ci_u32_e64 v7, null, v27, v43, s6
	v_cmp_le_i64_e64 s5, s[30:31], v[4:5]
	s_nor_b32 s6, s5, vcc_lo
	s_and_saveexec_b32 s8, s6
	s_xor_b32 s6, exec_lo, s8
	s_cbranch_execz .LBB126_41
; %bb.40:                               ;   in Loop: Header=BB126_7 Depth=2
	global_load_dwordx4 v[8:11], v[6:7], off offset:-256
	s_waitcnt vmcnt(0)
	ds_write2_b64 v63, v[8:9], v[10:11] offset1:1
.LBB126_41:                             ;   in Loop: Header=BB126_7 Depth=2
	s_andn2_saveexec_b32 s6, s6
	s_cbranch_execz .LBB126_43
; %bb.42:                               ;   in Loop: Header=BB126_7 Depth=2
	v_mov_b32_e32 v8, v2
	v_mov_b32_e32 v9, v2
	;; [unrolled: 1-line block ×4, first 2 shown]
	ds_write_b128 v63, v[8:11]
.LBB126_43:                             ;   in Loop: Header=BB126_7 Depth=2
	s_or_b32 exec_lo, exec_lo, s6
	s_nor_b32 s5, s5, s0
	s_and_saveexec_b32 s6, s5
	s_xor_b32 s5, exec_lo, s6
	s_cbranch_execz .LBB126_45
; %bb.44:                               ;   in Loop: Header=BB126_7 Depth=2
	global_load_dwordx4 v[6:9], v[6:7], off
	s_waitcnt vmcnt(0)
	ds_write2_b64 v67, v[6:7], v[8:9] offset1:1
.LBB126_45:                             ;   in Loop: Header=BB126_7 Depth=2
	s_andn2_saveexec_b32 s5, s5
	s_cbranch_execz .LBB126_47
; %bb.46:                               ;   in Loop: Header=BB126_7 Depth=2
	v_mov_b32_e32 v6, v2
	v_mov_b32_e32 v7, v2
	;; [unrolled: 1-line block ×4, first 2 shown]
	ds_write_b128 v63, v[6:9] offset:256
.LBB126_47:                             ;   in Loop: Header=BB126_7 Depth=2
	s_or_b32 exec_lo, exec_lo, s5
	v_cmp_le_i64_e64 s5, s[42:43], v[4:5]
	v_add_co_u32 v4, s6, v34, v42
	v_add_co_ci_u32_e64 v5, null, v35, v43, s6
	s_nor_b32 s6, s5, vcc_lo
	s_and_saveexec_b32 s8, s6
	s_xor_b32 s6, exec_lo, s8
	s_cbranch_execz .LBB126_49
; %bb.48:                               ;   in Loop: Header=BB126_7 Depth=2
	global_load_dwordx4 v[6:9], v[4:5], off
	s_waitcnt vmcnt(0)
	ds_write2_b64 v68, v[6:7], v[8:9] offset1:1
.LBB126_49:                             ;   in Loop: Header=BB126_7 Depth=2
	s_andn2_saveexec_b32 s6, s6
	s_cbranch_execz .LBB126_51
; %bb.50:                               ;   in Loop: Header=BB126_7 Depth=2
	v_mov_b32_e32 v6, v2
	v_mov_b32_e32 v7, v2
	;; [unrolled: 1-line block ×4, first 2 shown]
	ds_write_b128 v63, v[6:9] offset:8192
.LBB126_51:                             ;   in Loop: Header=BB126_7 Depth=2
	s_or_b32 exec_lo, exec_lo, s6
	s_nor_b32 s5, s5, s0
	s_and_saveexec_b32 s6, s5
	s_xor_b32 s5, exec_lo, s6
	s_cbranch_execz .LBB126_53
; %bb.52:                               ;   in Loop: Header=BB126_7 Depth=2
	global_load_dwordx4 v[4:7], v[4:5], off offset:256
	s_waitcnt vmcnt(0)
	ds_write2_b64 v69, v[4:5], v[6:7] offset1:1
.LBB126_53:                             ;   in Loop: Header=BB126_7 Depth=2
	s_andn2_saveexec_b32 s5, s5
	s_cbranch_execz .LBB126_6
; %bb.54:                               ;   in Loop: Header=BB126_7 Depth=2
	v_mov_b32_e32 v4, v2
	v_mov_b32_e32 v5, v2
	;; [unrolled: 1-line block ×4, first 2 shown]
	ds_write_b128 v63, v[4:7] offset:8448
	s_branch .LBB126_6
.LBB126_55:                             ;   in Loop: Header=BB126_4 Depth=1
	v_mov_b32_e32 v52, 0
	v_mov_b32_e32 v54, 0
	;; [unrolled: 1-line block ×16, first 2 shown]
.LBB126_56:                             ;   in Loop: Header=BB126_4 Depth=1
	v_mul_lo_u32 v0, s45, v22
	v_mul_lo_u32 v6, s44, v23
	v_mad_u64_u32 v[4:5], null, s44, v22, 0
	v_cmp_gt_i32_e64 s3, s30, v22
	v_add3_u32 v5, v5, v6, v0
	v_lshlrev_b64 v[4:5], 4, v[4:5]
	v_add_co_u32 v0, s4, s46, v4
	v_add_co_ci_u32_e64 v4, null, s47, v5, s4
	s_and_b32 s4, s1, s3
	s_and_saveexec_b32 s5, s4
	s_cbranch_execz .LBB126_58
; %bb.57:                               ;   in Loop: Header=BB126_4 Depth=1
	v_add_co_u32 v9, s4, v0, v16
	v_add_co_ci_u32_e64 v10, null, v4, v17, s4
	v_mul_f64 v[23:24], s[14:15], v[54:55]
	v_mul_f64 v[25:26], s[12:13], v[54:55]
	global_load_dwordx4 v[5:8], v[9:10], off
	v_fma_f64 v[23:24], s[12:13], v[52:53], -v[23:24]
	v_fma_f64 v[25:26], s[14:15], v[52:53], v[25:26]
	s_waitcnt vmcnt(0)
	v_add_f64 v[5:6], v[5:6], v[23:24]
	v_add_f64 v[7:8], v[25:26], v[7:8]
	global_store_dwordx4 v[9:10], v[5:8], off
.LBB126_58:                             ;   in Loop: Header=BB126_4 Depth=1
	s_or_b32 exec_lo, exec_lo, s5
	s_and_b32 s3, s2, s3
	s_and_saveexec_b32 s4, s3
	s_cbranch_execz .LBB126_60
; %bb.59:                               ;   in Loop: Header=BB126_4 Depth=1
	v_lshlrev_b64 v[5:6], 4, v[12:13]
	v_mul_f64 v[10:11], s[14:15], v[46:47]
	v_mul_f64 v[23:24], s[12:13], v[46:47]
	v_add_co_u32 v8, s3, v0, v5
	v_add_co_ci_u32_e64 v9, null, v4, v6, s3
	global_load_dwordx4 v[4:7], v[8:9], off
	v_fma_f64 v[10:11], s[12:13], v[44:45], -v[10:11]
	v_fma_f64 v[23:24], s[14:15], v[44:45], v[23:24]
	s_waitcnt vmcnt(0)
	v_add_f64 v[4:5], v[4:5], v[10:11]
	v_add_f64 v[6:7], v[23:24], v[6:7]
	global_store_dwordx4 v[8:9], v[4:7], off
.LBB126_60:                             ;   in Loop: Header=BB126_4 Depth=1
	s_or_b32 exec_lo, exec_lo, s4
	v_add_nc_u32_e32 v0, 16, v22
	v_ashrrev_i32_e32 v6, 31, v0
	v_mul_lo_u32 v7, s45, v0
	v_mad_u64_u32 v[4:5], null, s44, v0, 0
	v_cmp_gt_i32_e64 s3, s30, v0
	v_mul_lo_u32 v6, s44, v6
	v_add3_u32 v5, v5, v6, v7
	v_lshlrev_b64 v[4:5], 4, v[4:5]
	v_add_co_u32 v0, s4, s46, v4
	v_add_co_ci_u32_e64 v4, null, s47, v5, s4
	s_and_b32 s4, s1, s3
	s_and_saveexec_b32 s5, s4
	s_cbranch_execz .LBB126_62
; %bb.61:                               ;   in Loop: Header=BB126_4 Depth=1
	v_add_co_u32 v9, s4, v0, v16
	v_add_co_ci_u32_e64 v10, null, v4, v17, s4
	v_mul_f64 v[22:23], s[14:15], v[50:51]
	v_mul_f64 v[24:25], s[12:13], v[50:51]
	global_load_dwordx4 v[5:8], v[9:10], off
	v_fma_f64 v[22:23], s[12:13], v[48:49], -v[22:23]
	v_fma_f64 v[24:25], s[14:15], v[48:49], v[24:25]
	s_waitcnt vmcnt(0)
	v_add_f64 v[5:6], v[5:6], v[22:23]
	v_add_f64 v[7:8], v[24:25], v[7:8]
	global_store_dwordx4 v[9:10], v[5:8], off
.LBB126_62:                             ;   in Loop: Header=BB126_4 Depth=1
	s_or_b32 exec_lo, exec_lo, s5
	s_and_b32 s3, s2, s3
	s_and_saveexec_b32 s4, s3
	s_cbranch_execz .LBB126_3
; %bb.63:                               ;   in Loop: Header=BB126_4 Depth=1
	v_lshlrev_b64 v[5:6], 4, v[12:13]
	v_mul_f64 v[10:11], s[14:15], v[56:57]
	v_mul_f64 v[22:23], s[12:13], v[56:57]
	v_add_co_u32 v8, s3, v0, v5
	v_add_co_ci_u32_e64 v9, null, v4, v6, s3
	global_load_dwordx4 v[4:7], v[8:9], off
	v_fma_f64 v[10:11], s[12:13], v[58:59], -v[10:11]
	v_fma_f64 v[22:23], s[14:15], v[58:59], v[22:23]
	s_waitcnt vmcnt(0)
	v_add_f64 v[4:5], v[4:5], v[10:11]
	v_add_f64 v[6:7], v[22:23], v[6:7]
	global_store_dwordx4 v[8:9], v[4:7], off
	s_branch .LBB126_3
.LBB126_64:
	s_endpgm
	.section	.rodata,"a",@progbits
	.p2align	6, 0x0
	.amdhsa_kernel _ZL30rocblas_trmm_outofplace_kernelI19rocblas_complex_numIdELi32ELi2ELb0ELb1ELb1ELb0EPKS1_S2_S1_Ev17rocblas_diagonal_iiT6_lPT7_lllS7_lllPT8_llli
		.amdhsa_group_segment_fixed_size 32768
		.amdhsa_private_segment_fixed_size 0
		.amdhsa_kernarg_size 392
		.amdhsa_user_sgpr_count 6
		.amdhsa_user_sgpr_private_segment_buffer 1
		.amdhsa_user_sgpr_dispatch_ptr 0
		.amdhsa_user_sgpr_queue_ptr 0
		.amdhsa_user_sgpr_kernarg_segment_ptr 1
		.amdhsa_user_sgpr_dispatch_id 0
		.amdhsa_user_sgpr_flat_scratch_init 0
		.amdhsa_user_sgpr_private_segment_size 0
		.amdhsa_wavefront_size32 1
		.amdhsa_uses_dynamic_stack 0
		.amdhsa_system_sgpr_private_segment_wavefront_offset 0
		.amdhsa_system_sgpr_workgroup_id_x 1
		.amdhsa_system_sgpr_workgroup_id_y 1
		.amdhsa_system_sgpr_workgroup_id_z 1
		.amdhsa_system_sgpr_workgroup_info 0
		.amdhsa_system_vgpr_workitem_id 1
		.amdhsa_next_free_vgpr 88
		.amdhsa_next_free_sgpr 54
		.amdhsa_reserve_vcc 1
		.amdhsa_reserve_flat_scratch 0
		.amdhsa_float_round_mode_32 0
		.amdhsa_float_round_mode_16_64 0
		.amdhsa_float_denorm_mode_32 3
		.amdhsa_float_denorm_mode_16_64 3
		.amdhsa_dx10_clamp 1
		.amdhsa_ieee_mode 1
		.amdhsa_fp16_overflow 0
		.amdhsa_workgroup_processor_mode 1
		.amdhsa_memory_ordered 1
		.amdhsa_forward_progress 1
		.amdhsa_shared_vgpr_count 0
		.amdhsa_exception_fp_ieee_invalid_op 0
		.amdhsa_exception_fp_denorm_src 0
		.amdhsa_exception_fp_ieee_div_zero 0
		.amdhsa_exception_fp_ieee_overflow 0
		.amdhsa_exception_fp_ieee_underflow 0
		.amdhsa_exception_fp_ieee_inexact 0
		.amdhsa_exception_int_div_zero 0
	.end_amdhsa_kernel
	.section	.text._ZL30rocblas_trmm_outofplace_kernelI19rocblas_complex_numIdELi32ELi2ELb0ELb1ELb1ELb0EPKS1_S2_S1_Ev17rocblas_diagonal_iiT6_lPT7_lllS7_lllPT8_llli,"axG",@progbits,_ZL30rocblas_trmm_outofplace_kernelI19rocblas_complex_numIdELi32ELi2ELb0ELb1ELb1ELb0EPKS1_S2_S1_Ev17rocblas_diagonal_iiT6_lPT7_lllS7_lllPT8_llli,comdat
.Lfunc_end126:
	.size	_ZL30rocblas_trmm_outofplace_kernelI19rocblas_complex_numIdELi32ELi2ELb0ELb1ELb1ELb0EPKS1_S2_S1_Ev17rocblas_diagonal_iiT6_lPT7_lllS7_lllPT8_llli, .Lfunc_end126-_ZL30rocblas_trmm_outofplace_kernelI19rocblas_complex_numIdELi32ELi2ELb0ELb1ELb1ELb0EPKS1_S2_S1_Ev17rocblas_diagonal_iiT6_lPT7_lllS7_lllPT8_llli
                                        ; -- End function
	.set _ZL30rocblas_trmm_outofplace_kernelI19rocblas_complex_numIdELi32ELi2ELb0ELb1ELb1ELb0EPKS1_S2_S1_Ev17rocblas_diagonal_iiT6_lPT7_lllS7_lllPT8_llli.num_vgpr, 88
	.set _ZL30rocblas_trmm_outofplace_kernelI19rocblas_complex_numIdELi32ELi2ELb0ELb1ELb1ELb0EPKS1_S2_S1_Ev17rocblas_diagonal_iiT6_lPT7_lllS7_lllPT8_llli.num_agpr, 0
	.set _ZL30rocblas_trmm_outofplace_kernelI19rocblas_complex_numIdELi32ELi2ELb0ELb1ELb1ELb0EPKS1_S2_S1_Ev17rocblas_diagonal_iiT6_lPT7_lllS7_lllPT8_llli.numbered_sgpr, 54
	.set _ZL30rocblas_trmm_outofplace_kernelI19rocblas_complex_numIdELi32ELi2ELb0ELb1ELb1ELb0EPKS1_S2_S1_Ev17rocblas_diagonal_iiT6_lPT7_lllS7_lllPT8_llli.num_named_barrier, 0
	.set _ZL30rocblas_trmm_outofplace_kernelI19rocblas_complex_numIdELi32ELi2ELb0ELb1ELb1ELb0EPKS1_S2_S1_Ev17rocblas_diagonal_iiT6_lPT7_lllS7_lllPT8_llli.private_seg_size, 0
	.set _ZL30rocblas_trmm_outofplace_kernelI19rocblas_complex_numIdELi32ELi2ELb0ELb1ELb1ELb0EPKS1_S2_S1_Ev17rocblas_diagonal_iiT6_lPT7_lllS7_lllPT8_llli.uses_vcc, 1
	.set _ZL30rocblas_trmm_outofplace_kernelI19rocblas_complex_numIdELi32ELi2ELb0ELb1ELb1ELb0EPKS1_S2_S1_Ev17rocblas_diagonal_iiT6_lPT7_lllS7_lllPT8_llli.uses_flat_scratch, 0
	.set _ZL30rocblas_trmm_outofplace_kernelI19rocblas_complex_numIdELi32ELi2ELb0ELb1ELb1ELb0EPKS1_S2_S1_Ev17rocblas_diagonal_iiT6_lPT7_lllS7_lllPT8_llli.has_dyn_sized_stack, 0
	.set _ZL30rocblas_trmm_outofplace_kernelI19rocblas_complex_numIdELi32ELi2ELb0ELb1ELb1ELb0EPKS1_S2_S1_Ev17rocblas_diagonal_iiT6_lPT7_lllS7_lllPT8_llli.has_recursion, 0
	.set _ZL30rocblas_trmm_outofplace_kernelI19rocblas_complex_numIdELi32ELi2ELb0ELb1ELb1ELb0EPKS1_S2_S1_Ev17rocblas_diagonal_iiT6_lPT7_lllS7_lllPT8_llli.has_indirect_call, 0
	.section	.AMDGPU.csdata,"",@progbits
; Kernel info:
; codeLenInByte = 10168
; TotalNumSgprs: 56
; NumVgprs: 88
; ScratchSize: 0
; MemoryBound: 0
; FloatMode: 240
; IeeeMode: 1
; LDSByteSize: 32768 bytes/workgroup (compile time only)
; SGPRBlocks: 0
; VGPRBlocks: 10
; NumSGPRsForWavesPerEU: 56
; NumVGPRsForWavesPerEU: 88
; Occupancy: 10
; WaveLimiterHint : 0
; COMPUTE_PGM_RSRC2:SCRATCH_EN: 0
; COMPUTE_PGM_RSRC2:USER_SGPR: 6
; COMPUTE_PGM_RSRC2:TRAP_HANDLER: 0
; COMPUTE_PGM_RSRC2:TGID_X_EN: 1
; COMPUTE_PGM_RSRC2:TGID_Y_EN: 1
; COMPUTE_PGM_RSRC2:TGID_Z_EN: 1
; COMPUTE_PGM_RSRC2:TIDIG_COMP_CNT: 1
	.section	.text._ZL30rocblas_trmm_outofplace_kernelI19rocblas_complex_numIdELi32ELi2ELb0ELb1ELb1ELb0ES1_KS1_S1_Ev17rocblas_diagonal_iiT6_lPT7_lllS6_lllPT8_llli,"axG",@progbits,_ZL30rocblas_trmm_outofplace_kernelI19rocblas_complex_numIdELi32ELi2ELb0ELb1ELb1ELb0ES1_KS1_S1_Ev17rocblas_diagonal_iiT6_lPT7_lllS6_lllPT8_llli,comdat
	.globl	_ZL30rocblas_trmm_outofplace_kernelI19rocblas_complex_numIdELi32ELi2ELb0ELb1ELb1ELb0ES1_KS1_S1_Ev17rocblas_diagonal_iiT6_lPT7_lllS6_lllPT8_llli ; -- Begin function _ZL30rocblas_trmm_outofplace_kernelI19rocblas_complex_numIdELi32ELi2ELb0ELb1ELb1ELb0ES1_KS1_S1_Ev17rocblas_diagonal_iiT6_lPT7_lllS6_lllPT8_llli
	.p2align	8
	.type	_ZL30rocblas_trmm_outofplace_kernelI19rocblas_complex_numIdELi32ELi2ELb0ELb1ELb1ELb0ES1_KS1_S1_Ev17rocblas_diagonal_iiT6_lPT7_lllS6_lllPT8_llli,@function
_ZL30rocblas_trmm_outofplace_kernelI19rocblas_complex_numIdELi32ELi2ELb0ELb1ELb1ELb0ES1_KS1_S1_Ev17rocblas_diagonal_iiT6_lPT7_lllS6_lllPT8_llli: ; @_ZL30rocblas_trmm_outofplace_kernelI19rocblas_complex_numIdELi32ELi2ELb0ELb1ELb1ELb0ES1_KS1_S1_Ev17rocblas_diagonal_iiT6_lPT7_lllS6_lllPT8_llli
; %bb.0:
	s_load_dwordx4 s[28:31], s[4:5], 0x10
	s_waitcnt lgkmcnt(0)
	v_cmp_eq_f64_e64 s0, s[28:29], 0
	v_cmp_eq_f64_e64 s1, s[30:31], 0
	s_and_b32 s0, s0, s1
	s_and_b32 vcc_lo, exec_lo, s0
	s_cbranch_vccnz .LBB127_64
; %bb.1:
	s_load_dwordx4 s[44:47], s[4:5], 0x0
	s_waitcnt lgkmcnt(0)
	s_add_i32 s0, s46, -1
	s_ashr_i32 s1, s0, 31
	s_lshr_b32 s1, s1, 27
	s_add_i32 s0, s0, s1
	s_ashr_i32 s11, s0, 5
	s_cmp_gt_i32 s7, s11
	s_cbranch_scc1 .LBB127_64
; %bb.2:
	s_clause 0x2
	s_load_dwordx8 s[36:43], s[4:5], 0x68
	s_load_dwordx16 s[12:27], s[4:5], 0x28
	s_load_dword s33, s[4:5], 0x94
	v_lshl_add_u32 v2, s6, 5, v0
	v_lshlrev_b32_e32 v3, 4, v0
	v_lshlrev_b32_e32 v60, 9, v1
	v_add_nc_u32_e32 v12, 16, v2
	v_or_b32_e32 v61, 0x4000, v3
	v_add_nc_u32_e32 v62, v60, v3
	v_ashrrev_i32_e32 v3, 31, v2
	v_sub_co_u32 v4, vcc_lo, s45, v2
	v_add_nc_u32_e32 v63, v61, v60
	v_add_nc_u32_e32 v64, 0x100, v62
	v_lshlrev_b64 v[16:17], 4, v[2:3]
	v_add_nc_u32_e32 v65, 0x2000, v62
	v_add_nc_u32_e32 v66, 0x2100, v62
	;; [unrolled: 1-line block ×3, first 2 shown]
	s_waitcnt lgkmcnt(0)
	s_mul_i32 s1, s43, s8
	s_mul_hi_u32 s2, s42, s8
	s_mul_i32 s0, s42, s8
	s_add_i32 s1, s2, s1
	s_mul_i32 s4, s27, s8
	s_lshl_b64 s[0:1], s[0:1], 4
	s_mul_hi_u32 s5, s26, s8
	s_add_u32 s2, s36, s0
	s_addc_u32 s3, s37, s1
	s_lshl_b64 s[0:1], s[38:39], 4
	v_add_nc_u32_e32 v68, 0x2000, v63
	s_add_u32 s48, s2, s0
	s_addc_u32 s49, s3, s1
	s_cmpk_eq_i32 s44, 0x84
	v_cmp_gt_i32_e64 s1, s45, v2
	s_cselect_b32 s44, -1, 0
	s_ashr_i32 s47, s46, 31
	s_ashr_i32 s0, s45, 31
	s_lshl_b64 s[34:35], s[16:17], 9
	s_lshl_b64 s[36:37], s[24:25], 9
	s_add_u32 s38, s46, -16
	s_addc_u32 s39, s47, -1
	v_cmp_gt_i32_e64 s2, s45, v12
	s_lshl_b32 s3, s7, 5
	s_lshl_b32 s45, s33, 5
	s_add_u32 s42, s20, 0x100
	s_addc_u32 s43, s21, 0
	s_add_i32 s5, s5, s4
	s_mul_i32 s4, s26, s8
	s_lshl_b64 s[26:27], s[22:23], 4
	s_lshl_b64 s[4:5], s[4:5], 4
	;; [unrolled: 1-line block ×3, first 2 shown]
	s_add_u32 s6, s4, s26
	s_addc_u32 s10, s5, s27
	s_mul_i32 s4, s19, s8
	s_mul_hi_u32 s5, s18, s8
	v_sub_co_ci_u32_e64 v5, null, s0, v3, vcc_lo
	s_add_i32 s5, s5, s4
	s_mul_i32 s4, s18, s8
	v_add_nc_u32_e32 v14, s3, v0
	v_add_nc_u32_e32 v18, s3, v1
	s_lshl_b64 s[4:5], s[4:5], 4
	s_lshl_b64 s[8:9], s[14:15], 4
	v_add_co_u32 v20, s3, s6, v16
	v_add_co_ci_u32_e64 v21, null, s10, v17, s3
	s_add_u32 s3, s4, s8
	v_cmp_gt_i64_e64 s0, 17, v[4:5]
	s_addc_u32 s4, s5, s9
	v_add_nc_u32_e32 v69, 0x2100, v63
	v_ashrrev_i32_e32 v13, 31, v12
	s_add_u32 s12, s12, s3
	v_mov_b32_e32 v2, 0
	v_mov_b32_e32 v3, 0x3ff00000
	s_addc_u32 s13, s13, s4
	s_add_u32 s14, s12, 0x100
	s_addc_u32 s15, s13, 0
	s_lshl_b64 s[18:19], s[16:17], 4
	v_cmp_gt_i64_e32 vcc_lo, 1, v[4:5]
	s_branch .LBB127_4
.LBB127_3:                              ;   in Loop: Header=BB127_4 Depth=1
	s_or_b32 exec_lo, exec_lo, s4
	v_add_nc_u32_e32 v14, s45, v14
	v_add_nc_u32_e32 v18, s45, v18
	s_add_i32 s7, s33, s7
	s_cmp_le_i32 s7, s11
	s_cbranch_scc0 .LBB127_64
.LBB127_4:                              ; =>This Loop Header: Depth=1
                                        ;     Child Loop BB127_7 Depth 2
	s_lshl_b32 s3, s7, 5
	v_ashrrev_i32_e32 v15, 31, v14
	v_add_nc_u32_e32 v22, s3, v1
	v_ashrrev_i32_e32 v19, 31, v18
	s_sub_i32 s50, s46, s3
	s_cmp_lt_i32 s50, 1
	v_ashrrev_i32_e32 v23, 31, v22
	s_cbranch_scc1 .LBB127_55
; %bb.5:                                ;   in Loop: Header=BB127_4 Depth=1
	v_lshlrev_b64 v[4:5], 4, v[14:15]
	v_lshlrev_b64 v[28:29], 4, v[18:19]
	v_sub_co_u32 v24, s3, v18, v14
	v_sub_co_ci_u32_e64 v25, null, v19, v15, s3
	v_add_co_u32 v4, s3, 0x100, v4
	v_add_co_ci_u32_e64 v5, null, 0, v5, s3
	v_add_co_u32 v9, s3, 0x100, v28
	v_add_co_ci_u32_e64 v10, null, 0, v29, s3
	v_mad_u64_u32 v[26:27], null, s22, v18, s[42:43]
	v_mul_lo_u32 v0, s22, v19
	v_mul_lo_u32 v6, s23, v18
	v_mad_u64_u32 v[30:31], null, s18, v14, s[14:15]
	v_mul_lo_u32 v7, s18, v15
	v_mul_lo_u32 v8, s19, v14
	;; [unrolled: 1-line block ×4, first 2 shown]
	v_mad_u64_u32 v[32:33], null, s16, v4, s[12:13]
	v_mul_lo_u32 v4, s24, v10
	v_mul_lo_u32 v10, s25, v9
	v_mad_u64_u32 v[34:35], null, s24, v9, s[20:21]
	v_add_co_u32 v36, s3, v22, 16
	v_add_co_ci_u32_e64 v37, null, 0, v23, s3
	v_add_co_u32 v38, s5, v24, 16
	v_add_co_ci_u32_e64 v39, null, 0, v25, s5
	v_add_co_u32 v40, s5, v24, -16
	v_cmp_le_i64_e64 s4, s[46:47], v[36:37]
	v_mov_b32_e32 v56, 0
	v_mov_b32_e32 v58, 0
	;; [unrolled: 1-line block ×9, first 2 shown]
	v_add3_u32 v27, v6, v27, v0
	v_add3_u32 v31, v8, v31, v7
	;; [unrolled: 1-line block ×4, first 2 shown]
	v_cmp_le_i32_e64 s3, s46, v22
	v_add_co_ci_u32_e64 v41, null, -1, v25, s5
	v_mov_b32_e32 v57, 0
	v_mov_b32_e32 v59, 0
	;; [unrolled: 1-line block ×9, first 2 shown]
	s_mov_b64 s[26:27], 0
	s_branch .LBB127_7
.LBB127_6:                              ;   in Loop: Header=BB127_7 Depth=2
	s_or_b32 exec_lo, exec_lo, s5
	s_waitcnt lgkmcnt(0)
	s_barrier
	buffer_gl0_inv
	ds_read_b128 v[70:73], v60
	ds_read_b128 v[74:77], v60 offset:16
	ds_read_b128 v[8:11], v60 offset:32
	;; [unrolled: 1-line block ×3, first 2 shown]
	ds_read_b128 v[78:81], v61
	v_add_co_u32 v42, s5, v42, s36
	v_add_co_ci_u32_e64 v43, null, s37, v43, s5
	v_add_co_u32 v30, s5, v30, s34
	v_add_co_ci_u32_e64 v31, null, s35, v31, s5
	v_add_co_u32 v32, s5, v32, s34
	v_add_co_ci_u32_e64 v33, null, s35, v33, s5
	s_add_u32 s26, s26, 32
	s_addc_u32 s27, s27, 0
	s_cmp_ge_i32 s26, s50
	s_waitcnt lgkmcnt(0)
	v_mul_f64 v[82:83], v[72:73], v[80:81]
	v_mul_f64 v[84:85], v[70:71], v[80:81]
	v_fma_f64 v[82:83], v[70:71], v[78:79], -v[82:83]
	v_fma_f64 v[84:85], v[72:73], v[78:79], v[84:85]
	v_add_f64 v[82:83], v[52:53], v[82:83]
	v_add_f64 v[84:85], v[84:85], v[54:55]
	ds_read_b128 v[52:55], v61 offset:256
	s_waitcnt lgkmcnt(0)
	v_mul_f64 v[86:87], v[72:73], v[54:55]
	v_fma_f64 v[86:87], v[70:71], v[52:53], -v[86:87]
	v_mul_f64 v[70:71], v[70:71], v[54:55]
	v_fma_f64 v[70:71], v[72:73], v[52:53], v[70:71]
	v_add_f64 v[72:73], v[44:45], v[86:87]
	v_add_f64 v[70:71], v[70:71], v[46:47]
	ds_read_b128 v[44:47], v60 offset:8192
	s_waitcnt lgkmcnt(0)
	v_mul_f64 v[86:87], v[46:47], v[80:81]
	v_mul_f64 v[80:81], v[44:45], v[80:81]
	v_fma_f64 v[86:87], v[44:45], v[78:79], -v[86:87]
	v_fma_f64 v[78:79], v[46:47], v[78:79], v[80:81]
	v_add_f64 v[80:81], v[48:49], v[86:87]
	v_mul_f64 v[48:49], v[46:47], v[54:55]
	v_add_f64 v[78:79], v[78:79], v[50:51]
	v_fma_f64 v[48:49], v[44:45], v[52:53], -v[48:49]
	v_mul_f64 v[44:45], v[44:45], v[54:55]
	v_add_f64 v[58:59], v[58:59], v[48:49]
	v_fma_f64 v[44:45], v[46:47], v[52:53], v[44:45]
	v_add_f64 v[56:57], v[44:45], v[56:57]
	ds_read_b128 v[44:47], v61 offset:512
	s_waitcnt lgkmcnt(0)
	v_mul_f64 v[48:49], v[76:77], v[46:47]
	v_mul_f64 v[50:51], v[74:75], v[46:47]
	v_fma_f64 v[48:49], v[74:75], v[44:45], -v[48:49]
	v_fma_f64 v[50:51], v[76:77], v[44:45], v[50:51]
	v_add_f64 v[82:83], v[82:83], v[48:49]
	v_add_f64 v[84:85], v[50:51], v[84:85]
	ds_read_b128 v[48:51], v61 offset:768
	s_waitcnt lgkmcnt(0)
	v_mul_f64 v[52:53], v[76:77], v[50:51]
	v_mul_f64 v[54:55], v[74:75], v[50:51]
	v_fma_f64 v[52:53], v[74:75], v[48:49], -v[52:53]
	v_fma_f64 v[54:55], v[76:77], v[48:49], v[54:55]
	v_add_f64 v[72:73], v[72:73], v[52:53]
	v_add_f64 v[70:71], v[54:55], v[70:71]
	ds_read_b128 v[52:55], v60 offset:8208
	s_waitcnt lgkmcnt(0)
	v_mul_f64 v[74:75], v[54:55], v[46:47]
	v_mul_f64 v[46:47], v[52:53], v[46:47]
	v_fma_f64 v[74:75], v[52:53], v[44:45], -v[74:75]
	v_fma_f64 v[44:45], v[54:55], v[44:45], v[46:47]
	v_mul_f64 v[46:47], v[52:53], v[50:51]
	v_add_f64 v[74:75], v[80:81], v[74:75]
	v_add_f64 v[76:77], v[44:45], v[78:79]
	v_mul_f64 v[44:45], v[54:55], v[50:51]
	v_fma_f64 v[46:47], v[54:55], v[48:49], v[46:47]
	v_fma_f64 v[44:45], v[52:53], v[48:49], -v[44:45]
	v_add_f64 v[54:55], v[46:47], v[56:57]
	v_add_f64 v[52:53], v[58:59], v[44:45]
	ds_read_b128 v[44:47], v61 offset:1024
	s_waitcnt lgkmcnt(0)
	v_mul_f64 v[48:49], v[10:11], v[46:47]
	v_mul_f64 v[50:51], v[8:9], v[46:47]
	v_fma_f64 v[48:49], v[8:9], v[44:45], -v[48:49]
	v_fma_f64 v[50:51], v[10:11], v[44:45], v[50:51]
	v_add_f64 v[56:57], v[82:83], v[48:49]
	v_add_f64 v[58:59], v[50:51], v[84:85]
	ds_read_b128 v[48:51], v61 offset:1280
	s_waitcnt lgkmcnt(0)
	v_mul_f64 v[78:79], v[10:11], v[50:51]
	v_fma_f64 v[78:79], v[8:9], v[48:49], -v[78:79]
	v_mul_f64 v[8:9], v[8:9], v[50:51]
	v_add_f64 v[72:73], v[72:73], v[78:79]
	v_fma_f64 v[8:9], v[10:11], v[48:49], v[8:9]
	v_add_f64 v[70:71], v[8:9], v[70:71]
	ds_read_b128 v[8:11], v60 offset:8224
	s_waitcnt lgkmcnt(0)
	v_mul_f64 v[78:79], v[10:11], v[46:47]
	v_mul_f64 v[46:47], v[8:9], v[46:47]
	v_fma_f64 v[78:79], v[8:9], v[44:45], -v[78:79]
	v_fma_f64 v[44:45], v[10:11], v[44:45], v[46:47]
	v_add_f64 v[74:75], v[74:75], v[78:79]
	v_add_f64 v[76:77], v[44:45], v[76:77]
	v_mul_f64 v[44:45], v[10:11], v[50:51]
	v_fma_f64 v[44:45], v[8:9], v[48:49], -v[44:45]
	v_mul_f64 v[8:9], v[8:9], v[50:51]
	v_fma_f64 v[8:9], v[10:11], v[48:49], v[8:9]
	v_add_f64 v[48:49], v[52:53], v[44:45]
	v_add_f64 v[50:51], v[8:9], v[54:55]
	ds_read_b128 v[8:11], v61 offset:1536
	s_waitcnt lgkmcnt(0)
	v_mul_f64 v[44:45], v[6:7], v[10:11]
	v_mul_f64 v[46:47], v[4:5], v[10:11]
	v_fma_f64 v[44:45], v[4:5], v[8:9], -v[44:45]
	v_fma_f64 v[46:47], v[6:7], v[8:9], v[46:47]
	v_add_f64 v[52:53], v[56:57], v[44:45]
	v_add_f64 v[54:55], v[46:47], v[58:59]
	ds_read_b128 v[44:47], v61 offset:1792
	s_waitcnt lgkmcnt(0)
	v_mul_f64 v[56:57], v[6:7], v[46:47]
	v_fma_f64 v[56:57], v[4:5], v[44:45], -v[56:57]
	v_mul_f64 v[4:5], v[4:5], v[46:47]
	v_add_f64 v[56:57], v[72:73], v[56:57]
	v_fma_f64 v[4:5], v[6:7], v[44:45], v[4:5]
	v_add_f64 v[58:59], v[4:5], v[70:71]
	ds_read_b128 v[4:7], v60 offset:8240
	s_waitcnt lgkmcnt(0)
	v_mul_f64 v[70:71], v[6:7], v[10:11]
	v_mul_f64 v[10:11], v[4:5], v[10:11]
	v_fma_f64 v[70:71], v[4:5], v[8:9], -v[70:71]
	v_fma_f64 v[8:9], v[6:7], v[8:9], v[10:11]
	v_add_f64 v[70:71], v[74:75], v[70:71]
	v_add_f64 v[72:73], v[8:9], v[76:77]
	v_mul_f64 v[8:9], v[6:7], v[46:47]
	v_fma_f64 v[8:9], v[4:5], v[44:45], -v[8:9]
	v_mul_f64 v[4:5], v[4:5], v[46:47]
	v_add_f64 v[48:49], v[48:49], v[8:9]
	v_fma_f64 v[4:5], v[6:7], v[44:45], v[4:5]
	v_add_f64 v[50:51], v[4:5], v[50:51]
	ds_read_b128 v[4:7], v60 offset:64
	ds_read_b128 v[8:11], v61 offset:2048
	s_waitcnt lgkmcnt(0)
	v_mul_f64 v[44:45], v[6:7], v[10:11]
	v_mul_f64 v[46:47], v[4:5], v[10:11]
	v_fma_f64 v[44:45], v[4:5], v[8:9], -v[44:45]
	v_fma_f64 v[46:47], v[6:7], v[8:9], v[46:47]
	v_add_f64 v[52:53], v[52:53], v[44:45]
	v_add_f64 v[54:55], v[46:47], v[54:55]
	ds_read_b128 v[44:47], v61 offset:2304
	s_waitcnt lgkmcnt(0)
	v_mul_f64 v[74:75], v[6:7], v[46:47]
	v_fma_f64 v[74:75], v[4:5], v[44:45], -v[74:75]
	v_mul_f64 v[4:5], v[4:5], v[46:47]
	v_add_f64 v[56:57], v[56:57], v[74:75]
	v_fma_f64 v[4:5], v[6:7], v[44:45], v[4:5]
	v_add_f64 v[58:59], v[4:5], v[58:59]
	ds_read_b128 v[4:7], v60 offset:8256
	s_waitcnt lgkmcnt(0)
	v_mul_f64 v[74:75], v[6:7], v[10:11]
	v_mul_f64 v[10:11], v[4:5], v[10:11]
	v_fma_f64 v[74:75], v[4:5], v[8:9], -v[74:75]
	v_fma_f64 v[8:9], v[6:7], v[8:9], v[10:11]
	v_add_f64 v[70:71], v[70:71], v[74:75]
	v_add_f64 v[72:73], v[8:9], v[72:73]
	v_mul_f64 v[8:9], v[6:7], v[46:47]
	v_fma_f64 v[8:9], v[4:5], v[44:45], -v[8:9]
	v_mul_f64 v[4:5], v[4:5], v[46:47]
	v_add_f64 v[48:49], v[48:49], v[8:9]
	v_fma_f64 v[4:5], v[6:7], v[44:45], v[4:5]
	v_add_f64 v[50:51], v[4:5], v[50:51]
	ds_read_b128 v[4:7], v60 offset:80
	;; [unrolled: 31-line block ×27, first 2 shown]
	ds_read_b128 v[8:11], v61 offset:15360
	s_waitcnt lgkmcnt(0)
	v_mul_f64 v[44:45], v[6:7], v[10:11]
	v_mul_f64 v[46:47], v[4:5], v[10:11]
	v_fma_f64 v[44:45], v[4:5], v[8:9], -v[44:45]
	v_fma_f64 v[46:47], v[6:7], v[8:9], v[46:47]
	v_add_f64 v[52:53], v[52:53], v[44:45]
	v_add_f64 v[54:55], v[46:47], v[54:55]
	ds_read_b128 v[44:47], v61 offset:15616
	s_waitcnt lgkmcnt(0)
	v_mul_f64 v[74:75], v[6:7], v[46:47]
	v_fma_f64 v[74:75], v[4:5], v[44:45], -v[74:75]
	v_mul_f64 v[4:5], v[4:5], v[46:47]
	v_add_f64 v[74:75], v[56:57], v[74:75]
	v_fma_f64 v[4:5], v[6:7], v[44:45], v[4:5]
	v_add_f64 v[76:77], v[4:5], v[58:59]
	ds_read_b128 v[4:7], v60 offset:8672
	s_waitcnt lgkmcnt(0)
	v_mul_f64 v[56:57], v[6:7], v[10:11]
	v_mul_f64 v[10:11], v[4:5], v[10:11]
	v_fma_f64 v[56:57], v[4:5], v[8:9], -v[56:57]
	v_fma_f64 v[8:9], v[6:7], v[8:9], v[10:11]
	v_add_f64 v[78:79], v[70:71], v[56:57]
	v_add_f64 v[80:81], v[8:9], v[72:73]
	v_mul_f64 v[8:9], v[6:7], v[46:47]
	v_fma_f64 v[8:9], v[4:5], v[44:45], -v[8:9]
	v_mul_f64 v[4:5], v[4:5], v[46:47]
	v_fma_f64 v[6:7], v[6:7], v[44:45], v[4:5]
	v_add_f64 v[4:5], v[48:49], v[8:9]
	v_add_f64 v[6:7], v[6:7], v[50:51]
	ds_read_b128 v[8:11], v60 offset:496
	ds_read_b128 v[48:51], v61 offset:15872
	;; [unrolled: 1-line block ×4, first 2 shown]
	s_waitcnt lgkmcnt(0)
	s_barrier
	buffer_gl0_inv
	v_mul_f64 v[44:45], v[10:11], v[50:51]
	v_mul_f64 v[46:47], v[8:9], v[50:51]
	v_fma_f64 v[44:45], v[8:9], v[48:49], -v[44:45]
	v_fma_f64 v[46:47], v[10:11], v[48:49], v[46:47]
	v_add_f64 v[52:53], v[52:53], v[44:45]
	v_mul_f64 v[44:45], v[10:11], v[58:59]
	v_add_f64 v[54:55], v[46:47], v[54:55]
	v_fma_f64 v[44:45], v[8:9], v[56:57], -v[44:45]
	v_mul_f64 v[8:9], v[8:9], v[58:59]
	v_add_f64 v[44:45], v[74:75], v[44:45]
	v_fma_f64 v[8:9], v[10:11], v[56:57], v[8:9]
	v_mul_f64 v[10:11], v[70:71], v[50:51]
	v_add_f64 v[46:47], v[8:9], v[76:77]
	v_mul_f64 v[8:9], v[72:73], v[50:51]
	v_fma_f64 v[10:11], v[72:73], v[48:49], v[10:11]
	v_fma_f64 v[8:9], v[70:71], v[48:49], -v[8:9]
	v_add_f64 v[50:51], v[10:11], v[80:81]
	v_mul_f64 v[10:11], v[70:71], v[58:59]
	v_add_f64 v[48:49], v[78:79], v[8:9]
	v_mul_f64 v[8:9], v[72:73], v[58:59]
	v_fma_f64 v[10:11], v[72:73], v[56:57], v[10:11]
	v_fma_f64 v[8:9], v[70:71], v[56:57], -v[8:9]
	v_add_f64 v[56:57], v[10:11], v[6:7]
	v_add_f64 v[58:59], v[4:5], v[8:9]
	s_cbranch_scc1 .LBB127_56
.LBB127_7:                              ;   Parent Loop BB127_4 Depth=1
                                        ; =>  This Inner Loop Header: Depth=2
	v_add_co_u32 v6, s5, v14, s26
	v_add_co_ci_u32_e64 v7, null, s27, v15, s5
	v_cmp_eq_u64_e64 s8, s[26:27], v[24:25]
	v_add_co_u32 v8, s9, v30, v28
	v_cmp_lt_i64_e64 s5, v[6:7], v[22:23]
	v_cmp_le_i64_e64 s6, s[46:47], v[6:7]
	v_add_co_ci_u32_e64 v9, null, v31, v29, s9
	s_and_b32 s52, s44, s8
	s_or_b32 s9, s3, s5
	s_or_b32 s8, s6, s9
	s_nor_b32 s8, s8, s52
	s_and_saveexec_b32 s9, s8
	s_xor_b32 s8, exec_lo, s9
	s_cbranch_execz .LBB127_9
; %bb.8:                                ;   in Loop: Header=BB127_7 Depth=2
	global_load_dwordx4 v[70:73], v[8:9], off offset:-256
	s_waitcnt vmcnt(0)
	ds_write2_b64 v62, v[70:71], v[72:73] offset1:1
.LBB127_9:                              ;   in Loop: Header=BB127_7 Depth=2
	s_or_saveexec_b32 s8, s8
	s_xor_b32 s51, s52, -1
	s_xor_b32 exec_lo, exec_lo, s8
	s_cbranch_execz .LBB127_15
; %bb.10:                               ;   in Loop: Header=BB127_7 Depth=2
	s_and_saveexec_b32 s9, s51
	s_xor_b32 s9, exec_lo, s9
	s_cbranch_execz .LBB127_12
; %bb.11:                               ;   in Loop: Header=BB127_7 Depth=2
	v_mov_b32_e32 v70, v2
	v_mov_b32_e32 v71, v2
	;; [unrolled: 1-line block ×4, first 2 shown]
	ds_write_b128 v62, v[70:73]
.LBB127_12:                             ;   in Loop: Header=BB127_7 Depth=2
	s_andn2_saveexec_b32 s9, s9
; %bb.13:                               ;   in Loop: Header=BB127_7 Depth=2
	v_mov_b32_e32 v4, v2
	v_mov_b32_e32 v5, v2
	ds_write_b128 v62, v[2:5]
; %bb.14:                               ;   in Loop: Header=BB127_7 Depth=2
	s_or_b32 exec_lo, exec_lo, s9
.LBB127_15:                             ;   in Loop: Header=BB127_7 Depth=2
	s_or_b32 exec_lo, exec_lo, s8
	v_add_co_u32 v4, s8, v6, 16
	v_add_co_ci_u32_e64 v5, null, 0, v7, s8
	v_cmp_eq_u64_e64 s10, s[26:27], v[40:41]
	v_cmp_lt_i64_e64 s9, v[4:5], v[22:23]
	v_cmp_le_i64_e64 s8, s[46:47], v[4:5]
	s_and_b32 s10, s44, s10
	s_or_b32 s9, s3, s9
	s_or_b32 s9, s8, s9
	s_nor_b32 s9, s9, s10
	s_and_saveexec_b32 s53, s9
	s_xor_b32 s53, exec_lo, s53
	s_cbranch_execz .LBB127_17
; %bb.16:                               ;   in Loop: Header=BB127_7 Depth=2
	v_add_co_u32 v4, s9, v32, v28
	v_add_co_ci_u32_e64 v5, null, v33, v29, s9
	global_load_dwordx4 v[70:73], v[4:5], off
	s_waitcnt vmcnt(0)
	ds_write2_b64 v64, v[70:71], v[72:73] offset1:1
.LBB127_17:                             ;   in Loop: Header=BB127_7 Depth=2
	s_andn2_saveexec_b32 s9, s53
	s_cbranch_execz .LBB127_23
; %bb.18:                               ;   in Loop: Header=BB127_7 Depth=2
	s_xor_b32 s10, s10, -1
	s_and_saveexec_b32 s53, s10
	s_xor_b32 s10, exec_lo, s53
	s_cbranch_execz .LBB127_20
; %bb.19:                               ;   in Loop: Header=BB127_7 Depth=2
	v_mov_b32_e32 v70, v2
	v_mov_b32_e32 v71, v2
	;; [unrolled: 1-line block ×4, first 2 shown]
	ds_write_b128 v62, v[70:73] offset:256
.LBB127_20:                             ;   in Loop: Header=BB127_7 Depth=2
	s_andn2_saveexec_b32 s10, s10
; %bb.21:                               ;   in Loop: Header=BB127_7 Depth=2
	v_mov_b32_e32 v4, v2
	v_mov_b32_e32 v5, v2
	ds_write_b128 v62, v[2:5] offset:256
; %bb.22:                               ;   in Loop: Header=BB127_7 Depth=2
	s_or_b32 exec_lo, exec_lo, s10
.LBB127_23:                             ;   in Loop: Header=BB127_7 Depth=2
	s_or_b32 exec_lo, exec_lo, s9
	v_cmp_eq_u64_e64 s9, s[26:27], v[38:39]
	v_cmp_lt_i64_e64 s10, v[6:7], v[36:37]
	s_and_b32 s9, s44, s9
	s_or_b32 s10, s4, s10
	s_or_b32 s10, s10, s9
	s_nor_b32 s6, s6, s10
	s_and_saveexec_b32 s10, s6
	s_xor_b32 s6, exec_lo, s10
	s_cbranch_execz .LBB127_25
; %bb.24:                               ;   in Loop: Header=BB127_7 Depth=2
	global_load_dwordx4 v[4:7], v[8:9], off
	s_waitcnt vmcnt(0)
	ds_write2_b64 v65, v[4:5], v[6:7] offset1:1
.LBB127_25:                             ;   in Loop: Header=BB127_7 Depth=2
	s_andn2_saveexec_b32 s6, s6
	s_cbranch_execz .LBB127_31
; %bb.26:                               ;   in Loop: Header=BB127_7 Depth=2
	s_xor_b32 s9, s9, -1
	s_and_saveexec_b32 s10, s9
	s_xor_b32 s9, exec_lo, s10
	s_cbranch_execz .LBB127_28
; %bb.27:                               ;   in Loop: Header=BB127_7 Depth=2
	v_mov_b32_e32 v4, v2
	v_mov_b32_e32 v5, v2
	;; [unrolled: 1-line block ×4, first 2 shown]
	ds_write_b128 v62, v[4:7] offset:8192
.LBB127_28:                             ;   in Loop: Header=BB127_7 Depth=2
	s_andn2_saveexec_b32 s9, s9
; %bb.29:                               ;   in Loop: Header=BB127_7 Depth=2
	v_mov_b32_e32 v4, v2
	v_mov_b32_e32 v5, v2
	ds_write_b128 v62, v[2:5] offset:8192
; %bb.30:                               ;   in Loop: Header=BB127_7 Depth=2
	s_or_b32 exec_lo, exec_lo, s9
.LBB127_31:                             ;   in Loop: Header=BB127_7 Depth=2
	s_or_b32 exec_lo, exec_lo, s6
	s_or_b32 s5, s4, s5
	s_or_b32 s5, s8, s5
	s_nor_b32 s5, s5, s52
	s_and_saveexec_b32 s6, s5
	s_xor_b32 s6, exec_lo, s6
	s_cbranch_execz .LBB127_33
; %bb.32:                               ;   in Loop: Header=BB127_7 Depth=2
	v_add_co_u32 v4, s5, v32, v28
	v_add_co_ci_u32_e64 v5, null, v33, v29, s5
	global_load_dwordx4 v[4:7], v[4:5], off offset:256
	s_waitcnt vmcnt(0)
	ds_write2_b64 v66, v[4:5], v[6:7] offset1:1
.LBB127_33:                             ;   in Loop: Header=BB127_7 Depth=2
	s_andn2_saveexec_b32 s5, s6
	s_cbranch_execz .LBB127_39
; %bb.34:                               ;   in Loop: Header=BB127_7 Depth=2
	s_and_saveexec_b32 s6, s51
	s_xor_b32 s6, exec_lo, s6
	s_cbranch_execz .LBB127_36
; %bb.35:                               ;   in Loop: Header=BB127_7 Depth=2
	v_mov_b32_e32 v4, v2
	v_mov_b32_e32 v5, v2
	;; [unrolled: 1-line block ×4, first 2 shown]
	ds_write_b128 v62, v[4:7] offset:8448
.LBB127_36:                             ;   in Loop: Header=BB127_7 Depth=2
	s_andn2_saveexec_b32 s6, s6
; %bb.37:                               ;   in Loop: Header=BB127_7 Depth=2
	v_mov_b32_e32 v4, v2
	v_mov_b32_e32 v5, v2
	ds_write_b128 v62, v[2:5] offset:8448
; %bb.38:                               ;   in Loop: Header=BB127_7 Depth=2
	s_or_b32 exec_lo, exec_lo, s6
.LBB127_39:                             ;   in Loop: Header=BB127_7 Depth=2
	s_or_b32 exec_lo, exec_lo, s5
	v_add_co_u32 v4, s5, v18, s26
	v_add_co_ci_u32_e64 v5, null, s27, v19, s5
	v_add_co_u32 v6, s6, v26, v42
	v_add_co_ci_u32_e64 v7, null, v27, v43, s6
	v_cmp_le_i64_e64 s5, s[46:47], v[4:5]
	s_nor_b32 s6, s5, vcc_lo
	s_and_saveexec_b32 s8, s6
	s_xor_b32 s6, exec_lo, s8
	s_cbranch_execz .LBB127_41
; %bb.40:                               ;   in Loop: Header=BB127_7 Depth=2
	global_load_dwordx4 v[8:11], v[6:7], off offset:-256
	s_waitcnt vmcnt(0)
	ds_write2_b64 v63, v[8:9], v[10:11] offset1:1
.LBB127_41:                             ;   in Loop: Header=BB127_7 Depth=2
	s_andn2_saveexec_b32 s6, s6
	s_cbranch_execz .LBB127_43
; %bb.42:                               ;   in Loop: Header=BB127_7 Depth=2
	v_mov_b32_e32 v8, v2
	v_mov_b32_e32 v9, v2
	;; [unrolled: 1-line block ×4, first 2 shown]
	ds_write_b128 v63, v[8:11]
.LBB127_43:                             ;   in Loop: Header=BB127_7 Depth=2
	s_or_b32 exec_lo, exec_lo, s6
	s_nor_b32 s5, s5, s0
	s_and_saveexec_b32 s6, s5
	s_xor_b32 s5, exec_lo, s6
	s_cbranch_execz .LBB127_45
; %bb.44:                               ;   in Loop: Header=BB127_7 Depth=2
	global_load_dwordx4 v[6:9], v[6:7], off
	s_waitcnt vmcnt(0)
	ds_write2_b64 v67, v[6:7], v[8:9] offset1:1
.LBB127_45:                             ;   in Loop: Header=BB127_7 Depth=2
	s_andn2_saveexec_b32 s5, s5
	s_cbranch_execz .LBB127_47
; %bb.46:                               ;   in Loop: Header=BB127_7 Depth=2
	v_mov_b32_e32 v6, v2
	v_mov_b32_e32 v7, v2
	;; [unrolled: 1-line block ×4, first 2 shown]
	ds_write_b128 v63, v[6:9] offset:256
.LBB127_47:                             ;   in Loop: Header=BB127_7 Depth=2
	s_or_b32 exec_lo, exec_lo, s5
	v_cmp_le_i64_e64 s5, s[38:39], v[4:5]
	v_add_co_u32 v4, s6, v34, v42
	v_add_co_ci_u32_e64 v5, null, v35, v43, s6
	s_nor_b32 s6, s5, vcc_lo
	s_and_saveexec_b32 s8, s6
	s_xor_b32 s6, exec_lo, s8
	s_cbranch_execz .LBB127_49
; %bb.48:                               ;   in Loop: Header=BB127_7 Depth=2
	global_load_dwordx4 v[6:9], v[4:5], off
	s_waitcnt vmcnt(0)
	ds_write2_b64 v68, v[6:7], v[8:9] offset1:1
.LBB127_49:                             ;   in Loop: Header=BB127_7 Depth=2
	s_andn2_saveexec_b32 s6, s6
	s_cbranch_execz .LBB127_51
; %bb.50:                               ;   in Loop: Header=BB127_7 Depth=2
	v_mov_b32_e32 v6, v2
	v_mov_b32_e32 v7, v2
	;; [unrolled: 1-line block ×4, first 2 shown]
	ds_write_b128 v63, v[6:9] offset:8192
.LBB127_51:                             ;   in Loop: Header=BB127_7 Depth=2
	s_or_b32 exec_lo, exec_lo, s6
	s_nor_b32 s5, s5, s0
	s_and_saveexec_b32 s6, s5
	s_xor_b32 s5, exec_lo, s6
	s_cbranch_execz .LBB127_53
; %bb.52:                               ;   in Loop: Header=BB127_7 Depth=2
	global_load_dwordx4 v[4:7], v[4:5], off offset:256
	s_waitcnt vmcnt(0)
	ds_write2_b64 v69, v[4:5], v[6:7] offset1:1
.LBB127_53:                             ;   in Loop: Header=BB127_7 Depth=2
	s_andn2_saveexec_b32 s5, s5
	s_cbranch_execz .LBB127_6
; %bb.54:                               ;   in Loop: Header=BB127_7 Depth=2
	v_mov_b32_e32 v4, v2
	v_mov_b32_e32 v5, v2
	;; [unrolled: 1-line block ×4, first 2 shown]
	ds_write_b128 v63, v[4:7] offset:8448
	s_branch .LBB127_6
.LBB127_55:                             ;   in Loop: Header=BB127_4 Depth=1
	v_mov_b32_e32 v52, 0
	v_mov_b32_e32 v54, 0
	v_mov_b32_e32 v44, 0
	v_mov_b32_e32 v46, 0
	v_mov_b32_e32 v48, 0
	v_mov_b32_e32 v50, 0
	v_mov_b32_e32 v58, 0
	v_mov_b32_e32 v56, 0
	v_mov_b32_e32 v53, 0
	v_mov_b32_e32 v55, 0
	v_mov_b32_e32 v45, 0
	v_mov_b32_e32 v47, 0
	v_mov_b32_e32 v49, 0
	v_mov_b32_e32 v51, 0
	v_mov_b32_e32 v59, 0
	v_mov_b32_e32 v57, 0
.LBB127_56:                             ;   in Loop: Header=BB127_4 Depth=1
	v_mul_lo_u32 v0, s41, v22
	v_mul_lo_u32 v6, s40, v23
	v_mad_u64_u32 v[4:5], null, s40, v22, 0
	v_cmp_gt_i32_e64 s3, s46, v22
	v_add3_u32 v5, v5, v6, v0
	v_lshlrev_b64 v[4:5], 4, v[4:5]
	v_add_co_u32 v0, s4, s48, v4
	v_add_co_ci_u32_e64 v4, null, s49, v5, s4
	s_and_b32 s4, s1, s3
	s_and_saveexec_b32 s5, s4
	s_cbranch_execz .LBB127_58
; %bb.57:                               ;   in Loop: Header=BB127_4 Depth=1
	v_add_co_u32 v9, s4, v0, v16
	v_add_co_ci_u32_e64 v10, null, v4, v17, s4
	v_mul_f64 v[23:24], s[30:31], v[54:55]
	v_mul_f64 v[25:26], s[28:29], v[54:55]
	global_load_dwordx4 v[5:8], v[9:10], off
	v_fma_f64 v[23:24], s[28:29], v[52:53], -v[23:24]
	v_fma_f64 v[25:26], s[30:31], v[52:53], v[25:26]
	s_waitcnt vmcnt(0)
	v_add_f64 v[5:6], v[5:6], v[23:24]
	v_add_f64 v[7:8], v[25:26], v[7:8]
	global_store_dwordx4 v[9:10], v[5:8], off
.LBB127_58:                             ;   in Loop: Header=BB127_4 Depth=1
	s_or_b32 exec_lo, exec_lo, s5
	s_and_b32 s3, s2, s3
	s_and_saveexec_b32 s4, s3
	s_cbranch_execz .LBB127_60
; %bb.59:                               ;   in Loop: Header=BB127_4 Depth=1
	v_lshlrev_b64 v[5:6], 4, v[12:13]
	v_mul_f64 v[10:11], s[30:31], v[46:47]
	v_mul_f64 v[23:24], s[28:29], v[46:47]
	v_add_co_u32 v8, s3, v0, v5
	v_add_co_ci_u32_e64 v9, null, v4, v6, s3
	global_load_dwordx4 v[4:7], v[8:9], off
	v_fma_f64 v[10:11], s[28:29], v[44:45], -v[10:11]
	v_fma_f64 v[23:24], s[30:31], v[44:45], v[23:24]
	s_waitcnt vmcnt(0)
	v_add_f64 v[4:5], v[4:5], v[10:11]
	v_add_f64 v[6:7], v[23:24], v[6:7]
	global_store_dwordx4 v[8:9], v[4:7], off
.LBB127_60:                             ;   in Loop: Header=BB127_4 Depth=1
	s_or_b32 exec_lo, exec_lo, s4
	v_add_nc_u32_e32 v0, 16, v22
	v_ashrrev_i32_e32 v6, 31, v0
	v_mul_lo_u32 v7, s41, v0
	v_mad_u64_u32 v[4:5], null, s40, v0, 0
	v_cmp_gt_i32_e64 s3, s46, v0
	v_mul_lo_u32 v6, s40, v6
	v_add3_u32 v5, v5, v6, v7
	v_lshlrev_b64 v[4:5], 4, v[4:5]
	v_add_co_u32 v0, s4, s48, v4
	v_add_co_ci_u32_e64 v4, null, s49, v5, s4
	s_and_b32 s4, s1, s3
	s_and_saveexec_b32 s5, s4
	s_cbranch_execz .LBB127_62
; %bb.61:                               ;   in Loop: Header=BB127_4 Depth=1
	v_add_co_u32 v9, s4, v0, v16
	v_add_co_ci_u32_e64 v10, null, v4, v17, s4
	v_mul_f64 v[22:23], s[30:31], v[50:51]
	v_mul_f64 v[24:25], s[28:29], v[50:51]
	global_load_dwordx4 v[5:8], v[9:10], off
	v_fma_f64 v[22:23], s[28:29], v[48:49], -v[22:23]
	v_fma_f64 v[24:25], s[30:31], v[48:49], v[24:25]
	s_waitcnt vmcnt(0)
	v_add_f64 v[5:6], v[5:6], v[22:23]
	v_add_f64 v[7:8], v[24:25], v[7:8]
	global_store_dwordx4 v[9:10], v[5:8], off
.LBB127_62:                             ;   in Loop: Header=BB127_4 Depth=1
	s_or_b32 exec_lo, exec_lo, s5
	s_and_b32 s3, s2, s3
	s_and_saveexec_b32 s4, s3
	s_cbranch_execz .LBB127_3
; %bb.63:                               ;   in Loop: Header=BB127_4 Depth=1
	v_lshlrev_b64 v[5:6], 4, v[12:13]
	v_mul_f64 v[10:11], s[30:31], v[56:57]
	v_mul_f64 v[22:23], s[28:29], v[56:57]
	v_add_co_u32 v8, s3, v0, v5
	v_add_co_ci_u32_e64 v9, null, v4, v6, s3
	global_load_dwordx4 v[4:7], v[8:9], off
	v_fma_f64 v[10:11], s[28:29], v[58:59], -v[10:11]
	v_fma_f64 v[22:23], s[30:31], v[58:59], v[22:23]
	s_waitcnt vmcnt(0)
	v_add_f64 v[4:5], v[4:5], v[10:11]
	v_add_f64 v[6:7], v[22:23], v[6:7]
	global_store_dwordx4 v[8:9], v[4:7], off
	s_branch .LBB127_3
.LBB127_64:
	s_endpgm
	.section	.rodata,"a",@progbits
	.p2align	6, 0x0
	.amdhsa_kernel _ZL30rocblas_trmm_outofplace_kernelI19rocblas_complex_numIdELi32ELi2ELb0ELb1ELb1ELb0ES1_KS1_S1_Ev17rocblas_diagonal_iiT6_lPT7_lllS6_lllPT8_llli
		.amdhsa_group_segment_fixed_size 32768
		.amdhsa_private_segment_fixed_size 0
		.amdhsa_kernarg_size 400
		.amdhsa_user_sgpr_count 6
		.amdhsa_user_sgpr_private_segment_buffer 1
		.amdhsa_user_sgpr_dispatch_ptr 0
		.amdhsa_user_sgpr_queue_ptr 0
		.amdhsa_user_sgpr_kernarg_segment_ptr 1
		.amdhsa_user_sgpr_dispatch_id 0
		.amdhsa_user_sgpr_flat_scratch_init 0
		.amdhsa_user_sgpr_private_segment_size 0
		.amdhsa_wavefront_size32 1
		.amdhsa_uses_dynamic_stack 0
		.amdhsa_system_sgpr_private_segment_wavefront_offset 0
		.amdhsa_system_sgpr_workgroup_id_x 1
		.amdhsa_system_sgpr_workgroup_id_y 1
		.amdhsa_system_sgpr_workgroup_id_z 1
		.amdhsa_system_sgpr_workgroup_info 0
		.amdhsa_system_vgpr_workitem_id 1
		.amdhsa_next_free_vgpr 88
		.amdhsa_next_free_sgpr 54
		.amdhsa_reserve_vcc 1
		.amdhsa_reserve_flat_scratch 0
		.amdhsa_float_round_mode_32 0
		.amdhsa_float_round_mode_16_64 0
		.amdhsa_float_denorm_mode_32 3
		.amdhsa_float_denorm_mode_16_64 3
		.amdhsa_dx10_clamp 1
		.amdhsa_ieee_mode 1
		.amdhsa_fp16_overflow 0
		.amdhsa_workgroup_processor_mode 1
		.amdhsa_memory_ordered 1
		.amdhsa_forward_progress 1
		.amdhsa_shared_vgpr_count 0
		.amdhsa_exception_fp_ieee_invalid_op 0
		.amdhsa_exception_fp_denorm_src 0
		.amdhsa_exception_fp_ieee_div_zero 0
		.amdhsa_exception_fp_ieee_overflow 0
		.amdhsa_exception_fp_ieee_underflow 0
		.amdhsa_exception_fp_ieee_inexact 0
		.amdhsa_exception_int_div_zero 0
	.end_amdhsa_kernel
	.section	.text._ZL30rocblas_trmm_outofplace_kernelI19rocblas_complex_numIdELi32ELi2ELb0ELb1ELb1ELb0ES1_KS1_S1_Ev17rocblas_diagonal_iiT6_lPT7_lllS6_lllPT8_llli,"axG",@progbits,_ZL30rocblas_trmm_outofplace_kernelI19rocblas_complex_numIdELi32ELi2ELb0ELb1ELb1ELb0ES1_KS1_S1_Ev17rocblas_diagonal_iiT6_lPT7_lllS6_lllPT8_llli,comdat
.Lfunc_end127:
	.size	_ZL30rocblas_trmm_outofplace_kernelI19rocblas_complex_numIdELi32ELi2ELb0ELb1ELb1ELb0ES1_KS1_S1_Ev17rocblas_diagonal_iiT6_lPT7_lllS6_lllPT8_llli, .Lfunc_end127-_ZL30rocblas_trmm_outofplace_kernelI19rocblas_complex_numIdELi32ELi2ELb0ELb1ELb1ELb0ES1_KS1_S1_Ev17rocblas_diagonal_iiT6_lPT7_lllS6_lllPT8_llli
                                        ; -- End function
	.set _ZL30rocblas_trmm_outofplace_kernelI19rocblas_complex_numIdELi32ELi2ELb0ELb1ELb1ELb0ES1_KS1_S1_Ev17rocblas_diagonal_iiT6_lPT7_lllS6_lllPT8_llli.num_vgpr, 88
	.set _ZL30rocblas_trmm_outofplace_kernelI19rocblas_complex_numIdELi32ELi2ELb0ELb1ELb1ELb0ES1_KS1_S1_Ev17rocblas_diagonal_iiT6_lPT7_lllS6_lllPT8_llli.num_agpr, 0
	.set _ZL30rocblas_trmm_outofplace_kernelI19rocblas_complex_numIdELi32ELi2ELb0ELb1ELb1ELb0ES1_KS1_S1_Ev17rocblas_diagonal_iiT6_lPT7_lllS6_lllPT8_llli.numbered_sgpr, 54
	.set _ZL30rocblas_trmm_outofplace_kernelI19rocblas_complex_numIdELi32ELi2ELb0ELb1ELb1ELb0ES1_KS1_S1_Ev17rocblas_diagonal_iiT6_lPT7_lllS6_lllPT8_llli.num_named_barrier, 0
	.set _ZL30rocblas_trmm_outofplace_kernelI19rocblas_complex_numIdELi32ELi2ELb0ELb1ELb1ELb0ES1_KS1_S1_Ev17rocblas_diagonal_iiT6_lPT7_lllS6_lllPT8_llli.private_seg_size, 0
	.set _ZL30rocblas_trmm_outofplace_kernelI19rocblas_complex_numIdELi32ELi2ELb0ELb1ELb1ELb0ES1_KS1_S1_Ev17rocblas_diagonal_iiT6_lPT7_lllS6_lllPT8_llli.uses_vcc, 1
	.set _ZL30rocblas_trmm_outofplace_kernelI19rocblas_complex_numIdELi32ELi2ELb0ELb1ELb1ELb0ES1_KS1_S1_Ev17rocblas_diagonal_iiT6_lPT7_lllS6_lllPT8_llli.uses_flat_scratch, 0
	.set _ZL30rocblas_trmm_outofplace_kernelI19rocblas_complex_numIdELi32ELi2ELb0ELb1ELb1ELb0ES1_KS1_S1_Ev17rocblas_diagonal_iiT6_lPT7_lllS6_lllPT8_llli.has_dyn_sized_stack, 0
	.set _ZL30rocblas_trmm_outofplace_kernelI19rocblas_complex_numIdELi32ELi2ELb0ELb1ELb1ELb0ES1_KS1_S1_Ev17rocblas_diagonal_iiT6_lPT7_lllS6_lllPT8_llli.has_recursion, 0
	.set _ZL30rocblas_trmm_outofplace_kernelI19rocblas_complex_numIdELi32ELi2ELb0ELb1ELb1ELb0ES1_KS1_S1_Ev17rocblas_diagonal_iiT6_lPT7_lllS6_lllPT8_llli.has_indirect_call, 0
	.section	.AMDGPU.csdata,"",@progbits
; Kernel info:
; codeLenInByte = 10128
; TotalNumSgprs: 56
; NumVgprs: 88
; ScratchSize: 0
; MemoryBound: 0
; FloatMode: 240
; IeeeMode: 1
; LDSByteSize: 32768 bytes/workgroup (compile time only)
; SGPRBlocks: 0
; VGPRBlocks: 10
; NumSGPRsForWavesPerEU: 56
; NumVGPRsForWavesPerEU: 88
; Occupancy: 10
; WaveLimiterHint : 0
; COMPUTE_PGM_RSRC2:SCRATCH_EN: 0
; COMPUTE_PGM_RSRC2:USER_SGPR: 6
; COMPUTE_PGM_RSRC2:TRAP_HANDLER: 0
; COMPUTE_PGM_RSRC2:TGID_X_EN: 1
; COMPUTE_PGM_RSRC2:TGID_Y_EN: 1
; COMPUTE_PGM_RSRC2:TGID_Z_EN: 1
; COMPUTE_PGM_RSRC2:TIDIG_COMP_CNT: 1
	.section	.text._ZL30rocblas_trmm_outofplace_kernelI19rocblas_complex_numIdELi32ELi2ELb0ELb0ELb1ELb1EPKS1_S2_S1_Ev17rocblas_diagonal_iiT6_lPT7_lllS7_lllPT8_llli,"axG",@progbits,_ZL30rocblas_trmm_outofplace_kernelI19rocblas_complex_numIdELi32ELi2ELb0ELb0ELb1ELb1EPKS1_S2_S1_Ev17rocblas_diagonal_iiT6_lPT7_lllS7_lllPT8_llli,comdat
	.globl	_ZL30rocblas_trmm_outofplace_kernelI19rocblas_complex_numIdELi32ELi2ELb0ELb0ELb1ELb1EPKS1_S2_S1_Ev17rocblas_diagonal_iiT6_lPT7_lllS7_lllPT8_llli ; -- Begin function _ZL30rocblas_trmm_outofplace_kernelI19rocblas_complex_numIdELi32ELi2ELb0ELb0ELb1ELb1EPKS1_S2_S1_Ev17rocblas_diagonal_iiT6_lPT7_lllS7_lllPT8_llli
	.p2align	8
	.type	_ZL30rocblas_trmm_outofplace_kernelI19rocblas_complex_numIdELi32ELi2ELb0ELb0ELb1ELb1EPKS1_S2_S1_Ev17rocblas_diagonal_iiT6_lPT7_lllS7_lllPT8_llli,@function
_ZL30rocblas_trmm_outofplace_kernelI19rocblas_complex_numIdELi32ELi2ELb0ELb0ELb1ELb1EPKS1_S2_S1_Ev17rocblas_diagonal_iiT6_lPT7_lllS7_lllPT8_llli: ; @_ZL30rocblas_trmm_outofplace_kernelI19rocblas_complex_numIdELi32ELi2ELb0ELb0ELb1ELb1EPKS1_S2_S1_Ev17rocblas_diagonal_iiT6_lPT7_lllS7_lllPT8_llli
; %bb.0:
	s_load_dwordx16 s[12:27], s[4:5], 0x10
	s_waitcnt lgkmcnt(0)
	s_mul_i32 s1, s15, s8
	s_mul_hi_u32 s2, s14, s8
	s_mul_i32 s0, s14, s8
	s_add_i32 s1, s2, s1
	s_lshl_b64 s[0:1], s[0:1], 4
	s_add_u32 s0, s12, s0
	s_addc_u32 s1, s13, s1
	s_load_dwordx4 s[12:15], s[0:1], 0x0
	s_waitcnt lgkmcnt(0)
	v_cmp_eq_f64_e64 s0, s[12:13], 0
	v_cmp_eq_f64_e64 s1, s[14:15], 0
	s_and_b32 s0, s0, s1
	s_and_b32 vcc_lo, exec_lo, s0
	s_cbranch_vccnz .LBB128_63
; %bb.1:
	s_load_dwordx4 s[28:31], s[4:5], 0x0
	s_waitcnt lgkmcnt(0)
	s_add_i32 s0, s30, -1
	s_ashr_i32 s1, s0, 31
	s_lshr_b32 s1, s1, 27
	s_add_i32 s0, s0, s1
	s_ashr_i32 s33, s0, 5
	s_cmp_gt_i32 s7, s33
	s_cbranch_scc1 .LBB128_63
; %bb.2:
	s_clause 0x2
	s_load_dwordx4 s[44:47], s[4:5], 0x70
	s_load_dword s50, s[4:5], 0x8c
	s_load_dwordx8 s[36:43], s[4:5], 0x50
	v_mad_u64_u32 v[2:3], null, s20, v0, 0
	s_mul_i32 s1, s23, s8
	s_mul_hi_u32 s2, s22, s8
	s_mul_i32 s0, s22, s8
	s_add_i32 s1, s2, s1
	v_lshlrev_b32_e32 v11, 4, v0
	s_lshl_b64 s[10:11], s[0:1], 4
	v_mad_u64_u32 v[3:4], null, s21, v0, v[3:4]
	s_add_u32 s0, s16, s10
	s_addc_u32 s1, s17, s11
	s_lshl_b64 s[48:49], s[18:19], 4
	v_lshl_add_u32 v4, s6, 5, v0
	s_add_u32 s2, s0, s48
	s_addc_u32 s3, s1, s49
	v_lshlrev_b64 v[6:7], 4, v[2:3]
	s_waitcnt lgkmcnt(0)
	s_mul_i32 s1, s47, s8
	s_mul_hi_u32 s4, s46, s8
	s_mul_i32 s0, s46, s8
	s_add_i32 s1, s4, s1
	v_ashrrev_i32_e32 v5, 31, v4
	s_lshl_b64 s[0:1], s[0:1], 4
	v_add_co_u32 v12, vcc_lo, s2, v6
	s_add_u32 s4, s40, s0
	s_addc_u32 s5, s41, s1
	s_lshl_b64 s[0:1], s[42:43], 4
	v_add_co_ci_u32_e64 v13, null, s3, v7, vcc_lo
	s_add_u32 s40, s4, s0
	s_addc_u32 s41, s5, s1
	s_cmpk_eq_i32 s28, 0x84
	v_sub_co_u32 v6, vcc_lo, s29, v4
	s_cselect_b32 s28, -1, 0
	s_ashr_i32 s0, s29, 31
	s_ashr_i32 s31, s30, 31
	v_sub_co_ci_u32_e64 v7, null, s0, v5, vcc_lo
	s_lshl_b64 s[18:19], s[20:21], 9
	s_lshl_b64 s[22:23], s[36:37], 9
	s_mul_i32 s3, s39, s8
	v_cmp_gt_i64_e32 vcc_lo, 1, v[6:7]
	v_cmp_gt_i64_e64 s0, 17, v[6:7]
	v_add_nc_u32_e32 v6, 16, v4
	s_mul_hi_u32 s4, s38, s8
	s_add_u32 s34, s30, -16
	s_addc_u32 s35, s31, -1
	s_add_i32 s5, s4, s3
	s_mul_i32 s4, s38, s8
	s_lshl_b64 s[8:9], s[26:27], 4
	s_lshl_b64 s[4:5], s[4:5], 4
	v_lshlrev_b32_e32 v62, 9, v1
	v_cmp_gt_i32_e64 s1, s29, v4
	v_cmp_gt_i32_e64 s2, s29, v6
	s_lshl_b32 s29, s50, 5
	s_add_u32 s3, s4, s8
	s_addc_u32 s4, s5, s9
	s_add_u32 s3, s24, s3
	v_mad_u64_u32 v[8:9], null, s36, v1, 0
	v_lshl_add_u32 v19, v1, 4, 0x100
	s_addc_u32 s6, s25, s4
	v_or_b32_e32 v63, 0x4000, v11
	v_add_nc_u32_e32 v64, v62, v11
	v_add_nc_u32_e32 v11, 0x100, v11
	s_add_u32 s4, s16, s48
	s_addc_u32 s5, s17, s49
	s_add_u32 s4, s4, s10
	s_addc_u32 s5, s5, s11
	v_mad_u64_u32 v[14:15], null, s36, v19, 0
	v_mad_u64_u32 v[16:17], null, s20, v11, s[4:5]
	v_mov_b32_e32 v3, v9
	v_lshlrev_b64 v[20:21], 4, v[4:5]
	v_ashrrev_i32_e32 v7, 31, v6
	v_add_nc_u32_e32 v65, v63, v62
	v_sub_co_u32 v69, s4, 0, v0
	v_mad_u64_u32 v[9:10], null, s37, v1, v[3:4]
	v_mov_b32_e32 v3, v15
	v_mov_b32_e32 v10, v17
	v_lshlrev_b64 v[26:27], 4, v[6:7]
	v_mov_b32_e32 v2, 0
	v_add_nc_u32_e32 v66, 0x100, v65
	v_mad_u64_u32 v[3:4], null, s37, v19, v[3:4]
	v_mad_u64_u32 v[4:5], null, s21, v11, v[10:11]
	v_add_co_u32 v5, s3, s3, v20
	v_add_co_ci_u32_e64 v10, null, s6, v21, s3
	v_lshlrev_b64 v[22:23], 4, v[8:9]
	v_add_co_u32 v24, s3, 0x100, v5
	v_add_nc_u32_e32 v67, 0x2000, v65
	v_add_nc_u32_e32 v68, 0x2100, v65
	v_sub_co_ci_u32_e64 v70, null, 0, 0, s4
	v_lshl_add_u32 v18, s7, 5, v1
	v_add_co_ci_u32_e64 v25, null, 0, v10, s3
	v_mov_b32_e32 v15, v3
	v_mov_b32_e32 v17, v4
	;; [unrolled: 1-line block ×3, first 2 shown]
	s_branch .LBB128_4
.LBB128_3:                              ;   in Loop: Header=BB128_4 Depth=1
	s_or_b32 exec_lo, exec_lo, s4
	v_add_nc_u32_e32 v18, s29, v18
	s_add_i32 s7, s50, s7
	s_cmp_le_i32 s7, s33
	s_cbranch_scc0 .LBB128_63
.LBB128_4:                              ; =>This Loop Header: Depth=1
                                        ;     Child Loop BB128_7 Depth 2
	s_lshl_b32 s11, s7, 5
	v_mov_b32_e32 v54, 0
	v_add_nc_u32_e32 v28, s11, v1
	v_mov_b32_e32 v56, 0
	v_mov_b32_e32 v46, 0
	;; [unrolled: 1-line block ×15, first 2 shown]
	v_ashrrev_i32_e32 v29, 31, v28
	s_cmp_lt_i32 s7, 0
	s_cbranch_scc1 .LBB128_55
; %bb.5:                                ;   in Loop: Header=BB128_4 Depth=1
	v_ashrrev_i32_e32 v19, 31, v18
	v_add_co_u32 v30, s3, v28, 16
	v_add_co_ci_u32_e64 v31, null, 0, v29, s3
	v_add_co_u32 v32, s3, v69, v18
	v_add_co_ci_u32_e64 v33, null, v70, v19, s3
	v_lshlrev_b64 v[34:35], 4, v[18:19]
	v_add_co_u32 v36, s5, v32, 16
	v_add_co_ci_u32_e64 v37, null, 0, v33, s5
	v_add_co_u32 v38, s5, v32, -16
	v_cmp_le_i64_e64 s4, s[30:31], v[30:31]
	v_mov_b32_e32 v58, 0
	v_mov_b32_e32 v41, v17
	;; [unrolled: 1-line block ×11, first 2 shown]
	v_cmp_le_i32_e64 s3, s30, v28
	v_add_co_ci_u32_e64 v39, null, -1, v33, s5
	v_mov_b32_e32 v59, 0
	v_mov_b32_e32 v40, v16
	;; [unrolled: 1-line block ×11, first 2 shown]
	s_mov_b64 s[16:17], 0
	s_branch .LBB128_7
.LBB128_6:                              ;   in Loop: Header=BB128_7 Depth=2
	s_or_b32 exec_lo, exec_lo, s5
	s_waitcnt lgkmcnt(0)
	s_barrier
	buffer_gl0_inv
	ds_read_b128 v[71:74], v62
	ds_read_b128 v[75:78], v62 offset:16
	ds_read_b128 v[8:11], v62 offset:32
	ds_read_b128 v[4:7], v62 offset:48
	ds_read_b128 v[79:82], v63
	v_add_co_u32 v44, s5, v44, s22
	v_add_co_ci_u32_e64 v45, null, s23, v45, s5
	v_add_co_u32 v42, s5, v42, s18
	v_add_co_ci_u32_e64 v43, null, s19, v43, s5
	v_add_co_u32 v40, s5, v40, s18
	s_add_u32 s16, s16, 32
	v_add_co_ci_u32_e64 v41, null, s19, v41, s5
	s_addc_u32 s17, s17, 0
	s_sub_i32 s6, s16, 32
	s_cmp_ge_i32 s6, s11
	s_waitcnt lgkmcnt(0)
	v_mul_f64 v[83:84], v[73:74], v[81:82]
	v_mul_f64 v[85:86], v[71:72], v[81:82]
	v_fma_f64 v[83:84], v[71:72], v[79:80], -v[83:84]
	v_fma_f64 v[85:86], v[73:74], v[79:80], v[85:86]
	v_add_f64 v[83:84], v[54:55], v[83:84]
	v_add_f64 v[85:86], v[85:86], v[56:57]
	ds_read_b128 v[54:57], v63 offset:256
	s_waitcnt lgkmcnt(0)
	v_mul_f64 v[87:88], v[73:74], v[56:57]
	v_fma_f64 v[87:88], v[71:72], v[54:55], -v[87:88]
	v_mul_f64 v[71:72], v[71:72], v[56:57]
	v_fma_f64 v[71:72], v[73:74], v[54:55], v[71:72]
	v_add_f64 v[73:74], v[46:47], v[87:88]
	v_add_f64 v[71:72], v[71:72], v[48:49]
	ds_read_b128 v[46:49], v62 offset:8192
	s_waitcnt lgkmcnt(0)
	v_mul_f64 v[87:88], v[48:49], v[81:82]
	v_mul_f64 v[81:82], v[46:47], v[81:82]
	v_fma_f64 v[87:88], v[46:47], v[79:80], -v[87:88]
	v_fma_f64 v[79:80], v[48:49], v[79:80], v[81:82]
	v_add_f64 v[81:82], v[50:51], v[87:88]
	v_mul_f64 v[50:51], v[48:49], v[56:57]
	v_add_f64 v[79:80], v[79:80], v[52:53]
	v_fma_f64 v[50:51], v[46:47], v[54:55], -v[50:51]
	v_mul_f64 v[46:47], v[46:47], v[56:57]
	v_add_f64 v[60:61], v[60:61], v[50:51]
	v_fma_f64 v[46:47], v[48:49], v[54:55], v[46:47]
	v_add_f64 v[58:59], v[46:47], v[58:59]
	ds_read_b128 v[46:49], v63 offset:512
	s_waitcnt lgkmcnt(0)
	v_mul_f64 v[50:51], v[77:78], v[48:49]
	v_mul_f64 v[52:53], v[75:76], v[48:49]
	v_fma_f64 v[50:51], v[75:76], v[46:47], -v[50:51]
	v_fma_f64 v[52:53], v[77:78], v[46:47], v[52:53]
	v_add_f64 v[83:84], v[83:84], v[50:51]
	v_add_f64 v[85:86], v[52:53], v[85:86]
	ds_read_b128 v[50:53], v63 offset:768
	s_waitcnt lgkmcnt(0)
	v_mul_f64 v[54:55], v[77:78], v[52:53]
	v_mul_f64 v[56:57], v[75:76], v[52:53]
	v_fma_f64 v[54:55], v[75:76], v[50:51], -v[54:55]
	v_fma_f64 v[56:57], v[77:78], v[50:51], v[56:57]
	v_add_f64 v[73:74], v[73:74], v[54:55]
	v_add_f64 v[71:72], v[56:57], v[71:72]
	ds_read_b128 v[54:57], v62 offset:8208
	s_waitcnt lgkmcnt(0)
	v_mul_f64 v[75:76], v[56:57], v[48:49]
	v_mul_f64 v[48:49], v[54:55], v[48:49]
	v_fma_f64 v[75:76], v[54:55], v[46:47], -v[75:76]
	v_fma_f64 v[46:47], v[56:57], v[46:47], v[48:49]
	v_mul_f64 v[48:49], v[54:55], v[52:53]
	v_add_f64 v[75:76], v[81:82], v[75:76]
	v_add_f64 v[77:78], v[46:47], v[79:80]
	v_mul_f64 v[46:47], v[56:57], v[52:53]
	v_fma_f64 v[48:49], v[56:57], v[50:51], v[48:49]
	v_fma_f64 v[46:47], v[54:55], v[50:51], -v[46:47]
	v_add_f64 v[56:57], v[48:49], v[58:59]
	v_add_f64 v[54:55], v[60:61], v[46:47]
	ds_read_b128 v[46:49], v63 offset:1024
	s_waitcnt lgkmcnt(0)
	v_mul_f64 v[50:51], v[10:11], v[48:49]
	v_mul_f64 v[52:53], v[8:9], v[48:49]
	v_fma_f64 v[50:51], v[8:9], v[46:47], -v[50:51]
	v_fma_f64 v[52:53], v[10:11], v[46:47], v[52:53]
	v_add_f64 v[58:59], v[83:84], v[50:51]
	v_add_f64 v[60:61], v[52:53], v[85:86]
	ds_read_b128 v[50:53], v63 offset:1280
	s_waitcnt lgkmcnt(0)
	v_mul_f64 v[79:80], v[10:11], v[52:53]
	v_fma_f64 v[79:80], v[8:9], v[50:51], -v[79:80]
	v_mul_f64 v[8:9], v[8:9], v[52:53]
	v_add_f64 v[73:74], v[73:74], v[79:80]
	v_fma_f64 v[8:9], v[10:11], v[50:51], v[8:9]
	v_add_f64 v[71:72], v[8:9], v[71:72]
	ds_read_b128 v[8:11], v62 offset:8224
	s_waitcnt lgkmcnt(0)
	v_mul_f64 v[79:80], v[10:11], v[48:49]
	v_mul_f64 v[48:49], v[8:9], v[48:49]
	v_fma_f64 v[79:80], v[8:9], v[46:47], -v[79:80]
	v_fma_f64 v[46:47], v[10:11], v[46:47], v[48:49]
	v_add_f64 v[75:76], v[75:76], v[79:80]
	v_add_f64 v[77:78], v[46:47], v[77:78]
	v_mul_f64 v[46:47], v[10:11], v[52:53]
	v_fma_f64 v[46:47], v[8:9], v[50:51], -v[46:47]
	v_mul_f64 v[8:9], v[8:9], v[52:53]
	v_fma_f64 v[8:9], v[10:11], v[50:51], v[8:9]
	v_add_f64 v[50:51], v[54:55], v[46:47]
	v_add_f64 v[52:53], v[8:9], v[56:57]
	ds_read_b128 v[8:11], v63 offset:1536
	s_waitcnt lgkmcnt(0)
	v_mul_f64 v[46:47], v[6:7], v[10:11]
	v_mul_f64 v[48:49], v[4:5], v[10:11]
	v_fma_f64 v[46:47], v[4:5], v[8:9], -v[46:47]
	v_fma_f64 v[48:49], v[6:7], v[8:9], v[48:49]
	v_add_f64 v[54:55], v[58:59], v[46:47]
	v_add_f64 v[56:57], v[48:49], v[60:61]
	ds_read_b128 v[46:49], v63 offset:1792
	s_waitcnt lgkmcnt(0)
	v_mul_f64 v[58:59], v[6:7], v[48:49]
	v_fma_f64 v[58:59], v[4:5], v[46:47], -v[58:59]
	v_mul_f64 v[4:5], v[4:5], v[48:49]
	v_add_f64 v[58:59], v[73:74], v[58:59]
	v_fma_f64 v[4:5], v[6:7], v[46:47], v[4:5]
	v_add_f64 v[60:61], v[4:5], v[71:72]
	ds_read_b128 v[4:7], v62 offset:8240
	s_waitcnt lgkmcnt(0)
	v_mul_f64 v[71:72], v[6:7], v[10:11]
	v_mul_f64 v[10:11], v[4:5], v[10:11]
	v_fma_f64 v[71:72], v[4:5], v[8:9], -v[71:72]
	v_fma_f64 v[8:9], v[6:7], v[8:9], v[10:11]
	v_add_f64 v[71:72], v[75:76], v[71:72]
	v_add_f64 v[73:74], v[8:9], v[77:78]
	v_mul_f64 v[8:9], v[6:7], v[48:49]
	v_fma_f64 v[8:9], v[4:5], v[46:47], -v[8:9]
	v_mul_f64 v[4:5], v[4:5], v[48:49]
	v_add_f64 v[50:51], v[50:51], v[8:9]
	v_fma_f64 v[4:5], v[6:7], v[46:47], v[4:5]
	v_add_f64 v[52:53], v[4:5], v[52:53]
	ds_read_b128 v[4:7], v62 offset:64
	ds_read_b128 v[8:11], v63 offset:2048
	s_waitcnt lgkmcnt(0)
	v_mul_f64 v[46:47], v[6:7], v[10:11]
	v_mul_f64 v[48:49], v[4:5], v[10:11]
	v_fma_f64 v[46:47], v[4:5], v[8:9], -v[46:47]
	v_fma_f64 v[48:49], v[6:7], v[8:9], v[48:49]
	v_add_f64 v[54:55], v[54:55], v[46:47]
	v_add_f64 v[56:57], v[48:49], v[56:57]
	ds_read_b128 v[46:49], v63 offset:2304
	s_waitcnt lgkmcnt(0)
	v_mul_f64 v[75:76], v[6:7], v[48:49]
	v_fma_f64 v[75:76], v[4:5], v[46:47], -v[75:76]
	v_mul_f64 v[4:5], v[4:5], v[48:49]
	v_add_f64 v[58:59], v[58:59], v[75:76]
	v_fma_f64 v[4:5], v[6:7], v[46:47], v[4:5]
	v_add_f64 v[60:61], v[4:5], v[60:61]
	ds_read_b128 v[4:7], v62 offset:8256
	s_waitcnt lgkmcnt(0)
	v_mul_f64 v[75:76], v[6:7], v[10:11]
	v_mul_f64 v[10:11], v[4:5], v[10:11]
	v_fma_f64 v[75:76], v[4:5], v[8:9], -v[75:76]
	v_fma_f64 v[8:9], v[6:7], v[8:9], v[10:11]
	v_add_f64 v[71:72], v[71:72], v[75:76]
	v_add_f64 v[73:74], v[8:9], v[73:74]
	v_mul_f64 v[8:9], v[6:7], v[48:49]
	v_fma_f64 v[8:9], v[4:5], v[46:47], -v[8:9]
	v_mul_f64 v[4:5], v[4:5], v[48:49]
	v_add_f64 v[50:51], v[50:51], v[8:9]
	v_fma_f64 v[4:5], v[6:7], v[46:47], v[4:5]
	v_add_f64 v[52:53], v[4:5], v[52:53]
	ds_read_b128 v[4:7], v62 offset:80
	ds_read_b128 v[8:11], v63 offset:2560
	s_waitcnt lgkmcnt(0)
	v_mul_f64 v[46:47], v[6:7], v[10:11]
	v_mul_f64 v[48:49], v[4:5], v[10:11]
	v_fma_f64 v[46:47], v[4:5], v[8:9], -v[46:47]
	v_fma_f64 v[48:49], v[6:7], v[8:9], v[48:49]
	v_add_f64 v[54:55], v[54:55], v[46:47]
	v_add_f64 v[56:57], v[48:49], v[56:57]
	ds_read_b128 v[46:49], v63 offset:2816
	s_waitcnt lgkmcnt(0)
	v_mul_f64 v[75:76], v[6:7], v[48:49]
	v_fma_f64 v[75:76], v[4:5], v[46:47], -v[75:76]
	v_mul_f64 v[4:5], v[4:5], v[48:49]
	v_add_f64 v[58:59], v[58:59], v[75:76]
	v_fma_f64 v[4:5], v[6:7], v[46:47], v[4:5]
	v_add_f64 v[60:61], v[4:5], v[60:61]
	ds_read_b128 v[4:7], v62 offset:8272
	s_waitcnt lgkmcnt(0)
	v_mul_f64 v[75:76], v[6:7], v[10:11]
	v_mul_f64 v[10:11], v[4:5], v[10:11]
	v_fma_f64 v[75:76], v[4:5], v[8:9], -v[75:76]
	v_fma_f64 v[8:9], v[6:7], v[8:9], v[10:11]
	v_add_f64 v[71:72], v[71:72], v[75:76]
	v_add_f64 v[73:74], v[8:9], v[73:74]
	v_mul_f64 v[8:9], v[6:7], v[48:49]
	v_fma_f64 v[8:9], v[4:5], v[46:47], -v[8:9]
	v_mul_f64 v[4:5], v[4:5], v[48:49]
	v_add_f64 v[50:51], v[50:51], v[8:9]
	v_fma_f64 v[4:5], v[6:7], v[46:47], v[4:5]
	v_add_f64 v[52:53], v[4:5], v[52:53]
	ds_read_b128 v[4:7], v62 offset:96
	ds_read_b128 v[8:11], v63 offset:3072
	s_waitcnt lgkmcnt(0)
	v_mul_f64 v[46:47], v[6:7], v[10:11]
	v_mul_f64 v[48:49], v[4:5], v[10:11]
	v_fma_f64 v[46:47], v[4:5], v[8:9], -v[46:47]
	v_fma_f64 v[48:49], v[6:7], v[8:9], v[48:49]
	v_add_f64 v[54:55], v[54:55], v[46:47]
	v_add_f64 v[56:57], v[48:49], v[56:57]
	ds_read_b128 v[46:49], v63 offset:3328
	s_waitcnt lgkmcnt(0)
	v_mul_f64 v[75:76], v[6:7], v[48:49]
	v_fma_f64 v[75:76], v[4:5], v[46:47], -v[75:76]
	v_mul_f64 v[4:5], v[4:5], v[48:49]
	v_add_f64 v[58:59], v[58:59], v[75:76]
	v_fma_f64 v[4:5], v[6:7], v[46:47], v[4:5]
	v_add_f64 v[60:61], v[4:5], v[60:61]
	ds_read_b128 v[4:7], v62 offset:8288
	s_waitcnt lgkmcnt(0)
	v_mul_f64 v[75:76], v[6:7], v[10:11]
	v_mul_f64 v[10:11], v[4:5], v[10:11]
	v_fma_f64 v[75:76], v[4:5], v[8:9], -v[75:76]
	v_fma_f64 v[8:9], v[6:7], v[8:9], v[10:11]
	v_add_f64 v[71:72], v[71:72], v[75:76]
	v_add_f64 v[73:74], v[8:9], v[73:74]
	v_mul_f64 v[8:9], v[6:7], v[48:49]
	v_fma_f64 v[8:9], v[4:5], v[46:47], -v[8:9]
	v_mul_f64 v[4:5], v[4:5], v[48:49]
	v_add_f64 v[50:51], v[50:51], v[8:9]
	v_fma_f64 v[4:5], v[6:7], v[46:47], v[4:5]
	v_add_f64 v[52:53], v[4:5], v[52:53]
	ds_read_b128 v[4:7], v62 offset:112
	ds_read_b128 v[8:11], v63 offset:3584
	s_waitcnt lgkmcnt(0)
	v_mul_f64 v[46:47], v[6:7], v[10:11]
	v_mul_f64 v[48:49], v[4:5], v[10:11]
	v_fma_f64 v[46:47], v[4:5], v[8:9], -v[46:47]
	v_fma_f64 v[48:49], v[6:7], v[8:9], v[48:49]
	v_add_f64 v[54:55], v[54:55], v[46:47]
	v_add_f64 v[56:57], v[48:49], v[56:57]
	ds_read_b128 v[46:49], v63 offset:3840
	s_waitcnt lgkmcnt(0)
	v_mul_f64 v[75:76], v[6:7], v[48:49]
	v_fma_f64 v[75:76], v[4:5], v[46:47], -v[75:76]
	v_mul_f64 v[4:5], v[4:5], v[48:49]
	v_add_f64 v[58:59], v[58:59], v[75:76]
	v_fma_f64 v[4:5], v[6:7], v[46:47], v[4:5]
	v_add_f64 v[60:61], v[4:5], v[60:61]
	ds_read_b128 v[4:7], v62 offset:8304
	s_waitcnt lgkmcnt(0)
	v_mul_f64 v[75:76], v[6:7], v[10:11]
	v_mul_f64 v[10:11], v[4:5], v[10:11]
	v_fma_f64 v[75:76], v[4:5], v[8:9], -v[75:76]
	v_fma_f64 v[8:9], v[6:7], v[8:9], v[10:11]
	v_add_f64 v[71:72], v[71:72], v[75:76]
	v_add_f64 v[73:74], v[8:9], v[73:74]
	v_mul_f64 v[8:9], v[6:7], v[48:49]
	v_fma_f64 v[8:9], v[4:5], v[46:47], -v[8:9]
	v_mul_f64 v[4:5], v[4:5], v[48:49]
	v_add_f64 v[50:51], v[50:51], v[8:9]
	v_fma_f64 v[4:5], v[6:7], v[46:47], v[4:5]
	v_add_f64 v[52:53], v[4:5], v[52:53]
	ds_read_b128 v[4:7], v62 offset:128
	ds_read_b128 v[8:11], v63 offset:4096
	s_waitcnt lgkmcnt(0)
	v_mul_f64 v[46:47], v[6:7], v[10:11]
	v_mul_f64 v[48:49], v[4:5], v[10:11]
	v_fma_f64 v[46:47], v[4:5], v[8:9], -v[46:47]
	v_fma_f64 v[48:49], v[6:7], v[8:9], v[48:49]
	v_add_f64 v[54:55], v[54:55], v[46:47]
	v_add_f64 v[56:57], v[48:49], v[56:57]
	ds_read_b128 v[46:49], v63 offset:4352
	s_waitcnt lgkmcnt(0)
	v_mul_f64 v[75:76], v[6:7], v[48:49]
	v_fma_f64 v[75:76], v[4:5], v[46:47], -v[75:76]
	v_mul_f64 v[4:5], v[4:5], v[48:49]
	v_add_f64 v[58:59], v[58:59], v[75:76]
	v_fma_f64 v[4:5], v[6:7], v[46:47], v[4:5]
	v_add_f64 v[60:61], v[4:5], v[60:61]
	ds_read_b128 v[4:7], v62 offset:8320
	s_waitcnt lgkmcnt(0)
	v_mul_f64 v[75:76], v[6:7], v[10:11]
	v_mul_f64 v[10:11], v[4:5], v[10:11]
	v_fma_f64 v[75:76], v[4:5], v[8:9], -v[75:76]
	v_fma_f64 v[8:9], v[6:7], v[8:9], v[10:11]
	v_add_f64 v[71:72], v[71:72], v[75:76]
	v_add_f64 v[73:74], v[8:9], v[73:74]
	v_mul_f64 v[8:9], v[6:7], v[48:49]
	v_fma_f64 v[8:9], v[4:5], v[46:47], -v[8:9]
	v_mul_f64 v[4:5], v[4:5], v[48:49]
	v_add_f64 v[50:51], v[50:51], v[8:9]
	v_fma_f64 v[4:5], v[6:7], v[46:47], v[4:5]
	v_add_f64 v[52:53], v[4:5], v[52:53]
	ds_read_b128 v[4:7], v62 offset:144
	ds_read_b128 v[8:11], v63 offset:4608
	s_waitcnt lgkmcnt(0)
	v_mul_f64 v[46:47], v[6:7], v[10:11]
	v_mul_f64 v[48:49], v[4:5], v[10:11]
	v_fma_f64 v[46:47], v[4:5], v[8:9], -v[46:47]
	v_fma_f64 v[48:49], v[6:7], v[8:9], v[48:49]
	v_add_f64 v[54:55], v[54:55], v[46:47]
	v_add_f64 v[56:57], v[48:49], v[56:57]
	ds_read_b128 v[46:49], v63 offset:4864
	s_waitcnt lgkmcnt(0)
	v_mul_f64 v[75:76], v[6:7], v[48:49]
	v_fma_f64 v[75:76], v[4:5], v[46:47], -v[75:76]
	v_mul_f64 v[4:5], v[4:5], v[48:49]
	v_add_f64 v[58:59], v[58:59], v[75:76]
	v_fma_f64 v[4:5], v[6:7], v[46:47], v[4:5]
	v_add_f64 v[60:61], v[4:5], v[60:61]
	ds_read_b128 v[4:7], v62 offset:8336
	s_waitcnt lgkmcnt(0)
	v_mul_f64 v[75:76], v[6:7], v[10:11]
	v_mul_f64 v[10:11], v[4:5], v[10:11]
	v_fma_f64 v[75:76], v[4:5], v[8:9], -v[75:76]
	v_fma_f64 v[8:9], v[6:7], v[8:9], v[10:11]
	v_add_f64 v[71:72], v[71:72], v[75:76]
	v_add_f64 v[73:74], v[8:9], v[73:74]
	v_mul_f64 v[8:9], v[6:7], v[48:49]
	v_fma_f64 v[8:9], v[4:5], v[46:47], -v[8:9]
	v_mul_f64 v[4:5], v[4:5], v[48:49]
	v_add_f64 v[50:51], v[50:51], v[8:9]
	v_fma_f64 v[4:5], v[6:7], v[46:47], v[4:5]
	v_add_f64 v[52:53], v[4:5], v[52:53]
	ds_read_b128 v[4:7], v62 offset:160
	ds_read_b128 v[8:11], v63 offset:5120
	s_waitcnt lgkmcnt(0)
	v_mul_f64 v[46:47], v[6:7], v[10:11]
	v_mul_f64 v[48:49], v[4:5], v[10:11]
	v_fma_f64 v[46:47], v[4:5], v[8:9], -v[46:47]
	v_fma_f64 v[48:49], v[6:7], v[8:9], v[48:49]
	v_add_f64 v[54:55], v[54:55], v[46:47]
	v_add_f64 v[56:57], v[48:49], v[56:57]
	ds_read_b128 v[46:49], v63 offset:5376
	s_waitcnt lgkmcnt(0)
	v_mul_f64 v[75:76], v[6:7], v[48:49]
	v_fma_f64 v[75:76], v[4:5], v[46:47], -v[75:76]
	v_mul_f64 v[4:5], v[4:5], v[48:49]
	v_add_f64 v[58:59], v[58:59], v[75:76]
	v_fma_f64 v[4:5], v[6:7], v[46:47], v[4:5]
	v_add_f64 v[60:61], v[4:5], v[60:61]
	ds_read_b128 v[4:7], v62 offset:8352
	s_waitcnt lgkmcnt(0)
	v_mul_f64 v[75:76], v[6:7], v[10:11]
	v_mul_f64 v[10:11], v[4:5], v[10:11]
	v_fma_f64 v[75:76], v[4:5], v[8:9], -v[75:76]
	v_fma_f64 v[8:9], v[6:7], v[8:9], v[10:11]
	v_add_f64 v[71:72], v[71:72], v[75:76]
	v_add_f64 v[73:74], v[8:9], v[73:74]
	v_mul_f64 v[8:9], v[6:7], v[48:49]
	v_fma_f64 v[8:9], v[4:5], v[46:47], -v[8:9]
	v_mul_f64 v[4:5], v[4:5], v[48:49]
	v_add_f64 v[50:51], v[50:51], v[8:9]
	v_fma_f64 v[4:5], v[6:7], v[46:47], v[4:5]
	v_add_f64 v[52:53], v[4:5], v[52:53]
	ds_read_b128 v[4:7], v62 offset:176
	ds_read_b128 v[8:11], v63 offset:5632
	s_waitcnt lgkmcnt(0)
	v_mul_f64 v[46:47], v[6:7], v[10:11]
	v_mul_f64 v[48:49], v[4:5], v[10:11]
	v_fma_f64 v[46:47], v[4:5], v[8:9], -v[46:47]
	v_fma_f64 v[48:49], v[6:7], v[8:9], v[48:49]
	v_add_f64 v[54:55], v[54:55], v[46:47]
	v_add_f64 v[56:57], v[48:49], v[56:57]
	ds_read_b128 v[46:49], v63 offset:5888
	s_waitcnt lgkmcnt(0)
	v_mul_f64 v[75:76], v[6:7], v[48:49]
	v_fma_f64 v[75:76], v[4:5], v[46:47], -v[75:76]
	v_mul_f64 v[4:5], v[4:5], v[48:49]
	v_add_f64 v[58:59], v[58:59], v[75:76]
	v_fma_f64 v[4:5], v[6:7], v[46:47], v[4:5]
	v_add_f64 v[60:61], v[4:5], v[60:61]
	ds_read_b128 v[4:7], v62 offset:8368
	s_waitcnt lgkmcnt(0)
	v_mul_f64 v[75:76], v[6:7], v[10:11]
	v_mul_f64 v[10:11], v[4:5], v[10:11]
	v_fma_f64 v[75:76], v[4:5], v[8:9], -v[75:76]
	v_fma_f64 v[8:9], v[6:7], v[8:9], v[10:11]
	v_add_f64 v[71:72], v[71:72], v[75:76]
	v_add_f64 v[73:74], v[8:9], v[73:74]
	v_mul_f64 v[8:9], v[6:7], v[48:49]
	v_fma_f64 v[8:9], v[4:5], v[46:47], -v[8:9]
	v_mul_f64 v[4:5], v[4:5], v[48:49]
	v_add_f64 v[50:51], v[50:51], v[8:9]
	v_fma_f64 v[4:5], v[6:7], v[46:47], v[4:5]
	v_add_f64 v[52:53], v[4:5], v[52:53]
	ds_read_b128 v[4:7], v62 offset:192
	ds_read_b128 v[8:11], v63 offset:6144
	s_waitcnt lgkmcnt(0)
	v_mul_f64 v[46:47], v[6:7], v[10:11]
	v_mul_f64 v[48:49], v[4:5], v[10:11]
	v_fma_f64 v[46:47], v[4:5], v[8:9], -v[46:47]
	v_fma_f64 v[48:49], v[6:7], v[8:9], v[48:49]
	v_add_f64 v[54:55], v[54:55], v[46:47]
	v_add_f64 v[56:57], v[48:49], v[56:57]
	ds_read_b128 v[46:49], v63 offset:6400
	s_waitcnt lgkmcnt(0)
	v_mul_f64 v[75:76], v[6:7], v[48:49]
	v_fma_f64 v[75:76], v[4:5], v[46:47], -v[75:76]
	v_mul_f64 v[4:5], v[4:5], v[48:49]
	v_add_f64 v[58:59], v[58:59], v[75:76]
	v_fma_f64 v[4:5], v[6:7], v[46:47], v[4:5]
	v_add_f64 v[60:61], v[4:5], v[60:61]
	ds_read_b128 v[4:7], v62 offset:8384
	s_waitcnt lgkmcnt(0)
	v_mul_f64 v[75:76], v[6:7], v[10:11]
	v_mul_f64 v[10:11], v[4:5], v[10:11]
	v_fma_f64 v[75:76], v[4:5], v[8:9], -v[75:76]
	v_fma_f64 v[8:9], v[6:7], v[8:9], v[10:11]
	v_add_f64 v[71:72], v[71:72], v[75:76]
	v_add_f64 v[73:74], v[8:9], v[73:74]
	v_mul_f64 v[8:9], v[6:7], v[48:49]
	v_fma_f64 v[8:9], v[4:5], v[46:47], -v[8:9]
	v_mul_f64 v[4:5], v[4:5], v[48:49]
	v_add_f64 v[50:51], v[50:51], v[8:9]
	v_fma_f64 v[4:5], v[6:7], v[46:47], v[4:5]
	v_add_f64 v[52:53], v[4:5], v[52:53]
	ds_read_b128 v[4:7], v62 offset:208
	ds_read_b128 v[8:11], v63 offset:6656
	s_waitcnt lgkmcnt(0)
	v_mul_f64 v[46:47], v[6:7], v[10:11]
	v_mul_f64 v[48:49], v[4:5], v[10:11]
	v_fma_f64 v[46:47], v[4:5], v[8:9], -v[46:47]
	v_fma_f64 v[48:49], v[6:7], v[8:9], v[48:49]
	v_add_f64 v[54:55], v[54:55], v[46:47]
	v_add_f64 v[56:57], v[48:49], v[56:57]
	ds_read_b128 v[46:49], v63 offset:6912
	s_waitcnt lgkmcnt(0)
	v_mul_f64 v[75:76], v[6:7], v[48:49]
	v_fma_f64 v[75:76], v[4:5], v[46:47], -v[75:76]
	v_mul_f64 v[4:5], v[4:5], v[48:49]
	v_add_f64 v[58:59], v[58:59], v[75:76]
	v_fma_f64 v[4:5], v[6:7], v[46:47], v[4:5]
	v_add_f64 v[60:61], v[4:5], v[60:61]
	ds_read_b128 v[4:7], v62 offset:8400
	s_waitcnt lgkmcnt(0)
	v_mul_f64 v[75:76], v[6:7], v[10:11]
	v_mul_f64 v[10:11], v[4:5], v[10:11]
	v_fma_f64 v[75:76], v[4:5], v[8:9], -v[75:76]
	v_fma_f64 v[8:9], v[6:7], v[8:9], v[10:11]
	v_add_f64 v[71:72], v[71:72], v[75:76]
	v_add_f64 v[73:74], v[8:9], v[73:74]
	v_mul_f64 v[8:9], v[6:7], v[48:49]
	v_fma_f64 v[8:9], v[4:5], v[46:47], -v[8:9]
	v_mul_f64 v[4:5], v[4:5], v[48:49]
	v_add_f64 v[50:51], v[50:51], v[8:9]
	v_fma_f64 v[4:5], v[6:7], v[46:47], v[4:5]
	v_add_f64 v[52:53], v[4:5], v[52:53]
	ds_read_b128 v[4:7], v62 offset:224
	ds_read_b128 v[8:11], v63 offset:7168
	s_waitcnt lgkmcnt(0)
	v_mul_f64 v[46:47], v[6:7], v[10:11]
	v_mul_f64 v[48:49], v[4:5], v[10:11]
	v_fma_f64 v[46:47], v[4:5], v[8:9], -v[46:47]
	v_fma_f64 v[48:49], v[6:7], v[8:9], v[48:49]
	v_add_f64 v[54:55], v[54:55], v[46:47]
	v_add_f64 v[56:57], v[48:49], v[56:57]
	ds_read_b128 v[46:49], v63 offset:7424
	s_waitcnt lgkmcnt(0)
	v_mul_f64 v[75:76], v[6:7], v[48:49]
	v_fma_f64 v[75:76], v[4:5], v[46:47], -v[75:76]
	v_mul_f64 v[4:5], v[4:5], v[48:49]
	v_add_f64 v[58:59], v[58:59], v[75:76]
	v_fma_f64 v[4:5], v[6:7], v[46:47], v[4:5]
	v_add_f64 v[60:61], v[4:5], v[60:61]
	ds_read_b128 v[4:7], v62 offset:8416
	s_waitcnt lgkmcnt(0)
	v_mul_f64 v[75:76], v[6:7], v[10:11]
	v_mul_f64 v[10:11], v[4:5], v[10:11]
	v_fma_f64 v[75:76], v[4:5], v[8:9], -v[75:76]
	v_fma_f64 v[8:9], v[6:7], v[8:9], v[10:11]
	v_add_f64 v[71:72], v[71:72], v[75:76]
	v_add_f64 v[73:74], v[8:9], v[73:74]
	v_mul_f64 v[8:9], v[6:7], v[48:49]
	v_fma_f64 v[8:9], v[4:5], v[46:47], -v[8:9]
	v_mul_f64 v[4:5], v[4:5], v[48:49]
	v_add_f64 v[50:51], v[50:51], v[8:9]
	v_fma_f64 v[4:5], v[6:7], v[46:47], v[4:5]
	v_add_f64 v[52:53], v[4:5], v[52:53]
	ds_read_b128 v[4:7], v62 offset:240
	ds_read_b128 v[8:11], v63 offset:7680
	s_waitcnt lgkmcnt(0)
	v_mul_f64 v[46:47], v[6:7], v[10:11]
	v_mul_f64 v[48:49], v[4:5], v[10:11]
	v_fma_f64 v[46:47], v[4:5], v[8:9], -v[46:47]
	v_fma_f64 v[48:49], v[6:7], v[8:9], v[48:49]
	v_add_f64 v[54:55], v[54:55], v[46:47]
	v_add_f64 v[56:57], v[48:49], v[56:57]
	ds_read_b128 v[46:49], v63 offset:7936
	s_waitcnt lgkmcnt(0)
	v_mul_f64 v[75:76], v[6:7], v[48:49]
	v_fma_f64 v[75:76], v[4:5], v[46:47], -v[75:76]
	v_mul_f64 v[4:5], v[4:5], v[48:49]
	v_add_f64 v[58:59], v[58:59], v[75:76]
	v_fma_f64 v[4:5], v[6:7], v[46:47], v[4:5]
	v_add_f64 v[60:61], v[4:5], v[60:61]
	ds_read_b128 v[4:7], v62 offset:8432
	s_waitcnt lgkmcnt(0)
	v_mul_f64 v[75:76], v[6:7], v[10:11]
	v_mul_f64 v[10:11], v[4:5], v[10:11]
	v_fma_f64 v[75:76], v[4:5], v[8:9], -v[75:76]
	v_fma_f64 v[8:9], v[6:7], v[8:9], v[10:11]
	v_add_f64 v[71:72], v[71:72], v[75:76]
	v_add_f64 v[73:74], v[8:9], v[73:74]
	v_mul_f64 v[8:9], v[6:7], v[48:49]
	v_fma_f64 v[8:9], v[4:5], v[46:47], -v[8:9]
	v_mul_f64 v[4:5], v[4:5], v[48:49]
	v_add_f64 v[50:51], v[50:51], v[8:9]
	v_fma_f64 v[4:5], v[6:7], v[46:47], v[4:5]
	v_add_f64 v[52:53], v[4:5], v[52:53]
	ds_read_b128 v[4:7], v62 offset:256
	ds_read_b128 v[8:11], v63 offset:8192
	s_waitcnt lgkmcnt(0)
	v_mul_f64 v[46:47], v[6:7], v[10:11]
	v_mul_f64 v[48:49], v[4:5], v[10:11]
	v_fma_f64 v[46:47], v[4:5], v[8:9], -v[46:47]
	v_fma_f64 v[48:49], v[6:7], v[8:9], v[48:49]
	v_add_f64 v[54:55], v[54:55], v[46:47]
	v_add_f64 v[56:57], v[48:49], v[56:57]
	ds_read_b128 v[46:49], v63 offset:8448
	s_waitcnt lgkmcnt(0)
	v_mul_f64 v[75:76], v[6:7], v[48:49]
	v_fma_f64 v[75:76], v[4:5], v[46:47], -v[75:76]
	v_mul_f64 v[4:5], v[4:5], v[48:49]
	v_add_f64 v[58:59], v[58:59], v[75:76]
	v_fma_f64 v[4:5], v[6:7], v[46:47], v[4:5]
	v_add_f64 v[60:61], v[4:5], v[60:61]
	ds_read_b128 v[4:7], v62 offset:8448
	s_waitcnt lgkmcnt(0)
	v_mul_f64 v[75:76], v[6:7], v[10:11]
	v_mul_f64 v[10:11], v[4:5], v[10:11]
	v_fma_f64 v[75:76], v[4:5], v[8:9], -v[75:76]
	v_fma_f64 v[8:9], v[6:7], v[8:9], v[10:11]
	v_add_f64 v[71:72], v[71:72], v[75:76]
	v_add_f64 v[73:74], v[8:9], v[73:74]
	v_mul_f64 v[8:9], v[6:7], v[48:49]
	v_fma_f64 v[8:9], v[4:5], v[46:47], -v[8:9]
	v_mul_f64 v[4:5], v[4:5], v[48:49]
	v_add_f64 v[50:51], v[50:51], v[8:9]
	v_fma_f64 v[4:5], v[6:7], v[46:47], v[4:5]
	v_add_f64 v[52:53], v[4:5], v[52:53]
	ds_read_b128 v[4:7], v62 offset:272
	ds_read_b128 v[8:11], v63 offset:8704
	s_waitcnt lgkmcnt(0)
	v_mul_f64 v[46:47], v[6:7], v[10:11]
	v_mul_f64 v[48:49], v[4:5], v[10:11]
	v_fma_f64 v[46:47], v[4:5], v[8:9], -v[46:47]
	v_fma_f64 v[48:49], v[6:7], v[8:9], v[48:49]
	v_add_f64 v[54:55], v[54:55], v[46:47]
	v_add_f64 v[56:57], v[48:49], v[56:57]
	ds_read_b128 v[46:49], v63 offset:8960
	s_waitcnt lgkmcnt(0)
	v_mul_f64 v[75:76], v[6:7], v[48:49]
	v_fma_f64 v[75:76], v[4:5], v[46:47], -v[75:76]
	v_mul_f64 v[4:5], v[4:5], v[48:49]
	v_add_f64 v[58:59], v[58:59], v[75:76]
	v_fma_f64 v[4:5], v[6:7], v[46:47], v[4:5]
	v_add_f64 v[60:61], v[4:5], v[60:61]
	ds_read_b128 v[4:7], v62 offset:8464
	s_waitcnt lgkmcnt(0)
	v_mul_f64 v[75:76], v[6:7], v[10:11]
	v_mul_f64 v[10:11], v[4:5], v[10:11]
	v_fma_f64 v[75:76], v[4:5], v[8:9], -v[75:76]
	v_fma_f64 v[8:9], v[6:7], v[8:9], v[10:11]
	v_add_f64 v[71:72], v[71:72], v[75:76]
	v_add_f64 v[73:74], v[8:9], v[73:74]
	v_mul_f64 v[8:9], v[6:7], v[48:49]
	v_fma_f64 v[8:9], v[4:5], v[46:47], -v[8:9]
	v_mul_f64 v[4:5], v[4:5], v[48:49]
	v_add_f64 v[50:51], v[50:51], v[8:9]
	v_fma_f64 v[4:5], v[6:7], v[46:47], v[4:5]
	v_add_f64 v[52:53], v[4:5], v[52:53]
	ds_read_b128 v[4:7], v62 offset:288
	ds_read_b128 v[8:11], v63 offset:9216
	s_waitcnt lgkmcnt(0)
	v_mul_f64 v[46:47], v[6:7], v[10:11]
	v_mul_f64 v[48:49], v[4:5], v[10:11]
	v_fma_f64 v[46:47], v[4:5], v[8:9], -v[46:47]
	v_fma_f64 v[48:49], v[6:7], v[8:9], v[48:49]
	v_add_f64 v[54:55], v[54:55], v[46:47]
	v_add_f64 v[56:57], v[48:49], v[56:57]
	ds_read_b128 v[46:49], v63 offset:9472
	s_waitcnt lgkmcnt(0)
	v_mul_f64 v[75:76], v[6:7], v[48:49]
	v_fma_f64 v[75:76], v[4:5], v[46:47], -v[75:76]
	v_mul_f64 v[4:5], v[4:5], v[48:49]
	v_add_f64 v[58:59], v[58:59], v[75:76]
	v_fma_f64 v[4:5], v[6:7], v[46:47], v[4:5]
	v_add_f64 v[60:61], v[4:5], v[60:61]
	ds_read_b128 v[4:7], v62 offset:8480
	s_waitcnt lgkmcnt(0)
	v_mul_f64 v[75:76], v[6:7], v[10:11]
	v_mul_f64 v[10:11], v[4:5], v[10:11]
	v_fma_f64 v[75:76], v[4:5], v[8:9], -v[75:76]
	v_fma_f64 v[8:9], v[6:7], v[8:9], v[10:11]
	v_add_f64 v[71:72], v[71:72], v[75:76]
	v_add_f64 v[73:74], v[8:9], v[73:74]
	v_mul_f64 v[8:9], v[6:7], v[48:49]
	v_fma_f64 v[8:9], v[4:5], v[46:47], -v[8:9]
	v_mul_f64 v[4:5], v[4:5], v[48:49]
	v_add_f64 v[50:51], v[50:51], v[8:9]
	v_fma_f64 v[4:5], v[6:7], v[46:47], v[4:5]
	v_add_f64 v[52:53], v[4:5], v[52:53]
	ds_read_b128 v[4:7], v62 offset:304
	ds_read_b128 v[8:11], v63 offset:9728
	s_waitcnt lgkmcnt(0)
	v_mul_f64 v[46:47], v[6:7], v[10:11]
	v_mul_f64 v[48:49], v[4:5], v[10:11]
	v_fma_f64 v[46:47], v[4:5], v[8:9], -v[46:47]
	v_fma_f64 v[48:49], v[6:7], v[8:9], v[48:49]
	v_add_f64 v[54:55], v[54:55], v[46:47]
	v_add_f64 v[56:57], v[48:49], v[56:57]
	ds_read_b128 v[46:49], v63 offset:9984
	s_waitcnt lgkmcnt(0)
	v_mul_f64 v[75:76], v[6:7], v[48:49]
	v_fma_f64 v[75:76], v[4:5], v[46:47], -v[75:76]
	v_mul_f64 v[4:5], v[4:5], v[48:49]
	v_add_f64 v[58:59], v[58:59], v[75:76]
	v_fma_f64 v[4:5], v[6:7], v[46:47], v[4:5]
	v_add_f64 v[60:61], v[4:5], v[60:61]
	ds_read_b128 v[4:7], v62 offset:8496
	s_waitcnt lgkmcnt(0)
	v_mul_f64 v[75:76], v[6:7], v[10:11]
	v_mul_f64 v[10:11], v[4:5], v[10:11]
	v_fma_f64 v[75:76], v[4:5], v[8:9], -v[75:76]
	v_fma_f64 v[8:9], v[6:7], v[8:9], v[10:11]
	v_add_f64 v[71:72], v[71:72], v[75:76]
	v_add_f64 v[73:74], v[8:9], v[73:74]
	v_mul_f64 v[8:9], v[6:7], v[48:49]
	v_fma_f64 v[8:9], v[4:5], v[46:47], -v[8:9]
	v_mul_f64 v[4:5], v[4:5], v[48:49]
	v_add_f64 v[50:51], v[50:51], v[8:9]
	v_fma_f64 v[4:5], v[6:7], v[46:47], v[4:5]
	v_add_f64 v[52:53], v[4:5], v[52:53]
	ds_read_b128 v[4:7], v62 offset:320
	ds_read_b128 v[8:11], v63 offset:10240
	s_waitcnt lgkmcnt(0)
	v_mul_f64 v[46:47], v[6:7], v[10:11]
	v_mul_f64 v[48:49], v[4:5], v[10:11]
	v_fma_f64 v[46:47], v[4:5], v[8:9], -v[46:47]
	v_fma_f64 v[48:49], v[6:7], v[8:9], v[48:49]
	v_add_f64 v[54:55], v[54:55], v[46:47]
	v_add_f64 v[56:57], v[48:49], v[56:57]
	ds_read_b128 v[46:49], v63 offset:10496
	s_waitcnt lgkmcnt(0)
	v_mul_f64 v[75:76], v[6:7], v[48:49]
	v_fma_f64 v[75:76], v[4:5], v[46:47], -v[75:76]
	v_mul_f64 v[4:5], v[4:5], v[48:49]
	v_add_f64 v[58:59], v[58:59], v[75:76]
	v_fma_f64 v[4:5], v[6:7], v[46:47], v[4:5]
	v_add_f64 v[60:61], v[4:5], v[60:61]
	ds_read_b128 v[4:7], v62 offset:8512
	s_waitcnt lgkmcnt(0)
	v_mul_f64 v[75:76], v[6:7], v[10:11]
	v_mul_f64 v[10:11], v[4:5], v[10:11]
	v_fma_f64 v[75:76], v[4:5], v[8:9], -v[75:76]
	v_fma_f64 v[8:9], v[6:7], v[8:9], v[10:11]
	v_add_f64 v[71:72], v[71:72], v[75:76]
	v_add_f64 v[73:74], v[8:9], v[73:74]
	v_mul_f64 v[8:9], v[6:7], v[48:49]
	v_fma_f64 v[8:9], v[4:5], v[46:47], -v[8:9]
	v_mul_f64 v[4:5], v[4:5], v[48:49]
	v_add_f64 v[50:51], v[50:51], v[8:9]
	v_fma_f64 v[4:5], v[6:7], v[46:47], v[4:5]
	v_add_f64 v[52:53], v[4:5], v[52:53]
	ds_read_b128 v[4:7], v62 offset:336
	ds_read_b128 v[8:11], v63 offset:10752
	s_waitcnt lgkmcnt(0)
	v_mul_f64 v[46:47], v[6:7], v[10:11]
	v_mul_f64 v[48:49], v[4:5], v[10:11]
	v_fma_f64 v[46:47], v[4:5], v[8:9], -v[46:47]
	v_fma_f64 v[48:49], v[6:7], v[8:9], v[48:49]
	v_add_f64 v[54:55], v[54:55], v[46:47]
	v_add_f64 v[56:57], v[48:49], v[56:57]
	ds_read_b128 v[46:49], v63 offset:11008
	s_waitcnt lgkmcnt(0)
	v_mul_f64 v[75:76], v[6:7], v[48:49]
	v_fma_f64 v[75:76], v[4:5], v[46:47], -v[75:76]
	v_mul_f64 v[4:5], v[4:5], v[48:49]
	v_add_f64 v[58:59], v[58:59], v[75:76]
	v_fma_f64 v[4:5], v[6:7], v[46:47], v[4:5]
	v_add_f64 v[60:61], v[4:5], v[60:61]
	ds_read_b128 v[4:7], v62 offset:8528
	s_waitcnt lgkmcnt(0)
	v_mul_f64 v[75:76], v[6:7], v[10:11]
	v_mul_f64 v[10:11], v[4:5], v[10:11]
	v_fma_f64 v[75:76], v[4:5], v[8:9], -v[75:76]
	v_fma_f64 v[8:9], v[6:7], v[8:9], v[10:11]
	v_add_f64 v[71:72], v[71:72], v[75:76]
	v_add_f64 v[73:74], v[8:9], v[73:74]
	v_mul_f64 v[8:9], v[6:7], v[48:49]
	v_fma_f64 v[8:9], v[4:5], v[46:47], -v[8:9]
	v_mul_f64 v[4:5], v[4:5], v[48:49]
	v_add_f64 v[50:51], v[50:51], v[8:9]
	v_fma_f64 v[4:5], v[6:7], v[46:47], v[4:5]
	v_add_f64 v[52:53], v[4:5], v[52:53]
	ds_read_b128 v[4:7], v62 offset:352
	ds_read_b128 v[8:11], v63 offset:11264
	s_waitcnt lgkmcnt(0)
	v_mul_f64 v[46:47], v[6:7], v[10:11]
	v_mul_f64 v[48:49], v[4:5], v[10:11]
	v_fma_f64 v[46:47], v[4:5], v[8:9], -v[46:47]
	v_fma_f64 v[48:49], v[6:7], v[8:9], v[48:49]
	v_add_f64 v[54:55], v[54:55], v[46:47]
	v_add_f64 v[56:57], v[48:49], v[56:57]
	ds_read_b128 v[46:49], v63 offset:11520
	s_waitcnt lgkmcnt(0)
	v_mul_f64 v[75:76], v[6:7], v[48:49]
	v_fma_f64 v[75:76], v[4:5], v[46:47], -v[75:76]
	v_mul_f64 v[4:5], v[4:5], v[48:49]
	v_add_f64 v[58:59], v[58:59], v[75:76]
	v_fma_f64 v[4:5], v[6:7], v[46:47], v[4:5]
	v_add_f64 v[60:61], v[4:5], v[60:61]
	ds_read_b128 v[4:7], v62 offset:8544
	s_waitcnt lgkmcnt(0)
	v_mul_f64 v[75:76], v[6:7], v[10:11]
	v_mul_f64 v[10:11], v[4:5], v[10:11]
	v_fma_f64 v[75:76], v[4:5], v[8:9], -v[75:76]
	v_fma_f64 v[8:9], v[6:7], v[8:9], v[10:11]
	v_add_f64 v[71:72], v[71:72], v[75:76]
	v_add_f64 v[73:74], v[8:9], v[73:74]
	v_mul_f64 v[8:9], v[6:7], v[48:49]
	v_fma_f64 v[8:9], v[4:5], v[46:47], -v[8:9]
	v_mul_f64 v[4:5], v[4:5], v[48:49]
	v_add_f64 v[50:51], v[50:51], v[8:9]
	v_fma_f64 v[4:5], v[6:7], v[46:47], v[4:5]
	v_add_f64 v[52:53], v[4:5], v[52:53]
	ds_read_b128 v[4:7], v62 offset:368
	ds_read_b128 v[8:11], v63 offset:11776
	s_waitcnt lgkmcnt(0)
	v_mul_f64 v[46:47], v[6:7], v[10:11]
	v_mul_f64 v[48:49], v[4:5], v[10:11]
	v_fma_f64 v[46:47], v[4:5], v[8:9], -v[46:47]
	v_fma_f64 v[48:49], v[6:7], v[8:9], v[48:49]
	v_add_f64 v[54:55], v[54:55], v[46:47]
	v_add_f64 v[56:57], v[48:49], v[56:57]
	ds_read_b128 v[46:49], v63 offset:12032
	s_waitcnt lgkmcnt(0)
	v_mul_f64 v[75:76], v[6:7], v[48:49]
	v_fma_f64 v[75:76], v[4:5], v[46:47], -v[75:76]
	v_mul_f64 v[4:5], v[4:5], v[48:49]
	v_add_f64 v[58:59], v[58:59], v[75:76]
	v_fma_f64 v[4:5], v[6:7], v[46:47], v[4:5]
	v_add_f64 v[60:61], v[4:5], v[60:61]
	ds_read_b128 v[4:7], v62 offset:8560
	s_waitcnt lgkmcnt(0)
	v_mul_f64 v[75:76], v[6:7], v[10:11]
	v_mul_f64 v[10:11], v[4:5], v[10:11]
	v_fma_f64 v[75:76], v[4:5], v[8:9], -v[75:76]
	v_fma_f64 v[8:9], v[6:7], v[8:9], v[10:11]
	v_add_f64 v[71:72], v[71:72], v[75:76]
	v_add_f64 v[73:74], v[8:9], v[73:74]
	v_mul_f64 v[8:9], v[6:7], v[48:49]
	v_fma_f64 v[8:9], v[4:5], v[46:47], -v[8:9]
	v_mul_f64 v[4:5], v[4:5], v[48:49]
	v_add_f64 v[50:51], v[50:51], v[8:9]
	v_fma_f64 v[4:5], v[6:7], v[46:47], v[4:5]
	v_add_f64 v[52:53], v[4:5], v[52:53]
	ds_read_b128 v[4:7], v62 offset:384
	ds_read_b128 v[8:11], v63 offset:12288
	s_waitcnt lgkmcnt(0)
	v_mul_f64 v[46:47], v[6:7], v[10:11]
	v_mul_f64 v[48:49], v[4:5], v[10:11]
	v_fma_f64 v[46:47], v[4:5], v[8:9], -v[46:47]
	v_fma_f64 v[48:49], v[6:7], v[8:9], v[48:49]
	v_add_f64 v[54:55], v[54:55], v[46:47]
	v_add_f64 v[56:57], v[48:49], v[56:57]
	ds_read_b128 v[46:49], v63 offset:12544
	s_waitcnt lgkmcnt(0)
	v_mul_f64 v[75:76], v[6:7], v[48:49]
	v_fma_f64 v[75:76], v[4:5], v[46:47], -v[75:76]
	v_mul_f64 v[4:5], v[4:5], v[48:49]
	v_add_f64 v[58:59], v[58:59], v[75:76]
	v_fma_f64 v[4:5], v[6:7], v[46:47], v[4:5]
	v_add_f64 v[60:61], v[4:5], v[60:61]
	ds_read_b128 v[4:7], v62 offset:8576
	s_waitcnt lgkmcnt(0)
	v_mul_f64 v[75:76], v[6:7], v[10:11]
	v_mul_f64 v[10:11], v[4:5], v[10:11]
	v_fma_f64 v[75:76], v[4:5], v[8:9], -v[75:76]
	v_fma_f64 v[8:9], v[6:7], v[8:9], v[10:11]
	v_add_f64 v[71:72], v[71:72], v[75:76]
	v_add_f64 v[73:74], v[8:9], v[73:74]
	v_mul_f64 v[8:9], v[6:7], v[48:49]
	v_fma_f64 v[8:9], v[4:5], v[46:47], -v[8:9]
	v_mul_f64 v[4:5], v[4:5], v[48:49]
	v_add_f64 v[50:51], v[50:51], v[8:9]
	v_fma_f64 v[4:5], v[6:7], v[46:47], v[4:5]
	v_add_f64 v[52:53], v[4:5], v[52:53]
	ds_read_b128 v[4:7], v62 offset:400
	ds_read_b128 v[8:11], v63 offset:12800
	s_waitcnt lgkmcnt(0)
	v_mul_f64 v[46:47], v[6:7], v[10:11]
	v_mul_f64 v[48:49], v[4:5], v[10:11]
	v_fma_f64 v[46:47], v[4:5], v[8:9], -v[46:47]
	v_fma_f64 v[48:49], v[6:7], v[8:9], v[48:49]
	v_add_f64 v[54:55], v[54:55], v[46:47]
	v_add_f64 v[56:57], v[48:49], v[56:57]
	ds_read_b128 v[46:49], v63 offset:13056
	s_waitcnt lgkmcnt(0)
	v_mul_f64 v[75:76], v[6:7], v[48:49]
	v_fma_f64 v[75:76], v[4:5], v[46:47], -v[75:76]
	v_mul_f64 v[4:5], v[4:5], v[48:49]
	v_add_f64 v[58:59], v[58:59], v[75:76]
	v_fma_f64 v[4:5], v[6:7], v[46:47], v[4:5]
	v_add_f64 v[60:61], v[4:5], v[60:61]
	ds_read_b128 v[4:7], v62 offset:8592
	s_waitcnt lgkmcnt(0)
	v_mul_f64 v[75:76], v[6:7], v[10:11]
	v_mul_f64 v[10:11], v[4:5], v[10:11]
	v_fma_f64 v[75:76], v[4:5], v[8:9], -v[75:76]
	v_fma_f64 v[8:9], v[6:7], v[8:9], v[10:11]
	v_add_f64 v[71:72], v[71:72], v[75:76]
	v_add_f64 v[73:74], v[8:9], v[73:74]
	v_mul_f64 v[8:9], v[6:7], v[48:49]
	v_fma_f64 v[8:9], v[4:5], v[46:47], -v[8:9]
	v_mul_f64 v[4:5], v[4:5], v[48:49]
	v_add_f64 v[50:51], v[50:51], v[8:9]
	v_fma_f64 v[4:5], v[6:7], v[46:47], v[4:5]
	v_add_f64 v[52:53], v[4:5], v[52:53]
	ds_read_b128 v[4:7], v62 offset:416
	ds_read_b128 v[8:11], v63 offset:13312
	s_waitcnt lgkmcnt(0)
	v_mul_f64 v[46:47], v[6:7], v[10:11]
	v_mul_f64 v[48:49], v[4:5], v[10:11]
	v_fma_f64 v[46:47], v[4:5], v[8:9], -v[46:47]
	v_fma_f64 v[48:49], v[6:7], v[8:9], v[48:49]
	v_add_f64 v[54:55], v[54:55], v[46:47]
	v_add_f64 v[56:57], v[48:49], v[56:57]
	ds_read_b128 v[46:49], v63 offset:13568
	s_waitcnt lgkmcnt(0)
	v_mul_f64 v[75:76], v[6:7], v[48:49]
	v_fma_f64 v[75:76], v[4:5], v[46:47], -v[75:76]
	v_mul_f64 v[4:5], v[4:5], v[48:49]
	v_add_f64 v[58:59], v[58:59], v[75:76]
	v_fma_f64 v[4:5], v[6:7], v[46:47], v[4:5]
	v_add_f64 v[60:61], v[4:5], v[60:61]
	ds_read_b128 v[4:7], v62 offset:8608
	s_waitcnt lgkmcnt(0)
	v_mul_f64 v[75:76], v[6:7], v[10:11]
	v_mul_f64 v[10:11], v[4:5], v[10:11]
	v_fma_f64 v[75:76], v[4:5], v[8:9], -v[75:76]
	v_fma_f64 v[8:9], v[6:7], v[8:9], v[10:11]
	v_add_f64 v[71:72], v[71:72], v[75:76]
	v_add_f64 v[73:74], v[8:9], v[73:74]
	v_mul_f64 v[8:9], v[6:7], v[48:49]
	v_fma_f64 v[8:9], v[4:5], v[46:47], -v[8:9]
	v_mul_f64 v[4:5], v[4:5], v[48:49]
	v_add_f64 v[50:51], v[50:51], v[8:9]
	v_fma_f64 v[4:5], v[6:7], v[46:47], v[4:5]
	v_add_f64 v[52:53], v[4:5], v[52:53]
	ds_read_b128 v[4:7], v62 offset:432
	ds_read_b128 v[8:11], v63 offset:13824
	s_waitcnt lgkmcnt(0)
	v_mul_f64 v[46:47], v[6:7], v[10:11]
	v_mul_f64 v[48:49], v[4:5], v[10:11]
	v_fma_f64 v[46:47], v[4:5], v[8:9], -v[46:47]
	v_fma_f64 v[48:49], v[6:7], v[8:9], v[48:49]
	v_add_f64 v[54:55], v[54:55], v[46:47]
	v_add_f64 v[56:57], v[48:49], v[56:57]
	ds_read_b128 v[46:49], v63 offset:14080
	s_waitcnt lgkmcnt(0)
	v_mul_f64 v[75:76], v[6:7], v[48:49]
	v_fma_f64 v[75:76], v[4:5], v[46:47], -v[75:76]
	v_mul_f64 v[4:5], v[4:5], v[48:49]
	v_add_f64 v[58:59], v[58:59], v[75:76]
	v_fma_f64 v[4:5], v[6:7], v[46:47], v[4:5]
	v_add_f64 v[60:61], v[4:5], v[60:61]
	ds_read_b128 v[4:7], v62 offset:8624
	s_waitcnt lgkmcnt(0)
	v_mul_f64 v[75:76], v[6:7], v[10:11]
	v_mul_f64 v[10:11], v[4:5], v[10:11]
	v_fma_f64 v[75:76], v[4:5], v[8:9], -v[75:76]
	v_fma_f64 v[8:9], v[6:7], v[8:9], v[10:11]
	v_add_f64 v[71:72], v[71:72], v[75:76]
	v_add_f64 v[73:74], v[8:9], v[73:74]
	v_mul_f64 v[8:9], v[6:7], v[48:49]
	v_fma_f64 v[8:9], v[4:5], v[46:47], -v[8:9]
	v_mul_f64 v[4:5], v[4:5], v[48:49]
	v_add_f64 v[50:51], v[50:51], v[8:9]
	v_fma_f64 v[4:5], v[6:7], v[46:47], v[4:5]
	v_add_f64 v[52:53], v[4:5], v[52:53]
	ds_read_b128 v[4:7], v62 offset:448
	ds_read_b128 v[8:11], v63 offset:14336
	s_waitcnt lgkmcnt(0)
	v_mul_f64 v[46:47], v[6:7], v[10:11]
	v_mul_f64 v[48:49], v[4:5], v[10:11]
	v_fma_f64 v[46:47], v[4:5], v[8:9], -v[46:47]
	v_fma_f64 v[48:49], v[6:7], v[8:9], v[48:49]
	v_add_f64 v[54:55], v[54:55], v[46:47]
	v_add_f64 v[56:57], v[48:49], v[56:57]
	ds_read_b128 v[46:49], v63 offset:14592
	s_waitcnt lgkmcnt(0)
	v_mul_f64 v[75:76], v[6:7], v[48:49]
	v_fma_f64 v[75:76], v[4:5], v[46:47], -v[75:76]
	v_mul_f64 v[4:5], v[4:5], v[48:49]
	v_add_f64 v[58:59], v[58:59], v[75:76]
	v_fma_f64 v[4:5], v[6:7], v[46:47], v[4:5]
	v_add_f64 v[60:61], v[4:5], v[60:61]
	ds_read_b128 v[4:7], v62 offset:8640
	s_waitcnt lgkmcnt(0)
	v_mul_f64 v[75:76], v[6:7], v[10:11]
	v_mul_f64 v[10:11], v[4:5], v[10:11]
	v_fma_f64 v[75:76], v[4:5], v[8:9], -v[75:76]
	v_fma_f64 v[8:9], v[6:7], v[8:9], v[10:11]
	v_add_f64 v[71:72], v[71:72], v[75:76]
	v_add_f64 v[73:74], v[8:9], v[73:74]
	v_mul_f64 v[8:9], v[6:7], v[48:49]
	v_fma_f64 v[8:9], v[4:5], v[46:47], -v[8:9]
	v_mul_f64 v[4:5], v[4:5], v[48:49]
	v_add_f64 v[50:51], v[50:51], v[8:9]
	v_fma_f64 v[4:5], v[6:7], v[46:47], v[4:5]
	v_add_f64 v[52:53], v[4:5], v[52:53]
	ds_read_b128 v[4:7], v62 offset:464
	ds_read_b128 v[8:11], v63 offset:14848
	s_waitcnt lgkmcnt(0)
	v_mul_f64 v[46:47], v[6:7], v[10:11]
	v_mul_f64 v[48:49], v[4:5], v[10:11]
	v_fma_f64 v[46:47], v[4:5], v[8:9], -v[46:47]
	v_fma_f64 v[48:49], v[6:7], v[8:9], v[48:49]
	v_add_f64 v[54:55], v[54:55], v[46:47]
	v_add_f64 v[56:57], v[48:49], v[56:57]
	ds_read_b128 v[46:49], v63 offset:15104
	s_waitcnt lgkmcnt(0)
	v_mul_f64 v[75:76], v[6:7], v[48:49]
	v_fma_f64 v[75:76], v[4:5], v[46:47], -v[75:76]
	v_mul_f64 v[4:5], v[4:5], v[48:49]
	v_add_f64 v[58:59], v[58:59], v[75:76]
	v_fma_f64 v[4:5], v[6:7], v[46:47], v[4:5]
	v_add_f64 v[60:61], v[4:5], v[60:61]
	ds_read_b128 v[4:7], v62 offset:8656
	s_waitcnt lgkmcnt(0)
	v_mul_f64 v[75:76], v[6:7], v[10:11]
	v_mul_f64 v[10:11], v[4:5], v[10:11]
	v_fma_f64 v[75:76], v[4:5], v[8:9], -v[75:76]
	v_fma_f64 v[8:9], v[6:7], v[8:9], v[10:11]
	v_add_f64 v[71:72], v[71:72], v[75:76]
	v_add_f64 v[73:74], v[8:9], v[73:74]
	v_mul_f64 v[8:9], v[6:7], v[48:49]
	v_fma_f64 v[8:9], v[4:5], v[46:47], -v[8:9]
	v_mul_f64 v[4:5], v[4:5], v[48:49]
	v_add_f64 v[50:51], v[50:51], v[8:9]
	v_fma_f64 v[4:5], v[6:7], v[46:47], v[4:5]
	v_add_f64 v[52:53], v[4:5], v[52:53]
	ds_read_b128 v[4:7], v62 offset:480
	ds_read_b128 v[8:11], v63 offset:15360
	s_waitcnt lgkmcnt(0)
	v_mul_f64 v[46:47], v[6:7], v[10:11]
	v_mul_f64 v[48:49], v[4:5], v[10:11]
	v_fma_f64 v[46:47], v[4:5], v[8:9], -v[46:47]
	v_fma_f64 v[48:49], v[6:7], v[8:9], v[48:49]
	v_add_f64 v[54:55], v[54:55], v[46:47]
	v_add_f64 v[56:57], v[48:49], v[56:57]
	ds_read_b128 v[46:49], v63 offset:15616
	s_waitcnt lgkmcnt(0)
	v_mul_f64 v[75:76], v[6:7], v[48:49]
	v_fma_f64 v[75:76], v[4:5], v[46:47], -v[75:76]
	v_mul_f64 v[4:5], v[4:5], v[48:49]
	v_add_f64 v[75:76], v[58:59], v[75:76]
	v_fma_f64 v[4:5], v[6:7], v[46:47], v[4:5]
	v_add_f64 v[77:78], v[4:5], v[60:61]
	ds_read_b128 v[4:7], v62 offset:8672
	s_waitcnt lgkmcnt(0)
	v_mul_f64 v[58:59], v[6:7], v[10:11]
	v_mul_f64 v[10:11], v[4:5], v[10:11]
	v_fma_f64 v[58:59], v[4:5], v[8:9], -v[58:59]
	v_fma_f64 v[8:9], v[6:7], v[8:9], v[10:11]
	v_add_f64 v[79:80], v[71:72], v[58:59]
	v_add_f64 v[81:82], v[8:9], v[73:74]
	v_mul_f64 v[8:9], v[6:7], v[48:49]
	v_fma_f64 v[8:9], v[4:5], v[46:47], -v[8:9]
	v_mul_f64 v[4:5], v[4:5], v[48:49]
	v_fma_f64 v[6:7], v[6:7], v[46:47], v[4:5]
	v_add_f64 v[4:5], v[50:51], v[8:9]
	v_add_f64 v[6:7], v[6:7], v[52:53]
	ds_read_b128 v[8:11], v62 offset:496
	ds_read_b128 v[50:53], v63 offset:15872
	;; [unrolled: 1-line block ×4, first 2 shown]
	s_waitcnt lgkmcnt(0)
	s_barrier
	buffer_gl0_inv
	v_mul_f64 v[46:47], v[10:11], v[52:53]
	v_mul_f64 v[48:49], v[8:9], v[52:53]
	v_fma_f64 v[46:47], v[8:9], v[50:51], -v[46:47]
	v_fma_f64 v[48:49], v[10:11], v[50:51], v[48:49]
	v_add_f64 v[54:55], v[54:55], v[46:47]
	v_mul_f64 v[46:47], v[10:11], v[60:61]
	v_add_f64 v[56:57], v[48:49], v[56:57]
	v_fma_f64 v[46:47], v[8:9], v[58:59], -v[46:47]
	v_mul_f64 v[8:9], v[8:9], v[60:61]
	v_add_f64 v[46:47], v[75:76], v[46:47]
	v_fma_f64 v[8:9], v[10:11], v[58:59], v[8:9]
	v_mul_f64 v[10:11], v[71:72], v[52:53]
	v_add_f64 v[48:49], v[8:9], v[77:78]
	v_mul_f64 v[8:9], v[73:74], v[52:53]
	v_fma_f64 v[10:11], v[73:74], v[50:51], v[10:11]
	v_fma_f64 v[8:9], v[71:72], v[50:51], -v[8:9]
	v_add_f64 v[52:53], v[10:11], v[81:82]
	v_mul_f64 v[10:11], v[71:72], v[60:61]
	v_add_f64 v[50:51], v[79:80], v[8:9]
	v_mul_f64 v[8:9], v[73:74], v[60:61]
	v_fma_f64 v[10:11], v[73:74], v[58:59], v[10:11]
	v_fma_f64 v[8:9], v[71:72], v[58:59], -v[8:9]
	v_add_f64 v[58:59], v[10:11], v[6:7]
	v_add_f64 v[60:61], v[4:5], v[8:9]
	s_cbranch_scc1 .LBB128_55
.LBB128_7:                              ;   Parent Loop BB128_4 Depth=1
                                        ; =>  This Inner Loop Header: Depth=2
	v_add_co_u32 v6, s5, v0, s16
	v_add_co_ci_u32_e64 v7, null, 0, s17, s5
	v_cmp_eq_u64_e64 s8, s[16:17], v[32:33]
	v_cmp_gt_i64_e64 s5, v[6:7], v[28:29]
	v_cmp_le_i64_e64 s6, s[30:31], v[6:7]
	s_and_b32 s21, s28, s8
	v_add_co_u32 v8, s8, v42, v34
	s_or_b32 s9, s3, s5
	v_add_co_ci_u32_e64 v9, null, v43, v35, s8
	s_or_b32 s8, s9, s21
	s_nor_b32 s8, s6, s8
	s_and_saveexec_b32 s9, s8
	s_xor_b32 s8, exec_lo, s9
	s_cbranch_execz .LBB128_9
; %bb.8:                                ;   in Loop: Header=BB128_7 Depth=2
	global_load_dwordx4 v[71:74], v[8:9], off
	s_waitcnt vmcnt(0)
	v_xor_b32_e32 v74, 0x80000000, v74
	ds_write_b128 v64, v[71:74]
.LBB128_9:                              ;   in Loop: Header=BB128_7 Depth=2
	s_or_saveexec_b32 s8, s8
	s_xor_b32 s20, s21, -1
	s_xor_b32 exec_lo, exec_lo, s8
	s_cbranch_execz .LBB128_15
; %bb.10:                               ;   in Loop: Header=BB128_7 Depth=2
	s_and_saveexec_b32 s9, s20
	s_xor_b32 s9, exec_lo, s9
	s_cbranch_execz .LBB128_12
; %bb.11:                               ;   in Loop: Header=BB128_7 Depth=2
	v_mov_b32_e32 v71, v2
	v_mov_b32_e32 v72, v2
	;; [unrolled: 1-line block ×4, first 2 shown]
	ds_write_b128 v64, v[71:74]
.LBB128_12:                             ;   in Loop: Header=BB128_7 Depth=2
	s_andn2_saveexec_b32 s9, s9
; %bb.13:                               ;   in Loop: Header=BB128_7 Depth=2
	v_mov_b32_e32 v4, v2
	v_mov_b32_e32 v5, v2
	ds_write_b128 v64, v[2:5]
; %bb.14:                               ;   in Loop: Header=BB128_7 Depth=2
	s_or_b32 exec_lo, exec_lo, s9
.LBB128_15:                             ;   in Loop: Header=BB128_7 Depth=2
	s_or_b32 exec_lo, exec_lo, s8
	v_add_co_u32 v4, s8, v6, 16
	v_add_co_ci_u32_e64 v5, null, 0, v7, s8
	v_cmp_eq_u64_e64 s9, s[16:17], v[38:39]
	v_cmp_gt_i64_e64 s10, v[4:5], v[28:29]
	v_cmp_le_i64_e64 s8, s[30:31], v[4:5]
	s_and_b32 s24, s28, s9
	s_or_b32 s9, s3, s10
	s_or_b32 s9, s9, s24
	s_nor_b32 s9, s8, s9
	s_and_saveexec_b32 s10, s9
	s_xor_b32 s10, exec_lo, s10
	s_cbranch_execz .LBB128_17
; %bb.16:                               ;   in Loop: Header=BB128_7 Depth=2
	v_add_co_u32 v4, s9, v40, v34
	v_add_co_ci_u32_e64 v5, null, v41, v35, s9
	global_load_dwordx4 v[71:74], v[4:5], off
	s_waitcnt vmcnt(0)
	v_xor_b32_e32 v74, 0x80000000, v74
	ds_write_b128 v64, v[71:74] offset:256
.LBB128_17:                             ;   in Loop: Header=BB128_7 Depth=2
	s_andn2_saveexec_b32 s9, s10
	s_cbranch_execz .LBB128_23
; %bb.18:                               ;   in Loop: Header=BB128_7 Depth=2
	s_xor_b32 s10, s24, -1
	s_and_saveexec_b32 s24, s10
	s_xor_b32 s10, exec_lo, s24
	s_cbranch_execz .LBB128_20
; %bb.19:                               ;   in Loop: Header=BB128_7 Depth=2
	v_mov_b32_e32 v71, v2
	v_mov_b32_e32 v72, v2
	;; [unrolled: 1-line block ×4, first 2 shown]
	ds_write_b128 v64, v[71:74] offset:256
.LBB128_20:                             ;   in Loop: Header=BB128_7 Depth=2
	s_andn2_saveexec_b32 s10, s10
; %bb.21:                               ;   in Loop: Header=BB128_7 Depth=2
	v_mov_b32_e32 v4, v2
	v_mov_b32_e32 v5, v2
	ds_write_b128 v64, v[2:5] offset:256
; %bb.22:                               ;   in Loop: Header=BB128_7 Depth=2
	s_or_b32 exec_lo, exec_lo, s10
.LBB128_23:                             ;   in Loop: Header=BB128_7 Depth=2
	s_or_b32 exec_lo, exec_lo, s9
	v_cmp_eq_u64_e64 s9, s[16:17], v[36:37]
	v_cmp_gt_i64_e64 s10, v[6:7], v[30:31]
	s_and_b32 s9, s28, s9
	s_or_b32 s10, s4, s10
	s_or_b32 s10, s10, s9
	s_nor_b32 s6, s6, s10
	s_and_saveexec_b32 s10, s6
	s_xor_b32 s6, exec_lo, s10
	s_cbranch_execz .LBB128_25
; %bb.24:                               ;   in Loop: Header=BB128_7 Depth=2
	global_load_dwordx4 v[4:7], v[8:9], off offset:256
	s_waitcnt vmcnt(0)
	v_xor_b32_e32 v7, 0x80000000, v7
	ds_write_b128 v64, v[4:7] offset:8192
.LBB128_25:                             ;   in Loop: Header=BB128_7 Depth=2
	s_andn2_saveexec_b32 s6, s6
	s_cbranch_execz .LBB128_31
; %bb.26:                               ;   in Loop: Header=BB128_7 Depth=2
	s_xor_b32 s9, s9, -1
	s_and_saveexec_b32 s10, s9
	s_xor_b32 s9, exec_lo, s10
	s_cbranch_execz .LBB128_28
; %bb.27:                               ;   in Loop: Header=BB128_7 Depth=2
	v_mov_b32_e32 v4, v2
	v_mov_b32_e32 v5, v2
	;; [unrolled: 1-line block ×4, first 2 shown]
	ds_write_b128 v64, v[4:7] offset:8192
.LBB128_28:                             ;   in Loop: Header=BB128_7 Depth=2
	s_andn2_saveexec_b32 s9, s9
; %bb.29:                               ;   in Loop: Header=BB128_7 Depth=2
	v_mov_b32_e32 v4, v2
	v_mov_b32_e32 v5, v2
	ds_write_b128 v64, v[2:5] offset:8192
; %bb.30:                               ;   in Loop: Header=BB128_7 Depth=2
	s_or_b32 exec_lo, exec_lo, s9
.LBB128_31:                             ;   in Loop: Header=BB128_7 Depth=2
	s_or_b32 exec_lo, exec_lo, s6
	s_or_b32 s5, s4, s5
	s_or_b32 s5, s5, s21
	s_nor_b32 s5, s8, s5
	s_and_saveexec_b32 s6, s5
	s_xor_b32 s6, exec_lo, s6
	s_cbranch_execz .LBB128_33
; %bb.32:                               ;   in Loop: Header=BB128_7 Depth=2
	v_add_co_u32 v4, s5, v40, v34
	v_add_co_ci_u32_e64 v5, null, v41, v35, s5
	global_load_dwordx4 v[4:7], v[4:5], off offset:256
	s_waitcnt vmcnt(0)
	v_xor_b32_e32 v7, 0x80000000, v7
	ds_write_b128 v64, v[4:7] offset:8448
.LBB128_33:                             ;   in Loop: Header=BB128_7 Depth=2
	s_andn2_saveexec_b32 s5, s6
	s_cbranch_execz .LBB128_39
; %bb.34:                               ;   in Loop: Header=BB128_7 Depth=2
	s_and_saveexec_b32 s6, s20
	s_xor_b32 s6, exec_lo, s6
	s_cbranch_execz .LBB128_36
; %bb.35:                               ;   in Loop: Header=BB128_7 Depth=2
	v_mov_b32_e32 v4, v2
	v_mov_b32_e32 v5, v2
	v_mov_b32_e32 v6, v2
	v_mov_b32_e32 v7, v2
	ds_write_b128 v64, v[4:7] offset:8448
.LBB128_36:                             ;   in Loop: Header=BB128_7 Depth=2
	s_andn2_saveexec_b32 s6, s6
; %bb.37:                               ;   in Loop: Header=BB128_7 Depth=2
	v_mov_b32_e32 v4, v2
	v_mov_b32_e32 v5, v2
	ds_write_b128 v64, v[2:5] offset:8448
; %bb.38:                               ;   in Loop: Header=BB128_7 Depth=2
	s_or_b32 exec_lo, exec_lo, s6
.LBB128_39:                             ;   in Loop: Header=BB128_7 Depth=2
	s_or_b32 exec_lo, exec_lo, s5
	v_add_co_u32 v4, s5, v1, s16
	v_add_co_ci_u32_e64 v5, null, 0, s17, s5
	v_add_co_u32 v6, s6, v44, v22
	v_add_co_ci_u32_e64 v7, null, v45, v23, s6
	v_cmp_le_i64_e64 s5, s[30:31], v[4:5]
	s_nor_b32 s6, s5, vcc_lo
	s_and_saveexec_b32 s8, s6
	s_xor_b32 s6, exec_lo, s8
	s_cbranch_execz .LBB128_41
; %bb.40:                               ;   in Loop: Header=BB128_7 Depth=2
	global_load_dwordx4 v[8:11], v[6:7], off offset:-256
	s_waitcnt vmcnt(0)
	ds_write2_b64 v65, v[8:9], v[10:11] offset1:1
.LBB128_41:                             ;   in Loop: Header=BB128_7 Depth=2
	s_andn2_saveexec_b32 s6, s6
	s_cbranch_execz .LBB128_43
; %bb.42:                               ;   in Loop: Header=BB128_7 Depth=2
	v_mov_b32_e32 v8, v2
	v_mov_b32_e32 v9, v2
	;; [unrolled: 1-line block ×4, first 2 shown]
	ds_write_b128 v65, v[8:11]
.LBB128_43:                             ;   in Loop: Header=BB128_7 Depth=2
	s_or_b32 exec_lo, exec_lo, s6
	s_nor_b32 s5, s5, s0
	s_and_saveexec_b32 s6, s5
	s_xor_b32 s5, exec_lo, s6
	s_cbranch_execz .LBB128_45
; %bb.44:                               ;   in Loop: Header=BB128_7 Depth=2
	global_load_dwordx4 v[6:9], v[6:7], off
	s_waitcnt vmcnt(0)
	ds_write2_b64 v66, v[6:7], v[8:9] offset1:1
.LBB128_45:                             ;   in Loop: Header=BB128_7 Depth=2
	s_andn2_saveexec_b32 s5, s5
	s_cbranch_execz .LBB128_47
; %bb.46:                               ;   in Loop: Header=BB128_7 Depth=2
	v_mov_b32_e32 v6, v2
	v_mov_b32_e32 v7, v2
	;; [unrolled: 1-line block ×4, first 2 shown]
	ds_write_b128 v65, v[6:9] offset:256
.LBB128_47:                             ;   in Loop: Header=BB128_7 Depth=2
	s_or_b32 exec_lo, exec_lo, s5
	v_cmp_le_i64_e64 s5, s[34:35], v[4:5]
	v_add_co_u32 v4, s6, v44, v14
	v_add_co_ci_u32_e64 v5, null, v45, v15, s6
	s_nor_b32 s6, s5, vcc_lo
	s_and_saveexec_b32 s8, s6
	s_xor_b32 s6, exec_lo, s8
	s_cbranch_execz .LBB128_49
; %bb.48:                               ;   in Loop: Header=BB128_7 Depth=2
	global_load_dwordx4 v[6:9], v[4:5], off offset:-256
	s_waitcnt vmcnt(0)
	ds_write2_b64 v67, v[6:7], v[8:9] offset1:1
.LBB128_49:                             ;   in Loop: Header=BB128_7 Depth=2
	s_andn2_saveexec_b32 s6, s6
	s_cbranch_execz .LBB128_51
; %bb.50:                               ;   in Loop: Header=BB128_7 Depth=2
	v_mov_b32_e32 v6, v2
	v_mov_b32_e32 v7, v2
	;; [unrolled: 1-line block ×4, first 2 shown]
	ds_write_b128 v65, v[6:9] offset:8192
.LBB128_51:                             ;   in Loop: Header=BB128_7 Depth=2
	s_or_b32 exec_lo, exec_lo, s6
	s_nor_b32 s5, s5, s0
	s_and_saveexec_b32 s6, s5
	s_xor_b32 s5, exec_lo, s6
	s_cbranch_execz .LBB128_53
; %bb.52:                               ;   in Loop: Header=BB128_7 Depth=2
	global_load_dwordx4 v[4:7], v[4:5], off
	s_waitcnt vmcnt(0)
	ds_write2_b64 v68, v[4:5], v[6:7] offset1:1
.LBB128_53:                             ;   in Loop: Header=BB128_7 Depth=2
	s_andn2_saveexec_b32 s5, s5
	s_cbranch_execz .LBB128_6
; %bb.54:                               ;   in Loop: Header=BB128_7 Depth=2
	v_mov_b32_e32 v4, v2
	v_mov_b32_e32 v5, v2
	;; [unrolled: 1-line block ×4, first 2 shown]
	ds_write_b128 v65, v[4:7] offset:8448
	s_branch .LBB128_6
.LBB128_55:                             ;   in Loop: Header=BB128_4 Depth=1
	v_mul_lo_u32 v6, s45, v28
	v_mul_lo_u32 v7, s44, v29
	v_mad_u64_u32 v[4:5], null, s44, v28, 0
	v_cmp_gt_i32_e64 s3, s30, v28
	v_add3_u32 v5, v5, v7, v6
	v_lshlrev_b64 v[4:5], 4, v[4:5]
	v_add_co_u32 v4, s4, s40, v4
	v_add_co_ci_u32_e64 v5, null, s41, v5, s4
	s_and_b32 s4, s1, s3
	s_and_saveexec_b32 s5, s4
	s_cbranch_execz .LBB128_57
; %bb.56:                               ;   in Loop: Header=BB128_4 Depth=1
	v_add_co_u32 v10, s4, v4, v20
	v_add_co_ci_u32_e64 v11, null, v5, v21, s4
	v_mul_f64 v[29:30], s[14:15], v[56:57]
	v_mul_f64 v[31:32], s[12:13], v[56:57]
	global_load_dwordx4 v[6:9], v[10:11], off
	v_fma_f64 v[29:30], s[12:13], v[54:55], -v[29:30]
	v_fma_f64 v[31:32], s[14:15], v[54:55], v[31:32]
	s_waitcnt vmcnt(0)
	v_add_f64 v[6:7], v[6:7], v[29:30]
	v_add_f64 v[8:9], v[31:32], v[8:9]
	global_store_dwordx4 v[10:11], v[6:9], off
.LBB128_57:                             ;   in Loop: Header=BB128_4 Depth=1
	s_or_b32 exec_lo, exec_lo, s5
	s_and_b32 s3, s2, s3
	s_and_saveexec_b32 s4, s3
	s_cbranch_execz .LBB128_59
; %bb.58:                               ;   in Loop: Header=BB128_4 Depth=1
	v_add_co_u32 v8, s3, v4, v26
	v_add_co_ci_u32_e64 v9, null, v5, v27, s3
	v_mul_f64 v[10:11], s[14:15], v[48:49]
	v_mul_f64 v[29:30], s[12:13], v[48:49]
	global_load_dwordx4 v[4:7], v[8:9], off
	v_fma_f64 v[10:11], s[12:13], v[46:47], -v[10:11]
	v_fma_f64 v[29:30], s[14:15], v[46:47], v[29:30]
	s_waitcnt vmcnt(0)
	v_add_f64 v[4:5], v[4:5], v[10:11]
	v_add_f64 v[6:7], v[29:30], v[6:7]
	global_store_dwordx4 v[8:9], v[4:7], off
.LBB128_59:                             ;   in Loop: Header=BB128_4 Depth=1
	s_or_b32 exec_lo, exec_lo, s4
	v_add_nc_u32_e32 v6, 16, v28
	v_ashrrev_i32_e32 v7, 31, v6
	v_mul_lo_u32 v8, s45, v6
	v_mad_u64_u32 v[4:5], null, s44, v6, 0
	v_cmp_gt_i32_e64 s3, s30, v6
	v_mul_lo_u32 v7, s44, v7
	v_add3_u32 v5, v5, v7, v8
	v_lshlrev_b64 v[4:5], 4, v[4:5]
	v_add_co_u32 v4, s4, s40, v4
	v_add_co_ci_u32_e64 v5, null, s41, v5, s4
	s_and_b32 s4, s1, s3
	s_and_saveexec_b32 s5, s4
	s_cbranch_execz .LBB128_61
; %bb.60:                               ;   in Loop: Header=BB128_4 Depth=1
	v_add_co_u32 v10, s4, v4, v20
	v_add_co_ci_u32_e64 v11, null, v5, v21, s4
	v_mul_f64 v[28:29], s[14:15], v[52:53]
	v_mul_f64 v[30:31], s[12:13], v[52:53]
	global_load_dwordx4 v[6:9], v[10:11], off
	v_fma_f64 v[28:29], s[12:13], v[50:51], -v[28:29]
	v_fma_f64 v[30:31], s[14:15], v[50:51], v[30:31]
	s_waitcnt vmcnt(0)
	v_add_f64 v[6:7], v[6:7], v[28:29]
	v_add_f64 v[8:9], v[30:31], v[8:9]
	global_store_dwordx4 v[10:11], v[6:9], off
.LBB128_61:                             ;   in Loop: Header=BB128_4 Depth=1
	s_or_b32 exec_lo, exec_lo, s5
	s_and_b32 s3, s2, s3
	s_and_saveexec_b32 s4, s3
	s_cbranch_execz .LBB128_3
; %bb.62:                               ;   in Loop: Header=BB128_4 Depth=1
	v_add_co_u32 v8, s3, v4, v26
	v_add_co_ci_u32_e64 v9, null, v5, v27, s3
	v_mul_f64 v[10:11], s[14:15], v[58:59]
	v_mul_f64 v[28:29], s[12:13], v[58:59]
	global_load_dwordx4 v[4:7], v[8:9], off
	v_fma_f64 v[10:11], s[12:13], v[60:61], -v[10:11]
	v_fma_f64 v[28:29], s[14:15], v[60:61], v[28:29]
	s_waitcnt vmcnt(0)
	v_add_f64 v[4:5], v[4:5], v[10:11]
	v_add_f64 v[6:7], v[28:29], v[6:7]
	global_store_dwordx4 v[8:9], v[4:7], off
	s_branch .LBB128_3
.LBB128_63:
	s_endpgm
	.section	.rodata,"a",@progbits
	.p2align	6, 0x0
	.amdhsa_kernel _ZL30rocblas_trmm_outofplace_kernelI19rocblas_complex_numIdELi32ELi2ELb0ELb0ELb1ELb1EPKS1_S2_S1_Ev17rocblas_diagonal_iiT6_lPT7_lllS7_lllPT8_llli
		.amdhsa_group_segment_fixed_size 32768
		.amdhsa_private_segment_fixed_size 0
		.amdhsa_kernarg_size 392
		.amdhsa_user_sgpr_count 6
		.amdhsa_user_sgpr_private_segment_buffer 1
		.amdhsa_user_sgpr_dispatch_ptr 0
		.amdhsa_user_sgpr_queue_ptr 0
		.amdhsa_user_sgpr_kernarg_segment_ptr 1
		.amdhsa_user_sgpr_dispatch_id 0
		.amdhsa_user_sgpr_flat_scratch_init 0
		.amdhsa_user_sgpr_private_segment_size 0
		.amdhsa_wavefront_size32 1
		.amdhsa_uses_dynamic_stack 0
		.amdhsa_system_sgpr_private_segment_wavefront_offset 0
		.amdhsa_system_sgpr_workgroup_id_x 1
		.amdhsa_system_sgpr_workgroup_id_y 1
		.amdhsa_system_sgpr_workgroup_id_z 1
		.amdhsa_system_sgpr_workgroup_info 0
		.amdhsa_system_vgpr_workitem_id 1
		.amdhsa_next_free_vgpr 89
		.amdhsa_next_free_sgpr 51
		.amdhsa_reserve_vcc 1
		.amdhsa_reserve_flat_scratch 0
		.amdhsa_float_round_mode_32 0
		.amdhsa_float_round_mode_16_64 0
		.amdhsa_float_denorm_mode_32 3
		.amdhsa_float_denorm_mode_16_64 3
		.amdhsa_dx10_clamp 1
		.amdhsa_ieee_mode 1
		.amdhsa_fp16_overflow 0
		.amdhsa_workgroup_processor_mode 1
		.amdhsa_memory_ordered 1
		.amdhsa_forward_progress 1
		.amdhsa_shared_vgpr_count 0
		.amdhsa_exception_fp_ieee_invalid_op 0
		.amdhsa_exception_fp_denorm_src 0
		.amdhsa_exception_fp_ieee_div_zero 0
		.amdhsa_exception_fp_ieee_overflow 0
		.amdhsa_exception_fp_ieee_underflow 0
		.amdhsa_exception_fp_ieee_inexact 0
		.amdhsa_exception_int_div_zero 0
	.end_amdhsa_kernel
	.section	.text._ZL30rocblas_trmm_outofplace_kernelI19rocblas_complex_numIdELi32ELi2ELb0ELb0ELb1ELb1EPKS1_S2_S1_Ev17rocblas_diagonal_iiT6_lPT7_lllS7_lllPT8_llli,"axG",@progbits,_ZL30rocblas_trmm_outofplace_kernelI19rocblas_complex_numIdELi32ELi2ELb0ELb0ELb1ELb1EPKS1_S2_S1_Ev17rocblas_diagonal_iiT6_lPT7_lllS7_lllPT8_llli,comdat
.Lfunc_end128:
	.size	_ZL30rocblas_trmm_outofplace_kernelI19rocblas_complex_numIdELi32ELi2ELb0ELb0ELb1ELb1EPKS1_S2_S1_Ev17rocblas_diagonal_iiT6_lPT7_lllS7_lllPT8_llli, .Lfunc_end128-_ZL30rocblas_trmm_outofplace_kernelI19rocblas_complex_numIdELi32ELi2ELb0ELb0ELb1ELb1EPKS1_S2_S1_Ev17rocblas_diagonal_iiT6_lPT7_lllS7_lllPT8_llli
                                        ; -- End function
	.set _ZL30rocblas_trmm_outofplace_kernelI19rocblas_complex_numIdELi32ELi2ELb0ELb0ELb1ELb1EPKS1_S2_S1_Ev17rocblas_diagonal_iiT6_lPT7_lllS7_lllPT8_llli.num_vgpr, 89
	.set _ZL30rocblas_trmm_outofplace_kernelI19rocblas_complex_numIdELi32ELi2ELb0ELb0ELb1ELb1EPKS1_S2_S1_Ev17rocblas_diagonal_iiT6_lPT7_lllS7_lllPT8_llli.num_agpr, 0
	.set _ZL30rocblas_trmm_outofplace_kernelI19rocblas_complex_numIdELi32ELi2ELb0ELb0ELb1ELb1EPKS1_S2_S1_Ev17rocblas_diagonal_iiT6_lPT7_lllS7_lllPT8_llli.numbered_sgpr, 51
	.set _ZL30rocblas_trmm_outofplace_kernelI19rocblas_complex_numIdELi32ELi2ELb0ELb0ELb1ELb1EPKS1_S2_S1_Ev17rocblas_diagonal_iiT6_lPT7_lllS7_lllPT8_llli.num_named_barrier, 0
	.set _ZL30rocblas_trmm_outofplace_kernelI19rocblas_complex_numIdELi32ELi2ELb0ELb0ELb1ELb1EPKS1_S2_S1_Ev17rocblas_diagonal_iiT6_lPT7_lllS7_lllPT8_llli.private_seg_size, 0
	.set _ZL30rocblas_trmm_outofplace_kernelI19rocblas_complex_numIdELi32ELi2ELb0ELb0ELb1ELb1EPKS1_S2_S1_Ev17rocblas_diagonal_iiT6_lPT7_lllS7_lllPT8_llli.uses_vcc, 1
	.set _ZL30rocblas_trmm_outofplace_kernelI19rocblas_complex_numIdELi32ELi2ELb0ELb0ELb1ELb1EPKS1_S2_S1_Ev17rocblas_diagonal_iiT6_lPT7_lllS7_lllPT8_llli.uses_flat_scratch, 0
	.set _ZL30rocblas_trmm_outofplace_kernelI19rocblas_complex_numIdELi32ELi2ELb0ELb0ELb1ELb1EPKS1_S2_S1_Ev17rocblas_diagonal_iiT6_lPT7_lllS7_lllPT8_llli.has_dyn_sized_stack, 0
	.set _ZL30rocblas_trmm_outofplace_kernelI19rocblas_complex_numIdELi32ELi2ELb0ELb0ELb1ELb1EPKS1_S2_S1_Ev17rocblas_diagonal_iiT6_lPT7_lllS7_lllPT8_llli.has_recursion, 0
	.set _ZL30rocblas_trmm_outofplace_kernelI19rocblas_complex_numIdELi32ELi2ELb0ELb0ELb1ELb1EPKS1_S2_S1_Ev17rocblas_diagonal_iiT6_lPT7_lllS7_lllPT8_llli.has_indirect_call, 0
	.section	.AMDGPU.csdata,"",@progbits
; Kernel info:
; codeLenInByte = 10160
; TotalNumSgprs: 53
; NumVgprs: 89
; ScratchSize: 0
; MemoryBound: 0
; FloatMode: 240
; IeeeMode: 1
; LDSByteSize: 32768 bytes/workgroup (compile time only)
; SGPRBlocks: 0
; VGPRBlocks: 11
; NumSGPRsForWavesPerEU: 53
; NumVGPRsForWavesPerEU: 89
; Occupancy: 10
; WaveLimiterHint : 0
; COMPUTE_PGM_RSRC2:SCRATCH_EN: 0
; COMPUTE_PGM_RSRC2:USER_SGPR: 6
; COMPUTE_PGM_RSRC2:TRAP_HANDLER: 0
; COMPUTE_PGM_RSRC2:TGID_X_EN: 1
; COMPUTE_PGM_RSRC2:TGID_Y_EN: 1
; COMPUTE_PGM_RSRC2:TGID_Z_EN: 1
; COMPUTE_PGM_RSRC2:TIDIG_COMP_CNT: 1
	.section	.text._ZL30rocblas_trmm_outofplace_kernelI19rocblas_complex_numIdELi32ELi2ELb0ELb0ELb1ELb1ES1_KS1_S1_Ev17rocblas_diagonal_iiT6_lPT7_lllS6_lllPT8_llli,"axG",@progbits,_ZL30rocblas_trmm_outofplace_kernelI19rocblas_complex_numIdELi32ELi2ELb0ELb0ELb1ELb1ES1_KS1_S1_Ev17rocblas_diagonal_iiT6_lPT7_lllS6_lllPT8_llli,comdat
	.globl	_ZL30rocblas_trmm_outofplace_kernelI19rocblas_complex_numIdELi32ELi2ELb0ELb0ELb1ELb1ES1_KS1_S1_Ev17rocblas_diagonal_iiT6_lPT7_lllS6_lllPT8_llli ; -- Begin function _ZL30rocblas_trmm_outofplace_kernelI19rocblas_complex_numIdELi32ELi2ELb0ELb0ELb1ELb1ES1_KS1_S1_Ev17rocblas_diagonal_iiT6_lPT7_lllS6_lllPT8_llli
	.p2align	8
	.type	_ZL30rocblas_trmm_outofplace_kernelI19rocblas_complex_numIdELi32ELi2ELb0ELb0ELb1ELb1ES1_KS1_S1_Ev17rocblas_diagonal_iiT6_lPT7_lllS6_lllPT8_llli,@function
_ZL30rocblas_trmm_outofplace_kernelI19rocblas_complex_numIdELi32ELi2ELb0ELb0ELb1ELb1ES1_KS1_S1_Ev17rocblas_diagonal_iiT6_lPT7_lllS6_lllPT8_llli: ; @_ZL30rocblas_trmm_outofplace_kernelI19rocblas_complex_numIdELi32ELi2ELb0ELb0ELb1ELb1ES1_KS1_S1_Ev17rocblas_diagonal_iiT6_lPT7_lllS6_lllPT8_llli
; %bb.0:
	s_load_dwordx4 s[28:31], s[4:5], 0x10
	s_waitcnt lgkmcnt(0)
	v_cmp_eq_f64_e64 s0, s[28:29], 0
	v_cmp_eq_f64_e64 s1, s[30:31], 0
	s_and_b32 s0, s0, s1
	s_and_b32 vcc_lo, exec_lo, s0
	s_cbranch_vccnz .LBB129_63
; %bb.1:
	s_load_dwordx4 s[44:47], s[4:5], 0x0
	s_waitcnt lgkmcnt(0)
	s_add_i32 s0, s46, -1
	s_ashr_i32 s1, s0, 31
	s_lshr_b32 s1, s1, 27
	s_add_i32 s0, s0, s1
	s_ashr_i32 s11, s0, 5
	s_cmp_gt_i32 s7, s11
	s_cbranch_scc1 .LBB129_63
; %bb.2:
	s_clause 0x2
	s_load_dwordx16 s[12:27], s[4:5], 0x28
	s_load_dwordx8 s[36:43], s[4:5], 0x68
	s_load_dword s33, s[4:5], 0x94
	v_lshl_add_u32 v3, s6, 5, v0
	v_lshlrev_b32_e32 v10, 4, v0
	v_lshl_add_u32 v11, v1, 4, 0x100
	v_lshlrev_b32_e32 v62, 9, v1
	v_mov_b32_e32 v2, 0
	v_ashrrev_i32_e32 v4, 31, v3
	v_add_nc_u32_e32 v19, 0x100, v10
	v_or_b32_e32 v64, 0x4000, v10
	v_add_nc_u32_e32 v63, v62, v10
	v_lshl_add_u32 v18, s7, 5, v1
	v_lshlrev_b64 v[20:21], 4, v[3:4]
	v_add_nc_u32_e32 v65, v64, v62
	v_add_nc_u32_e32 v66, 0x100, v65
	s_waitcnt lgkmcnt(0)
	s_mul_i32 s1, s19, s8
	s_mul_hi_u32 s2, s18, s8
	v_mad_u64_u32 v[5:6], null, s16, v0, 0
	s_mul_i32 s0, s18, s8
	s_add_i32 s1, s2, s1
	s_mul_i32 s3, s43, s8
	s_lshl_b64 s[4:5], s[0:1], 4
	s_mul_hi_u32 s2, s42, s8
	s_add_u32 s1, s12, s4
	s_mul_i32 s0, s42, s8
	s_addc_u32 s6, s13, s5
	s_lshl_b64 s[42:43], s[14:15], 4
	v_mad_u64_u32 v[6:7], null, s17, v0, v[6:7]
	s_add_u32 s9, s1, s42
	s_addc_u32 s6, s6, s43
	s_add_i32 s1, s2, s3
	v_sub_co_u32 v7, vcc_lo, s45, v3
	s_lshl_b64 s[0:1], s[0:1], 4
	v_lshlrev_b64 v[5:6], 4, v[5:6]
	s_add_u32 s2, s36, s0
	s_addc_u32 s3, s37, s1
	s_lshl_b64 s[0:1], s[38:39], 4
	v_mad_u64_u32 v[14:15], null, s24, v11, 0
	s_add_u32 s36, s2, s0
	s_addc_u32 s37, s3, s1
	s_cmpk_eq_i32 s44, 0x84
	s_mul_i32 s3, s27, s8
	s_cselect_b32 s38, -1, 0
	s_ashr_i32 s0, s45, 31
	s_ashr_i32 s47, s46, 31
	v_sub_co_ci_u32_e64 v8, null, s0, v4, vcc_lo
	v_add_co_u32 v12, s0, s9, v5
	s_lshl_b64 s[14:15], s[16:17], 9
	s_lshl_b64 s[18:19], s[24:25], 9
	v_add_co_ci_u32_e64 v13, null, s6, v6, s0
	s_mul_hi_u32 s6, s26, s8
	s_add_u32 s34, s46, -16
	s_addc_u32 s35, s47, -1
	s_add_i32 s9, s6, s3
	s_mul_i32 s8, s26, s8
	s_lshl_b64 s[22:23], s[22:23], 4
	s_lshl_b64 s[8:9], s[8:9], 4
	s_lshl_b32 s26, s33, 5
	s_add_u32 s3, s8, s22
	s_addc_u32 s6, s9, s23
	s_add_u32 s3, s20, s3
	s_addc_u32 s6, s21, s6
	s_add_u32 s8, s12, s42
	s_addc_u32 s9, s13, s43
	s_add_u32 s4, s8, s4
	s_addc_u32 s5, s9, s5
	v_cmp_gt_i64_e32 vcc_lo, 1, v[7:8]
	v_cmp_gt_i64_e64 s0, 17, v[7:8]
	v_mad_u64_u32 v[7:8], null, s24, v1, 0
	v_mad_u64_u32 v[16:17], null, s16, v19, s[4:5]
	v_add_nc_u32_e32 v5, 16, v3
	v_cmp_gt_i32_e64 s1, s45, v3
	v_sub_co_u32 v69, s4, 0, v0
	v_mad_u64_u32 v[8:9], null, s25, v1, v[8:9]
	v_mov_b32_e32 v9, v15
	v_mov_b32_e32 v10, v17
	v_ashrrev_i32_e32 v6, 31, v5
	v_add_nc_u32_e32 v67, 0x2000, v65
	v_add_nc_u32_e32 v68, 0x2100, v65
	v_cmp_gt_i32_e64 s2, s45, v5
	v_mad_u64_u32 v[3:4], null, s25, v11, v[9:10]
	v_mad_u64_u32 v[9:10], null, s17, v19, v[10:11]
	v_add_co_u32 v4, s3, s3, v20
	v_add_co_ci_u32_e64 v10, null, s6, v21, s3
	v_lshlrev_b64 v[22:23], 4, v[7:8]
	v_add_co_u32 v24, s3, 0x100, v4
	v_lshlrev_b64 v[26:27], 4, v[5:6]
	v_sub_co_ci_u32_e64 v70, null, 0, 0, s4
	v_add_co_ci_u32_e64 v25, null, 0, v10, s3
	v_mov_b32_e32 v15, v3
	v_mov_b32_e32 v17, v9
	;; [unrolled: 1-line block ×3, first 2 shown]
	s_branch .LBB129_4
.LBB129_3:                              ;   in Loop: Header=BB129_4 Depth=1
	s_or_b32 exec_lo, exec_lo, s4
	v_add_nc_u32_e32 v18, s26, v18
	s_add_i32 s7, s33, s7
	s_cmp_le_i32 s7, s11
	s_cbranch_scc0 .LBB129_63
.LBB129_4:                              ; =>This Loop Header: Depth=1
                                        ;     Child Loop BB129_7 Depth 2
	s_lshl_b32 s16, s7, 5
	v_mov_b32_e32 v54, 0
	v_add_nc_u32_e32 v28, s16, v1
	v_mov_b32_e32 v56, 0
	v_mov_b32_e32 v46, 0
	;; [unrolled: 1-line block ×15, first 2 shown]
	v_ashrrev_i32_e32 v29, 31, v28
	s_cmp_lt_i32 s7, 0
	s_cbranch_scc1 .LBB129_55
; %bb.5:                                ;   in Loop: Header=BB129_4 Depth=1
	v_ashrrev_i32_e32 v19, 31, v18
	v_add_co_u32 v30, s3, v28, 16
	v_add_co_ci_u32_e64 v31, null, 0, v29, s3
	v_add_co_u32 v32, s3, v69, v18
	v_add_co_ci_u32_e64 v33, null, v70, v19, s3
	v_lshlrev_b64 v[34:35], 4, v[18:19]
	v_add_co_u32 v36, s5, v32, 16
	v_add_co_ci_u32_e64 v37, null, 0, v33, s5
	v_add_co_u32 v38, s5, v32, -16
	v_cmp_le_i64_e64 s4, s[46:47], v[30:31]
	v_mov_b32_e32 v58, 0
	v_mov_b32_e32 v41, v17
	;; [unrolled: 1-line block ×11, first 2 shown]
	v_cmp_le_i32_e64 s3, s46, v28
	v_add_co_ci_u32_e64 v39, null, -1, v33, s5
	v_mov_b32_e32 v59, 0
	v_mov_b32_e32 v40, v16
	;; [unrolled: 1-line block ×11, first 2 shown]
	s_mov_b64 s[12:13], 0
	s_branch .LBB129_7
.LBB129_6:                              ;   in Loop: Header=BB129_7 Depth=2
	s_or_b32 exec_lo, exec_lo, s5
	s_waitcnt lgkmcnt(0)
	s_barrier
	buffer_gl0_inv
	ds_read_b128 v[71:74], v62
	ds_read_b128 v[75:78], v62 offset:16
	ds_read_b128 v[8:11], v62 offset:32
	;; [unrolled: 1-line block ×3, first 2 shown]
	ds_read_b128 v[79:82], v64
	v_add_co_u32 v44, s5, v44, s18
	v_add_co_ci_u32_e64 v45, null, s19, v45, s5
	v_add_co_u32 v42, s5, v42, s14
	v_add_co_ci_u32_e64 v43, null, s15, v43, s5
	v_add_co_u32 v40, s5, v40, s14
	s_add_u32 s12, s12, 32
	v_add_co_ci_u32_e64 v41, null, s15, v41, s5
	s_addc_u32 s13, s13, 0
	s_sub_i32 s6, s12, 32
	s_cmp_ge_i32 s6, s16
	s_waitcnt lgkmcnt(0)
	v_mul_f64 v[83:84], v[73:74], v[81:82]
	v_mul_f64 v[85:86], v[71:72], v[81:82]
	v_fma_f64 v[83:84], v[71:72], v[79:80], -v[83:84]
	v_fma_f64 v[85:86], v[73:74], v[79:80], v[85:86]
	v_add_f64 v[83:84], v[54:55], v[83:84]
	v_add_f64 v[85:86], v[85:86], v[56:57]
	ds_read_b128 v[54:57], v64 offset:256
	s_waitcnt lgkmcnt(0)
	v_mul_f64 v[87:88], v[73:74], v[56:57]
	v_fma_f64 v[87:88], v[71:72], v[54:55], -v[87:88]
	v_mul_f64 v[71:72], v[71:72], v[56:57]
	v_fma_f64 v[71:72], v[73:74], v[54:55], v[71:72]
	v_add_f64 v[73:74], v[46:47], v[87:88]
	v_add_f64 v[71:72], v[71:72], v[48:49]
	ds_read_b128 v[46:49], v62 offset:8192
	s_waitcnt lgkmcnt(0)
	v_mul_f64 v[87:88], v[48:49], v[81:82]
	v_mul_f64 v[81:82], v[46:47], v[81:82]
	v_fma_f64 v[87:88], v[46:47], v[79:80], -v[87:88]
	v_fma_f64 v[79:80], v[48:49], v[79:80], v[81:82]
	v_add_f64 v[81:82], v[50:51], v[87:88]
	v_mul_f64 v[50:51], v[48:49], v[56:57]
	v_add_f64 v[79:80], v[79:80], v[52:53]
	v_fma_f64 v[50:51], v[46:47], v[54:55], -v[50:51]
	v_mul_f64 v[46:47], v[46:47], v[56:57]
	v_add_f64 v[60:61], v[60:61], v[50:51]
	v_fma_f64 v[46:47], v[48:49], v[54:55], v[46:47]
	v_add_f64 v[58:59], v[46:47], v[58:59]
	ds_read_b128 v[46:49], v64 offset:512
	s_waitcnt lgkmcnt(0)
	v_mul_f64 v[50:51], v[77:78], v[48:49]
	v_mul_f64 v[52:53], v[75:76], v[48:49]
	v_fma_f64 v[50:51], v[75:76], v[46:47], -v[50:51]
	v_fma_f64 v[52:53], v[77:78], v[46:47], v[52:53]
	v_add_f64 v[83:84], v[83:84], v[50:51]
	v_add_f64 v[85:86], v[52:53], v[85:86]
	ds_read_b128 v[50:53], v64 offset:768
	s_waitcnt lgkmcnt(0)
	v_mul_f64 v[54:55], v[77:78], v[52:53]
	v_mul_f64 v[56:57], v[75:76], v[52:53]
	v_fma_f64 v[54:55], v[75:76], v[50:51], -v[54:55]
	v_fma_f64 v[56:57], v[77:78], v[50:51], v[56:57]
	v_add_f64 v[73:74], v[73:74], v[54:55]
	v_add_f64 v[71:72], v[56:57], v[71:72]
	ds_read_b128 v[54:57], v62 offset:8208
	s_waitcnt lgkmcnt(0)
	v_mul_f64 v[75:76], v[56:57], v[48:49]
	v_mul_f64 v[48:49], v[54:55], v[48:49]
	v_fma_f64 v[75:76], v[54:55], v[46:47], -v[75:76]
	v_fma_f64 v[46:47], v[56:57], v[46:47], v[48:49]
	v_mul_f64 v[48:49], v[54:55], v[52:53]
	v_add_f64 v[75:76], v[81:82], v[75:76]
	v_add_f64 v[77:78], v[46:47], v[79:80]
	v_mul_f64 v[46:47], v[56:57], v[52:53]
	v_fma_f64 v[48:49], v[56:57], v[50:51], v[48:49]
	v_fma_f64 v[46:47], v[54:55], v[50:51], -v[46:47]
	v_add_f64 v[56:57], v[48:49], v[58:59]
	v_add_f64 v[54:55], v[60:61], v[46:47]
	ds_read_b128 v[46:49], v64 offset:1024
	s_waitcnt lgkmcnt(0)
	v_mul_f64 v[50:51], v[10:11], v[48:49]
	v_mul_f64 v[52:53], v[8:9], v[48:49]
	v_fma_f64 v[50:51], v[8:9], v[46:47], -v[50:51]
	v_fma_f64 v[52:53], v[10:11], v[46:47], v[52:53]
	v_add_f64 v[58:59], v[83:84], v[50:51]
	v_add_f64 v[60:61], v[52:53], v[85:86]
	ds_read_b128 v[50:53], v64 offset:1280
	s_waitcnt lgkmcnt(0)
	v_mul_f64 v[79:80], v[10:11], v[52:53]
	v_fma_f64 v[79:80], v[8:9], v[50:51], -v[79:80]
	v_mul_f64 v[8:9], v[8:9], v[52:53]
	v_add_f64 v[73:74], v[73:74], v[79:80]
	v_fma_f64 v[8:9], v[10:11], v[50:51], v[8:9]
	v_add_f64 v[71:72], v[8:9], v[71:72]
	ds_read_b128 v[8:11], v62 offset:8224
	s_waitcnt lgkmcnt(0)
	v_mul_f64 v[79:80], v[10:11], v[48:49]
	v_mul_f64 v[48:49], v[8:9], v[48:49]
	v_fma_f64 v[79:80], v[8:9], v[46:47], -v[79:80]
	v_fma_f64 v[46:47], v[10:11], v[46:47], v[48:49]
	v_add_f64 v[75:76], v[75:76], v[79:80]
	v_add_f64 v[77:78], v[46:47], v[77:78]
	v_mul_f64 v[46:47], v[10:11], v[52:53]
	v_fma_f64 v[46:47], v[8:9], v[50:51], -v[46:47]
	v_mul_f64 v[8:9], v[8:9], v[52:53]
	v_fma_f64 v[8:9], v[10:11], v[50:51], v[8:9]
	v_add_f64 v[50:51], v[54:55], v[46:47]
	v_add_f64 v[52:53], v[8:9], v[56:57]
	ds_read_b128 v[8:11], v64 offset:1536
	s_waitcnt lgkmcnt(0)
	v_mul_f64 v[46:47], v[6:7], v[10:11]
	v_mul_f64 v[48:49], v[4:5], v[10:11]
	v_fma_f64 v[46:47], v[4:5], v[8:9], -v[46:47]
	v_fma_f64 v[48:49], v[6:7], v[8:9], v[48:49]
	v_add_f64 v[54:55], v[58:59], v[46:47]
	v_add_f64 v[56:57], v[48:49], v[60:61]
	ds_read_b128 v[46:49], v64 offset:1792
	s_waitcnt lgkmcnt(0)
	v_mul_f64 v[58:59], v[6:7], v[48:49]
	v_fma_f64 v[58:59], v[4:5], v[46:47], -v[58:59]
	v_mul_f64 v[4:5], v[4:5], v[48:49]
	v_add_f64 v[58:59], v[73:74], v[58:59]
	v_fma_f64 v[4:5], v[6:7], v[46:47], v[4:5]
	v_add_f64 v[60:61], v[4:5], v[71:72]
	ds_read_b128 v[4:7], v62 offset:8240
	s_waitcnt lgkmcnt(0)
	v_mul_f64 v[71:72], v[6:7], v[10:11]
	v_mul_f64 v[10:11], v[4:5], v[10:11]
	v_fma_f64 v[71:72], v[4:5], v[8:9], -v[71:72]
	v_fma_f64 v[8:9], v[6:7], v[8:9], v[10:11]
	v_add_f64 v[71:72], v[75:76], v[71:72]
	v_add_f64 v[73:74], v[8:9], v[77:78]
	v_mul_f64 v[8:9], v[6:7], v[48:49]
	v_fma_f64 v[8:9], v[4:5], v[46:47], -v[8:9]
	v_mul_f64 v[4:5], v[4:5], v[48:49]
	v_add_f64 v[50:51], v[50:51], v[8:9]
	v_fma_f64 v[4:5], v[6:7], v[46:47], v[4:5]
	v_add_f64 v[52:53], v[4:5], v[52:53]
	ds_read_b128 v[4:7], v62 offset:64
	ds_read_b128 v[8:11], v64 offset:2048
	s_waitcnt lgkmcnt(0)
	v_mul_f64 v[46:47], v[6:7], v[10:11]
	v_mul_f64 v[48:49], v[4:5], v[10:11]
	v_fma_f64 v[46:47], v[4:5], v[8:9], -v[46:47]
	v_fma_f64 v[48:49], v[6:7], v[8:9], v[48:49]
	v_add_f64 v[54:55], v[54:55], v[46:47]
	v_add_f64 v[56:57], v[48:49], v[56:57]
	ds_read_b128 v[46:49], v64 offset:2304
	s_waitcnt lgkmcnt(0)
	v_mul_f64 v[75:76], v[6:7], v[48:49]
	v_fma_f64 v[75:76], v[4:5], v[46:47], -v[75:76]
	v_mul_f64 v[4:5], v[4:5], v[48:49]
	v_add_f64 v[58:59], v[58:59], v[75:76]
	v_fma_f64 v[4:5], v[6:7], v[46:47], v[4:5]
	v_add_f64 v[60:61], v[4:5], v[60:61]
	ds_read_b128 v[4:7], v62 offset:8256
	s_waitcnt lgkmcnt(0)
	v_mul_f64 v[75:76], v[6:7], v[10:11]
	v_mul_f64 v[10:11], v[4:5], v[10:11]
	v_fma_f64 v[75:76], v[4:5], v[8:9], -v[75:76]
	v_fma_f64 v[8:9], v[6:7], v[8:9], v[10:11]
	v_add_f64 v[71:72], v[71:72], v[75:76]
	v_add_f64 v[73:74], v[8:9], v[73:74]
	v_mul_f64 v[8:9], v[6:7], v[48:49]
	v_fma_f64 v[8:9], v[4:5], v[46:47], -v[8:9]
	v_mul_f64 v[4:5], v[4:5], v[48:49]
	v_add_f64 v[50:51], v[50:51], v[8:9]
	v_fma_f64 v[4:5], v[6:7], v[46:47], v[4:5]
	v_add_f64 v[52:53], v[4:5], v[52:53]
	ds_read_b128 v[4:7], v62 offset:80
	;; [unrolled: 31-line block ×27, first 2 shown]
	ds_read_b128 v[8:11], v64 offset:15360
	s_waitcnt lgkmcnt(0)
	v_mul_f64 v[46:47], v[6:7], v[10:11]
	v_mul_f64 v[48:49], v[4:5], v[10:11]
	v_fma_f64 v[46:47], v[4:5], v[8:9], -v[46:47]
	v_fma_f64 v[48:49], v[6:7], v[8:9], v[48:49]
	v_add_f64 v[54:55], v[54:55], v[46:47]
	v_add_f64 v[56:57], v[48:49], v[56:57]
	ds_read_b128 v[46:49], v64 offset:15616
	s_waitcnt lgkmcnt(0)
	v_mul_f64 v[75:76], v[6:7], v[48:49]
	v_fma_f64 v[75:76], v[4:5], v[46:47], -v[75:76]
	v_mul_f64 v[4:5], v[4:5], v[48:49]
	v_add_f64 v[75:76], v[58:59], v[75:76]
	v_fma_f64 v[4:5], v[6:7], v[46:47], v[4:5]
	v_add_f64 v[77:78], v[4:5], v[60:61]
	ds_read_b128 v[4:7], v62 offset:8672
	s_waitcnt lgkmcnt(0)
	v_mul_f64 v[58:59], v[6:7], v[10:11]
	v_mul_f64 v[10:11], v[4:5], v[10:11]
	v_fma_f64 v[58:59], v[4:5], v[8:9], -v[58:59]
	v_fma_f64 v[8:9], v[6:7], v[8:9], v[10:11]
	v_add_f64 v[79:80], v[71:72], v[58:59]
	v_add_f64 v[81:82], v[8:9], v[73:74]
	v_mul_f64 v[8:9], v[6:7], v[48:49]
	v_fma_f64 v[8:9], v[4:5], v[46:47], -v[8:9]
	v_mul_f64 v[4:5], v[4:5], v[48:49]
	v_fma_f64 v[6:7], v[6:7], v[46:47], v[4:5]
	v_add_f64 v[4:5], v[50:51], v[8:9]
	v_add_f64 v[6:7], v[6:7], v[52:53]
	ds_read_b128 v[8:11], v62 offset:496
	ds_read_b128 v[50:53], v64 offset:15872
	;; [unrolled: 1-line block ×4, first 2 shown]
	s_waitcnt lgkmcnt(0)
	s_barrier
	buffer_gl0_inv
	v_mul_f64 v[46:47], v[10:11], v[52:53]
	v_mul_f64 v[48:49], v[8:9], v[52:53]
	v_fma_f64 v[46:47], v[8:9], v[50:51], -v[46:47]
	v_fma_f64 v[48:49], v[10:11], v[50:51], v[48:49]
	v_add_f64 v[54:55], v[54:55], v[46:47]
	v_mul_f64 v[46:47], v[10:11], v[60:61]
	v_add_f64 v[56:57], v[48:49], v[56:57]
	v_fma_f64 v[46:47], v[8:9], v[58:59], -v[46:47]
	v_mul_f64 v[8:9], v[8:9], v[60:61]
	v_add_f64 v[46:47], v[75:76], v[46:47]
	v_fma_f64 v[8:9], v[10:11], v[58:59], v[8:9]
	v_mul_f64 v[10:11], v[71:72], v[52:53]
	v_add_f64 v[48:49], v[8:9], v[77:78]
	v_mul_f64 v[8:9], v[73:74], v[52:53]
	v_fma_f64 v[10:11], v[73:74], v[50:51], v[10:11]
	v_fma_f64 v[8:9], v[71:72], v[50:51], -v[8:9]
	v_add_f64 v[52:53], v[10:11], v[81:82]
	v_mul_f64 v[10:11], v[71:72], v[60:61]
	v_add_f64 v[50:51], v[79:80], v[8:9]
	v_mul_f64 v[8:9], v[73:74], v[60:61]
	v_fma_f64 v[10:11], v[73:74], v[58:59], v[10:11]
	v_fma_f64 v[8:9], v[71:72], v[58:59], -v[8:9]
	v_add_f64 v[58:59], v[10:11], v[6:7]
	v_add_f64 v[60:61], v[4:5], v[8:9]
	s_cbranch_scc1 .LBB129_55
.LBB129_7:                              ;   Parent Loop BB129_4 Depth=1
                                        ; =>  This Inner Loop Header: Depth=2
	v_add_co_u32 v6, s5, v0, s12
	v_add_co_ci_u32_e64 v7, null, 0, s13, s5
	v_cmp_eq_u64_e64 s8, s[12:13], v[32:33]
	v_cmp_gt_i64_e64 s5, v[6:7], v[28:29]
	v_cmp_le_i64_e64 s6, s[46:47], v[6:7]
	s_and_b32 s20, s38, s8
	v_add_co_u32 v8, s8, v42, v34
	s_or_b32 s9, s3, s5
	v_add_co_ci_u32_e64 v9, null, v43, v35, s8
	s_or_b32 s8, s9, s20
	s_nor_b32 s8, s6, s8
	s_and_saveexec_b32 s9, s8
	s_xor_b32 s8, exec_lo, s9
	s_cbranch_execz .LBB129_9
; %bb.8:                                ;   in Loop: Header=BB129_7 Depth=2
	global_load_dwordx4 v[71:74], v[8:9], off
	s_waitcnt vmcnt(0)
	v_xor_b32_e32 v74, 0x80000000, v74
	ds_write_b128 v63, v[71:74]
.LBB129_9:                              ;   in Loop: Header=BB129_7 Depth=2
	s_or_saveexec_b32 s8, s8
	s_xor_b32 s17, s20, -1
	s_xor_b32 exec_lo, exec_lo, s8
	s_cbranch_execz .LBB129_15
; %bb.10:                               ;   in Loop: Header=BB129_7 Depth=2
	s_and_saveexec_b32 s9, s17
	s_xor_b32 s9, exec_lo, s9
	s_cbranch_execz .LBB129_12
; %bb.11:                               ;   in Loop: Header=BB129_7 Depth=2
	v_mov_b32_e32 v71, v2
	v_mov_b32_e32 v72, v2
	;; [unrolled: 1-line block ×4, first 2 shown]
	ds_write_b128 v63, v[71:74]
.LBB129_12:                             ;   in Loop: Header=BB129_7 Depth=2
	s_andn2_saveexec_b32 s9, s9
; %bb.13:                               ;   in Loop: Header=BB129_7 Depth=2
	v_mov_b32_e32 v4, v2
	v_mov_b32_e32 v5, v2
	ds_write_b128 v63, v[2:5]
; %bb.14:                               ;   in Loop: Header=BB129_7 Depth=2
	s_or_b32 exec_lo, exec_lo, s9
.LBB129_15:                             ;   in Loop: Header=BB129_7 Depth=2
	s_or_b32 exec_lo, exec_lo, s8
	v_add_co_u32 v4, s8, v6, 16
	v_add_co_ci_u32_e64 v5, null, 0, v7, s8
	v_cmp_eq_u64_e64 s9, s[12:13], v[38:39]
	v_cmp_gt_i64_e64 s10, v[4:5], v[28:29]
	v_cmp_le_i64_e64 s8, s[46:47], v[4:5]
	s_and_b32 s21, s38, s9
	s_or_b32 s9, s3, s10
	s_or_b32 s9, s9, s21
	s_nor_b32 s9, s8, s9
	s_and_saveexec_b32 s10, s9
	s_xor_b32 s10, exec_lo, s10
	s_cbranch_execz .LBB129_17
; %bb.16:                               ;   in Loop: Header=BB129_7 Depth=2
	v_add_co_u32 v4, s9, v40, v34
	v_add_co_ci_u32_e64 v5, null, v41, v35, s9
	global_load_dwordx4 v[71:74], v[4:5], off
	s_waitcnt vmcnt(0)
	v_xor_b32_e32 v74, 0x80000000, v74
	ds_write_b128 v63, v[71:74] offset:256
.LBB129_17:                             ;   in Loop: Header=BB129_7 Depth=2
	s_andn2_saveexec_b32 s9, s10
	s_cbranch_execz .LBB129_23
; %bb.18:                               ;   in Loop: Header=BB129_7 Depth=2
	s_xor_b32 s10, s21, -1
	s_and_saveexec_b32 s21, s10
	s_xor_b32 s10, exec_lo, s21
	s_cbranch_execz .LBB129_20
; %bb.19:                               ;   in Loop: Header=BB129_7 Depth=2
	v_mov_b32_e32 v71, v2
	v_mov_b32_e32 v72, v2
	;; [unrolled: 1-line block ×4, first 2 shown]
	ds_write_b128 v63, v[71:74] offset:256
.LBB129_20:                             ;   in Loop: Header=BB129_7 Depth=2
	s_andn2_saveexec_b32 s10, s10
; %bb.21:                               ;   in Loop: Header=BB129_7 Depth=2
	v_mov_b32_e32 v4, v2
	v_mov_b32_e32 v5, v2
	ds_write_b128 v63, v[2:5] offset:256
; %bb.22:                               ;   in Loop: Header=BB129_7 Depth=2
	s_or_b32 exec_lo, exec_lo, s10
.LBB129_23:                             ;   in Loop: Header=BB129_7 Depth=2
	s_or_b32 exec_lo, exec_lo, s9
	v_cmp_eq_u64_e64 s9, s[12:13], v[36:37]
	v_cmp_gt_i64_e64 s10, v[6:7], v[30:31]
	s_and_b32 s9, s38, s9
	s_or_b32 s10, s4, s10
	s_or_b32 s10, s10, s9
	s_nor_b32 s6, s6, s10
	s_and_saveexec_b32 s10, s6
	s_xor_b32 s6, exec_lo, s10
	s_cbranch_execz .LBB129_25
; %bb.24:                               ;   in Loop: Header=BB129_7 Depth=2
	global_load_dwordx4 v[4:7], v[8:9], off offset:256
	s_waitcnt vmcnt(0)
	v_xor_b32_e32 v7, 0x80000000, v7
	ds_write_b128 v63, v[4:7] offset:8192
.LBB129_25:                             ;   in Loop: Header=BB129_7 Depth=2
	s_andn2_saveexec_b32 s6, s6
	s_cbranch_execz .LBB129_31
; %bb.26:                               ;   in Loop: Header=BB129_7 Depth=2
	s_xor_b32 s9, s9, -1
	s_and_saveexec_b32 s10, s9
	s_xor_b32 s9, exec_lo, s10
	s_cbranch_execz .LBB129_28
; %bb.27:                               ;   in Loop: Header=BB129_7 Depth=2
	v_mov_b32_e32 v4, v2
	v_mov_b32_e32 v5, v2
	v_mov_b32_e32 v6, v2
	v_mov_b32_e32 v7, v2
	ds_write_b128 v63, v[4:7] offset:8192
.LBB129_28:                             ;   in Loop: Header=BB129_7 Depth=2
	s_andn2_saveexec_b32 s9, s9
; %bb.29:                               ;   in Loop: Header=BB129_7 Depth=2
	v_mov_b32_e32 v4, v2
	v_mov_b32_e32 v5, v2
	ds_write_b128 v63, v[2:5] offset:8192
; %bb.30:                               ;   in Loop: Header=BB129_7 Depth=2
	s_or_b32 exec_lo, exec_lo, s9
.LBB129_31:                             ;   in Loop: Header=BB129_7 Depth=2
	s_or_b32 exec_lo, exec_lo, s6
	s_or_b32 s5, s4, s5
	s_or_b32 s5, s5, s20
	s_nor_b32 s5, s8, s5
	s_and_saveexec_b32 s6, s5
	s_xor_b32 s6, exec_lo, s6
	s_cbranch_execz .LBB129_33
; %bb.32:                               ;   in Loop: Header=BB129_7 Depth=2
	v_add_co_u32 v4, s5, v40, v34
	v_add_co_ci_u32_e64 v5, null, v41, v35, s5
	global_load_dwordx4 v[4:7], v[4:5], off offset:256
	s_waitcnt vmcnt(0)
	v_xor_b32_e32 v7, 0x80000000, v7
	ds_write_b128 v63, v[4:7] offset:8448
.LBB129_33:                             ;   in Loop: Header=BB129_7 Depth=2
	s_andn2_saveexec_b32 s5, s6
	s_cbranch_execz .LBB129_39
; %bb.34:                               ;   in Loop: Header=BB129_7 Depth=2
	s_and_saveexec_b32 s6, s17
	s_xor_b32 s6, exec_lo, s6
	s_cbranch_execz .LBB129_36
; %bb.35:                               ;   in Loop: Header=BB129_7 Depth=2
	v_mov_b32_e32 v4, v2
	v_mov_b32_e32 v5, v2
	;; [unrolled: 1-line block ×4, first 2 shown]
	ds_write_b128 v63, v[4:7] offset:8448
.LBB129_36:                             ;   in Loop: Header=BB129_7 Depth=2
	s_andn2_saveexec_b32 s6, s6
; %bb.37:                               ;   in Loop: Header=BB129_7 Depth=2
	v_mov_b32_e32 v4, v2
	v_mov_b32_e32 v5, v2
	ds_write_b128 v63, v[2:5] offset:8448
; %bb.38:                               ;   in Loop: Header=BB129_7 Depth=2
	s_or_b32 exec_lo, exec_lo, s6
.LBB129_39:                             ;   in Loop: Header=BB129_7 Depth=2
	s_or_b32 exec_lo, exec_lo, s5
	v_add_co_u32 v4, s5, v1, s12
	v_add_co_ci_u32_e64 v5, null, 0, s13, s5
	v_add_co_u32 v6, s6, v44, v22
	v_add_co_ci_u32_e64 v7, null, v45, v23, s6
	v_cmp_le_i64_e64 s5, s[46:47], v[4:5]
	s_nor_b32 s6, s5, vcc_lo
	s_and_saveexec_b32 s8, s6
	s_xor_b32 s6, exec_lo, s8
	s_cbranch_execz .LBB129_41
; %bb.40:                               ;   in Loop: Header=BB129_7 Depth=2
	global_load_dwordx4 v[8:11], v[6:7], off offset:-256
	s_waitcnt vmcnt(0)
	ds_write2_b64 v65, v[8:9], v[10:11] offset1:1
.LBB129_41:                             ;   in Loop: Header=BB129_7 Depth=2
	s_andn2_saveexec_b32 s6, s6
	s_cbranch_execz .LBB129_43
; %bb.42:                               ;   in Loop: Header=BB129_7 Depth=2
	v_mov_b32_e32 v8, v2
	v_mov_b32_e32 v9, v2
	;; [unrolled: 1-line block ×4, first 2 shown]
	ds_write_b128 v65, v[8:11]
.LBB129_43:                             ;   in Loop: Header=BB129_7 Depth=2
	s_or_b32 exec_lo, exec_lo, s6
	s_nor_b32 s5, s5, s0
	s_and_saveexec_b32 s6, s5
	s_xor_b32 s5, exec_lo, s6
	s_cbranch_execz .LBB129_45
; %bb.44:                               ;   in Loop: Header=BB129_7 Depth=2
	global_load_dwordx4 v[6:9], v[6:7], off
	s_waitcnt vmcnt(0)
	ds_write2_b64 v66, v[6:7], v[8:9] offset1:1
.LBB129_45:                             ;   in Loop: Header=BB129_7 Depth=2
	s_andn2_saveexec_b32 s5, s5
	s_cbranch_execz .LBB129_47
; %bb.46:                               ;   in Loop: Header=BB129_7 Depth=2
	v_mov_b32_e32 v6, v2
	v_mov_b32_e32 v7, v2
	;; [unrolled: 1-line block ×4, first 2 shown]
	ds_write_b128 v65, v[6:9] offset:256
.LBB129_47:                             ;   in Loop: Header=BB129_7 Depth=2
	s_or_b32 exec_lo, exec_lo, s5
	v_cmp_le_i64_e64 s5, s[34:35], v[4:5]
	v_add_co_u32 v4, s6, v44, v14
	v_add_co_ci_u32_e64 v5, null, v45, v15, s6
	s_nor_b32 s6, s5, vcc_lo
	s_and_saveexec_b32 s8, s6
	s_xor_b32 s6, exec_lo, s8
	s_cbranch_execz .LBB129_49
; %bb.48:                               ;   in Loop: Header=BB129_7 Depth=2
	global_load_dwordx4 v[6:9], v[4:5], off offset:-256
	s_waitcnt vmcnt(0)
	ds_write2_b64 v67, v[6:7], v[8:9] offset1:1
.LBB129_49:                             ;   in Loop: Header=BB129_7 Depth=2
	s_andn2_saveexec_b32 s6, s6
	s_cbranch_execz .LBB129_51
; %bb.50:                               ;   in Loop: Header=BB129_7 Depth=2
	v_mov_b32_e32 v6, v2
	v_mov_b32_e32 v7, v2
	;; [unrolled: 1-line block ×4, first 2 shown]
	ds_write_b128 v65, v[6:9] offset:8192
.LBB129_51:                             ;   in Loop: Header=BB129_7 Depth=2
	s_or_b32 exec_lo, exec_lo, s6
	s_nor_b32 s5, s5, s0
	s_and_saveexec_b32 s6, s5
	s_xor_b32 s5, exec_lo, s6
	s_cbranch_execz .LBB129_53
; %bb.52:                               ;   in Loop: Header=BB129_7 Depth=2
	global_load_dwordx4 v[4:7], v[4:5], off
	s_waitcnt vmcnt(0)
	ds_write2_b64 v68, v[4:5], v[6:7] offset1:1
.LBB129_53:                             ;   in Loop: Header=BB129_7 Depth=2
	s_andn2_saveexec_b32 s5, s5
	s_cbranch_execz .LBB129_6
; %bb.54:                               ;   in Loop: Header=BB129_7 Depth=2
	v_mov_b32_e32 v4, v2
	v_mov_b32_e32 v5, v2
	;; [unrolled: 1-line block ×4, first 2 shown]
	ds_write_b128 v65, v[4:7] offset:8448
	s_branch .LBB129_6
.LBB129_55:                             ;   in Loop: Header=BB129_4 Depth=1
	v_mul_lo_u32 v6, s41, v28
	v_mul_lo_u32 v7, s40, v29
	v_mad_u64_u32 v[4:5], null, s40, v28, 0
	v_cmp_gt_i32_e64 s3, s46, v28
	v_add3_u32 v5, v5, v7, v6
	v_lshlrev_b64 v[4:5], 4, v[4:5]
	v_add_co_u32 v4, s4, s36, v4
	v_add_co_ci_u32_e64 v5, null, s37, v5, s4
	s_and_b32 s4, s1, s3
	s_and_saveexec_b32 s5, s4
	s_cbranch_execz .LBB129_57
; %bb.56:                               ;   in Loop: Header=BB129_4 Depth=1
	v_add_co_u32 v10, s4, v4, v20
	v_add_co_ci_u32_e64 v11, null, v5, v21, s4
	v_mul_f64 v[29:30], s[30:31], v[56:57]
	v_mul_f64 v[31:32], s[28:29], v[56:57]
	global_load_dwordx4 v[6:9], v[10:11], off
	v_fma_f64 v[29:30], s[28:29], v[54:55], -v[29:30]
	v_fma_f64 v[31:32], s[30:31], v[54:55], v[31:32]
	s_waitcnt vmcnt(0)
	v_add_f64 v[6:7], v[6:7], v[29:30]
	v_add_f64 v[8:9], v[31:32], v[8:9]
	global_store_dwordx4 v[10:11], v[6:9], off
.LBB129_57:                             ;   in Loop: Header=BB129_4 Depth=1
	s_or_b32 exec_lo, exec_lo, s5
	s_and_b32 s3, s2, s3
	s_and_saveexec_b32 s4, s3
	s_cbranch_execz .LBB129_59
; %bb.58:                               ;   in Loop: Header=BB129_4 Depth=1
	v_add_co_u32 v8, s3, v4, v26
	v_add_co_ci_u32_e64 v9, null, v5, v27, s3
	v_mul_f64 v[10:11], s[30:31], v[48:49]
	v_mul_f64 v[29:30], s[28:29], v[48:49]
	global_load_dwordx4 v[4:7], v[8:9], off
	v_fma_f64 v[10:11], s[28:29], v[46:47], -v[10:11]
	v_fma_f64 v[29:30], s[30:31], v[46:47], v[29:30]
	s_waitcnt vmcnt(0)
	v_add_f64 v[4:5], v[4:5], v[10:11]
	v_add_f64 v[6:7], v[29:30], v[6:7]
	global_store_dwordx4 v[8:9], v[4:7], off
.LBB129_59:                             ;   in Loop: Header=BB129_4 Depth=1
	s_or_b32 exec_lo, exec_lo, s4
	v_add_nc_u32_e32 v6, 16, v28
	v_ashrrev_i32_e32 v7, 31, v6
	v_mul_lo_u32 v8, s41, v6
	v_mad_u64_u32 v[4:5], null, s40, v6, 0
	v_cmp_gt_i32_e64 s3, s46, v6
	v_mul_lo_u32 v7, s40, v7
	v_add3_u32 v5, v5, v7, v8
	v_lshlrev_b64 v[4:5], 4, v[4:5]
	v_add_co_u32 v4, s4, s36, v4
	v_add_co_ci_u32_e64 v5, null, s37, v5, s4
	s_and_b32 s4, s1, s3
	s_and_saveexec_b32 s5, s4
	s_cbranch_execz .LBB129_61
; %bb.60:                               ;   in Loop: Header=BB129_4 Depth=1
	v_add_co_u32 v10, s4, v4, v20
	v_add_co_ci_u32_e64 v11, null, v5, v21, s4
	v_mul_f64 v[28:29], s[30:31], v[52:53]
	v_mul_f64 v[30:31], s[28:29], v[52:53]
	global_load_dwordx4 v[6:9], v[10:11], off
	v_fma_f64 v[28:29], s[28:29], v[50:51], -v[28:29]
	v_fma_f64 v[30:31], s[30:31], v[50:51], v[30:31]
	s_waitcnt vmcnt(0)
	v_add_f64 v[6:7], v[6:7], v[28:29]
	v_add_f64 v[8:9], v[30:31], v[8:9]
	global_store_dwordx4 v[10:11], v[6:9], off
.LBB129_61:                             ;   in Loop: Header=BB129_4 Depth=1
	s_or_b32 exec_lo, exec_lo, s5
	s_and_b32 s3, s2, s3
	s_and_saveexec_b32 s4, s3
	s_cbranch_execz .LBB129_3
; %bb.62:                               ;   in Loop: Header=BB129_4 Depth=1
	v_add_co_u32 v8, s3, v4, v26
	v_add_co_ci_u32_e64 v9, null, v5, v27, s3
	v_mul_f64 v[10:11], s[30:31], v[58:59]
	v_mul_f64 v[28:29], s[28:29], v[58:59]
	global_load_dwordx4 v[4:7], v[8:9], off
	v_fma_f64 v[10:11], s[28:29], v[60:61], -v[10:11]
	v_fma_f64 v[28:29], s[30:31], v[60:61], v[28:29]
	s_waitcnt vmcnt(0)
	v_add_f64 v[4:5], v[4:5], v[10:11]
	v_add_f64 v[6:7], v[28:29], v[6:7]
	global_store_dwordx4 v[8:9], v[4:7], off
	s_branch .LBB129_3
.LBB129_63:
	s_endpgm
	.section	.rodata,"a",@progbits
	.p2align	6, 0x0
	.amdhsa_kernel _ZL30rocblas_trmm_outofplace_kernelI19rocblas_complex_numIdELi32ELi2ELb0ELb0ELb1ELb1ES1_KS1_S1_Ev17rocblas_diagonal_iiT6_lPT7_lllS6_lllPT8_llli
		.amdhsa_group_segment_fixed_size 32768
		.amdhsa_private_segment_fixed_size 0
		.amdhsa_kernarg_size 400
		.amdhsa_user_sgpr_count 6
		.amdhsa_user_sgpr_private_segment_buffer 1
		.amdhsa_user_sgpr_dispatch_ptr 0
		.amdhsa_user_sgpr_queue_ptr 0
		.amdhsa_user_sgpr_kernarg_segment_ptr 1
		.amdhsa_user_sgpr_dispatch_id 0
		.amdhsa_user_sgpr_flat_scratch_init 0
		.amdhsa_user_sgpr_private_segment_size 0
		.amdhsa_wavefront_size32 1
		.amdhsa_uses_dynamic_stack 0
		.amdhsa_system_sgpr_private_segment_wavefront_offset 0
		.amdhsa_system_sgpr_workgroup_id_x 1
		.amdhsa_system_sgpr_workgroup_id_y 1
		.amdhsa_system_sgpr_workgroup_id_z 1
		.amdhsa_system_sgpr_workgroup_info 0
		.amdhsa_system_vgpr_workitem_id 1
		.amdhsa_next_free_vgpr 89
		.amdhsa_next_free_sgpr 48
		.amdhsa_reserve_vcc 1
		.amdhsa_reserve_flat_scratch 0
		.amdhsa_float_round_mode_32 0
		.amdhsa_float_round_mode_16_64 0
		.amdhsa_float_denorm_mode_32 3
		.amdhsa_float_denorm_mode_16_64 3
		.amdhsa_dx10_clamp 1
		.amdhsa_ieee_mode 1
		.amdhsa_fp16_overflow 0
		.amdhsa_workgroup_processor_mode 1
		.amdhsa_memory_ordered 1
		.amdhsa_forward_progress 1
		.amdhsa_shared_vgpr_count 0
		.amdhsa_exception_fp_ieee_invalid_op 0
		.amdhsa_exception_fp_denorm_src 0
		.amdhsa_exception_fp_ieee_div_zero 0
		.amdhsa_exception_fp_ieee_overflow 0
		.amdhsa_exception_fp_ieee_underflow 0
		.amdhsa_exception_fp_ieee_inexact 0
		.amdhsa_exception_int_div_zero 0
	.end_amdhsa_kernel
	.section	.text._ZL30rocblas_trmm_outofplace_kernelI19rocblas_complex_numIdELi32ELi2ELb0ELb0ELb1ELb1ES1_KS1_S1_Ev17rocblas_diagonal_iiT6_lPT7_lllS6_lllPT8_llli,"axG",@progbits,_ZL30rocblas_trmm_outofplace_kernelI19rocblas_complex_numIdELi32ELi2ELb0ELb0ELb1ELb1ES1_KS1_S1_Ev17rocblas_diagonal_iiT6_lPT7_lllS6_lllPT8_llli,comdat
.Lfunc_end129:
	.size	_ZL30rocblas_trmm_outofplace_kernelI19rocblas_complex_numIdELi32ELi2ELb0ELb0ELb1ELb1ES1_KS1_S1_Ev17rocblas_diagonal_iiT6_lPT7_lllS6_lllPT8_llli, .Lfunc_end129-_ZL30rocblas_trmm_outofplace_kernelI19rocblas_complex_numIdELi32ELi2ELb0ELb0ELb1ELb1ES1_KS1_S1_Ev17rocblas_diagonal_iiT6_lPT7_lllS6_lllPT8_llli
                                        ; -- End function
	.set _ZL30rocblas_trmm_outofplace_kernelI19rocblas_complex_numIdELi32ELi2ELb0ELb0ELb1ELb1ES1_KS1_S1_Ev17rocblas_diagonal_iiT6_lPT7_lllS6_lllPT8_llli.num_vgpr, 89
	.set _ZL30rocblas_trmm_outofplace_kernelI19rocblas_complex_numIdELi32ELi2ELb0ELb0ELb1ELb1ES1_KS1_S1_Ev17rocblas_diagonal_iiT6_lPT7_lllS6_lllPT8_llli.num_agpr, 0
	.set _ZL30rocblas_trmm_outofplace_kernelI19rocblas_complex_numIdELi32ELi2ELb0ELb0ELb1ELb1ES1_KS1_S1_Ev17rocblas_diagonal_iiT6_lPT7_lllS6_lllPT8_llli.numbered_sgpr, 48
	.set _ZL30rocblas_trmm_outofplace_kernelI19rocblas_complex_numIdELi32ELi2ELb0ELb0ELb1ELb1ES1_KS1_S1_Ev17rocblas_diagonal_iiT6_lPT7_lllS6_lllPT8_llli.num_named_barrier, 0
	.set _ZL30rocblas_trmm_outofplace_kernelI19rocblas_complex_numIdELi32ELi2ELb0ELb0ELb1ELb1ES1_KS1_S1_Ev17rocblas_diagonal_iiT6_lPT7_lllS6_lllPT8_llli.private_seg_size, 0
	.set _ZL30rocblas_trmm_outofplace_kernelI19rocblas_complex_numIdELi32ELi2ELb0ELb0ELb1ELb1ES1_KS1_S1_Ev17rocblas_diagonal_iiT6_lPT7_lllS6_lllPT8_llli.uses_vcc, 1
	.set _ZL30rocblas_trmm_outofplace_kernelI19rocblas_complex_numIdELi32ELi2ELb0ELb0ELb1ELb1ES1_KS1_S1_Ev17rocblas_diagonal_iiT6_lPT7_lllS6_lllPT8_llli.uses_flat_scratch, 0
	.set _ZL30rocblas_trmm_outofplace_kernelI19rocblas_complex_numIdELi32ELi2ELb0ELb0ELb1ELb1ES1_KS1_S1_Ev17rocblas_diagonal_iiT6_lPT7_lllS6_lllPT8_llli.has_dyn_sized_stack, 0
	.set _ZL30rocblas_trmm_outofplace_kernelI19rocblas_complex_numIdELi32ELi2ELb0ELb0ELb1ELb1ES1_KS1_S1_Ev17rocblas_diagonal_iiT6_lPT7_lllS6_lllPT8_llli.has_recursion, 0
	.set _ZL30rocblas_trmm_outofplace_kernelI19rocblas_complex_numIdELi32ELi2ELb0ELb0ELb1ELb1ES1_KS1_S1_Ev17rocblas_diagonal_iiT6_lPT7_lllS6_lllPT8_llli.has_indirect_call, 0
	.section	.AMDGPU.csdata,"",@progbits
; Kernel info:
; codeLenInByte = 10116
; TotalNumSgprs: 50
; NumVgprs: 89
; ScratchSize: 0
; MemoryBound: 0
; FloatMode: 240
; IeeeMode: 1
; LDSByteSize: 32768 bytes/workgroup (compile time only)
; SGPRBlocks: 0
; VGPRBlocks: 11
; NumSGPRsForWavesPerEU: 50
; NumVGPRsForWavesPerEU: 89
; Occupancy: 10
; WaveLimiterHint : 0
; COMPUTE_PGM_RSRC2:SCRATCH_EN: 0
; COMPUTE_PGM_RSRC2:USER_SGPR: 6
; COMPUTE_PGM_RSRC2:TRAP_HANDLER: 0
; COMPUTE_PGM_RSRC2:TGID_X_EN: 1
; COMPUTE_PGM_RSRC2:TGID_Y_EN: 1
; COMPUTE_PGM_RSRC2:TGID_Z_EN: 1
; COMPUTE_PGM_RSRC2:TIDIG_COMP_CNT: 1
	.section	.text._ZL30rocblas_trmm_outofplace_kernelI19rocblas_complex_numIdELi32ELi2ELb0ELb1ELb1ELb1EPKS1_S2_S1_Ev17rocblas_diagonal_iiT6_lPT7_lllS7_lllPT8_llli,"axG",@progbits,_ZL30rocblas_trmm_outofplace_kernelI19rocblas_complex_numIdELi32ELi2ELb0ELb1ELb1ELb1EPKS1_S2_S1_Ev17rocblas_diagonal_iiT6_lPT7_lllS7_lllPT8_llli,comdat
	.globl	_ZL30rocblas_trmm_outofplace_kernelI19rocblas_complex_numIdELi32ELi2ELb0ELb1ELb1ELb1EPKS1_S2_S1_Ev17rocblas_diagonal_iiT6_lPT7_lllS7_lllPT8_llli ; -- Begin function _ZL30rocblas_trmm_outofplace_kernelI19rocblas_complex_numIdELi32ELi2ELb0ELb1ELb1ELb1EPKS1_S2_S1_Ev17rocblas_diagonal_iiT6_lPT7_lllS7_lllPT8_llli
	.p2align	8
	.type	_ZL30rocblas_trmm_outofplace_kernelI19rocblas_complex_numIdELi32ELi2ELb0ELb1ELb1ELb1EPKS1_S2_S1_Ev17rocblas_diagonal_iiT6_lPT7_lllS7_lllPT8_llli,@function
_ZL30rocblas_trmm_outofplace_kernelI19rocblas_complex_numIdELi32ELi2ELb0ELb1ELb1ELb1EPKS1_S2_S1_Ev17rocblas_diagonal_iiT6_lPT7_lllS7_lllPT8_llli: ; @_ZL30rocblas_trmm_outofplace_kernelI19rocblas_complex_numIdELi32ELi2ELb0ELb1ELb1ELb1EPKS1_S2_S1_Ev17rocblas_diagonal_iiT6_lPT7_lllS7_lllPT8_llli
; %bb.0:
	s_load_dwordx16 s[12:27], s[4:5], 0x10
	s_waitcnt lgkmcnt(0)
	s_mul_i32 s1, s15, s8
	s_mul_hi_u32 s2, s14, s8
	s_mul_i32 s0, s14, s8
	s_add_i32 s1, s2, s1
	s_lshl_b64 s[0:1], s[0:1], 4
	s_add_u32 s0, s12, s0
	s_addc_u32 s1, s13, s1
	s_load_dwordx4 s[12:15], s[0:1], 0x0
	s_waitcnt lgkmcnt(0)
	v_cmp_eq_f64_e64 s0, s[12:13], 0
	v_cmp_eq_f64_e64 s1, s[14:15], 0
	s_and_b32 s0, s0, s1
	s_and_b32 vcc_lo, exec_lo, s0
	s_cbranch_vccnz .LBB130_64
; %bb.1:
	s_load_dwordx4 s[28:31], s[4:5], 0x0
	s_waitcnt lgkmcnt(0)
	s_add_i32 s0, s30, -1
	s_ashr_i32 s1, s0, 31
	s_lshr_b32 s1, s1, 27
	s_add_i32 s0, s0, s1
	s_ashr_i32 s11, s0, 5
	s_cmp_gt_i32 s7, s11
	s_cbranch_scc1 .LBB130_64
; %bb.2:
	s_clause 0x1
	s_load_dwordx8 s[36:43], s[4:5], 0x50
	s_load_dwordx4 s[44:47], s[4:5], 0x70
	v_lshl_add_u32 v2, s6, 5, v0
	s_load_dword s33, s[4:5], 0x8c
	v_lshlrev_b32_e32 v4, 4, v0
	v_lshlrev_b32_e32 v60, 9, v1
	v_ashrrev_i32_e32 v3, 31, v2
	v_add_nc_u32_e32 v16, 16, v2
	v_or_b32_e32 v62, 0x4000, v4
	v_add_nc_u32_e32 v61, v60, v4
	v_lshlrev_b64 v[12:13], 4, v[2:3]
	v_ashrrev_i32_e32 v17, 31, v16
	v_add_nc_u32_e32 v63, v62, v60
	v_add_nc_u32_e32 v64, 0x100, v63
	s_waitcnt lgkmcnt(0)
	s_mul_i32 s1, s39, s8
	s_mul_hi_u32 s2, s38, s8
	s_mul_i32 s0, s38, s8
	s_add_i32 s1, s2, s1
	s_mul_i32 s3, s47, s8
	s_lshl_b64 s[0:1], s[0:1], 4
	s_mul_hi_u32 s4, s46, s8
	s_add_u32 s5, s24, s0
	s_addc_u32 s6, s25, s1
	s_lshl_b64 s[0:1], s[26:27], 4
	s_mul_i32 s2, s46, s8
	s_add_u32 s5, s5, s0
	s_addc_u32 s6, s6, s1
	s_add_i32 s3, s4, s3
	v_add_co_u32 v14, vcc_lo, s5, v12
	s_lshl_b64 s[0:1], s[2:3], 4
	v_add_co_ci_u32_e64 v15, null, s6, v13, vcc_lo
	s_add_u32 s2, s40, s0
	s_addc_u32 s3, s41, s1
	s_lshl_b64 s[0:1], s[42:43], 4
	v_sub_co_u32 v4, vcc_lo, s29, v2
	s_add_u32 s38, s2, s0
	s_addc_u32 s39, s3, s1
	s_cmpk_eq_i32 s28, 0x84
	s_mul_i32 s4, s23, s8
	s_cselect_b32 s40, -1, 0
	s_ashr_i32 s0, s29, 31
	s_ashr_i32 s31, s30, 31
	v_sub_co_ci_u32_e64 v5, null, s0, v3, vcc_lo
	s_lshl_b64 s[24:25], s[20:21], 9
	s_lshl_b64 s[26:27], s[36:37], 9
	s_mul_hi_u32 s5, s22, s8
	s_add_u32 s34, s30, -16
	s_addc_u32 s35, s31, -1
	s_add_i32 s5, s5, s4
	s_mul_i32 s4, s22, s8
	s_lshl_b32 s3, s7, 5
	s_lshl_b64 s[4:5], s[4:5], 4
	s_lshl_b64 s[8:9], s[18:19], 4
	v_cmp_gt_i64_e64 s0, 17, v[4:5]
	s_lshl_b32 s41, s33, 5
	s_lshl_b64 s[18:19], s[36:37], 4
	v_add_nc_u32_e32 v65, 0x2000, v63
	v_add_nc_u32_e32 v66, 0x2100, v63
	v_cmp_gt_i32_e64 s1, s29, v2
	v_cmp_gt_i32_e64 s2, s29, v16
	v_add_nc_u32_e32 v18, s3, v0
	v_add_nc_u32_e32 v20, s3, v1
	s_add_u32 s3, s4, s8
	v_mov_b32_e32 v2, 0
	v_mov_b32_e32 v3, 0x3ff00000
	s_addc_u32 s4, s5, s9
	s_add_u32 s16, s16, s3
	s_addc_u32 s17, s17, s4
	s_lshl_b64 s[22:23], s[20:21], 4
	v_cmp_gt_i64_e32 vcc_lo, 1, v[4:5]
	s_branch .LBB130_4
.LBB130_3:                              ;   in Loop: Header=BB130_4 Depth=1
	s_or_b32 exec_lo, exec_lo, s4
	v_add_nc_u32_e32 v18, s41, v18
	v_add_nc_u32_e32 v20, s41, v20
	s_add_i32 s7, s33, s7
	s_cmp_le_i32 s7, s11
	s_cbranch_scc0 .LBB130_64
.LBB130_4:                              ; =>This Loop Header: Depth=1
                                        ;     Child Loop BB130_7 Depth 2
	s_lshl_b32 s3, s7, 5
	v_ashrrev_i32_e32 v19, 31, v18
	v_add_nc_u32_e32 v22, s3, v1
	v_ashrrev_i32_e32 v21, 31, v20
	s_sub_i32 s42, s30, s3
	s_cmp_lt_i32 s42, 1
	v_ashrrev_i32_e32 v23, 31, v22
	s_cbranch_scc1 .LBB130_55
; %bb.5:                                ;   in Loop: Header=BB130_4 Depth=1
	v_lshlrev_b64 v[24:25], 4, v[20:21]
	v_sub_co_u32 v26, s3, v20, v18
	v_lshlrev_b64 v[4:5], 4, v[18:19]
	v_sub_co_ci_u32_e64 v27, null, v21, v19, s3
	v_add_co_u32 v0, s3, 0x100, v24
	v_add_co_ci_u32_e64 v6, null, 0, v25, s3
	v_mad_u64_u32 v[28:29], null, s18, v20, 0x100
	v_mul_lo_u32 v9, s37, v0
	v_mad_u64_u32 v[30:31], null, s36, v0, 0x100
	v_add_co_u32 v0, s3, 0x100, v4
	v_add_co_ci_u32_e64 v4, null, 0, v5, s3
	v_mul_lo_u32 v7, s18, v21
	v_mul_lo_u32 v8, s19, v20
	;; [unrolled: 1-line block ×3, first 2 shown]
	v_mad_u64_u32 v[32:33], null, s22, v18, s[16:17]
	v_mul_lo_u32 v5, s22, v19
	v_mul_lo_u32 v10, s23, v18
	v_mul_lo_u32 v4, s20, v4
	v_mul_lo_u32 v11, s21, v0
	v_mad_u64_u32 v[34:35], null, s20, v0, s[16:17]
	v_add_co_u32 v36, s3, v22, 16
	v_add_co_ci_u32_e64 v37, null, 0, v23, s3
	v_add_co_u32 v38, s5, v26, 16
	v_add_co_ci_u32_e64 v39, null, 0, v27, s5
	v_add_co_u32 v40, s5, v26, -16
	v_cmp_le_i64_e64 s4, s[30:31], v[36:37]
	v_mov_b32_e32 v56, 0
	v_mov_b32_e32 v58, 0
	;; [unrolled: 1-line block ×9, first 2 shown]
	v_add3_u32 v29, v8, v29, v7
	v_add3_u32 v31, v9, v31, v6
	;; [unrolled: 1-line block ×4, first 2 shown]
	v_cmp_le_i32_e64 s3, s30, v22
	v_add_co_ci_u32_e64 v41, null, -1, v27, s5
	v_mov_b32_e32 v57, 0
	v_mov_b32_e32 v59, 0
	;; [unrolled: 1-line block ×9, first 2 shown]
	s_mov_b64 s[28:29], 0
	s_branch .LBB130_7
.LBB130_6:                              ;   in Loop: Header=BB130_7 Depth=2
	s_or_b32 exec_lo, exec_lo, s5
	s_waitcnt lgkmcnt(0)
	s_barrier
	buffer_gl0_inv
	ds_read_b128 v[67:70], v60
	ds_read_b128 v[71:74], v60 offset:16
	ds_read_b128 v[8:11], v60 offset:32
	ds_read_b128 v[4:7], v60 offset:48
	ds_read_b128 v[75:78], v62
	v_add_co_u32 v42, s5, v42, s26
	v_add_co_ci_u32_e64 v43, null, s27, v43, s5
	v_add_co_u32 v32, s5, v32, s24
	v_add_co_ci_u32_e64 v33, null, s25, v33, s5
	;; [unrolled: 2-line block ×3, first 2 shown]
	s_add_u32 s28, s28, 32
	s_addc_u32 s29, s29, 0
	s_cmp_ge_i32 s28, s42
	s_waitcnt lgkmcnt(0)
	v_mul_f64 v[79:80], v[69:70], v[77:78]
	v_mul_f64 v[81:82], v[67:68], v[77:78]
	v_fma_f64 v[79:80], v[67:68], v[75:76], -v[79:80]
	v_fma_f64 v[81:82], v[69:70], v[75:76], v[81:82]
	v_add_f64 v[79:80], v[52:53], v[79:80]
	v_add_f64 v[81:82], v[81:82], v[54:55]
	ds_read_b128 v[52:55], v62 offset:256
	s_waitcnt lgkmcnt(0)
	v_mul_f64 v[83:84], v[69:70], v[54:55]
	v_fma_f64 v[83:84], v[67:68], v[52:53], -v[83:84]
	v_mul_f64 v[67:68], v[67:68], v[54:55]
	v_fma_f64 v[67:68], v[69:70], v[52:53], v[67:68]
	v_add_f64 v[69:70], v[44:45], v[83:84]
	v_add_f64 v[67:68], v[67:68], v[46:47]
	ds_read_b128 v[44:47], v60 offset:8192
	s_waitcnt lgkmcnt(0)
	v_mul_f64 v[83:84], v[46:47], v[77:78]
	v_mul_f64 v[77:78], v[44:45], v[77:78]
	v_fma_f64 v[83:84], v[44:45], v[75:76], -v[83:84]
	v_fma_f64 v[75:76], v[46:47], v[75:76], v[77:78]
	v_add_f64 v[77:78], v[48:49], v[83:84]
	v_mul_f64 v[48:49], v[46:47], v[54:55]
	v_add_f64 v[75:76], v[75:76], v[50:51]
	v_fma_f64 v[48:49], v[44:45], v[52:53], -v[48:49]
	v_mul_f64 v[44:45], v[44:45], v[54:55]
	v_add_f64 v[58:59], v[58:59], v[48:49]
	v_fma_f64 v[44:45], v[46:47], v[52:53], v[44:45]
	v_add_f64 v[56:57], v[44:45], v[56:57]
	ds_read_b128 v[44:47], v62 offset:512
	s_waitcnt lgkmcnt(0)
	v_mul_f64 v[48:49], v[73:74], v[46:47]
	v_mul_f64 v[50:51], v[71:72], v[46:47]
	v_fma_f64 v[48:49], v[71:72], v[44:45], -v[48:49]
	v_fma_f64 v[50:51], v[73:74], v[44:45], v[50:51]
	v_add_f64 v[79:80], v[79:80], v[48:49]
	v_add_f64 v[81:82], v[50:51], v[81:82]
	ds_read_b128 v[48:51], v62 offset:768
	s_waitcnt lgkmcnt(0)
	v_mul_f64 v[52:53], v[73:74], v[50:51]
	v_mul_f64 v[54:55], v[71:72], v[50:51]
	v_fma_f64 v[52:53], v[71:72], v[48:49], -v[52:53]
	v_fma_f64 v[54:55], v[73:74], v[48:49], v[54:55]
	v_add_f64 v[69:70], v[69:70], v[52:53]
	v_add_f64 v[67:68], v[54:55], v[67:68]
	ds_read_b128 v[52:55], v60 offset:8208
	s_waitcnt lgkmcnt(0)
	v_mul_f64 v[71:72], v[54:55], v[46:47]
	v_mul_f64 v[46:47], v[52:53], v[46:47]
	v_fma_f64 v[71:72], v[52:53], v[44:45], -v[71:72]
	v_fma_f64 v[44:45], v[54:55], v[44:45], v[46:47]
	v_mul_f64 v[46:47], v[52:53], v[50:51]
	v_add_f64 v[71:72], v[77:78], v[71:72]
	v_add_f64 v[73:74], v[44:45], v[75:76]
	v_mul_f64 v[44:45], v[54:55], v[50:51]
	v_fma_f64 v[46:47], v[54:55], v[48:49], v[46:47]
	v_fma_f64 v[44:45], v[52:53], v[48:49], -v[44:45]
	v_add_f64 v[54:55], v[46:47], v[56:57]
	v_add_f64 v[52:53], v[58:59], v[44:45]
	ds_read_b128 v[44:47], v62 offset:1024
	s_waitcnt lgkmcnt(0)
	v_mul_f64 v[48:49], v[10:11], v[46:47]
	v_mul_f64 v[50:51], v[8:9], v[46:47]
	v_fma_f64 v[48:49], v[8:9], v[44:45], -v[48:49]
	v_fma_f64 v[50:51], v[10:11], v[44:45], v[50:51]
	v_add_f64 v[56:57], v[79:80], v[48:49]
	v_add_f64 v[58:59], v[50:51], v[81:82]
	ds_read_b128 v[48:51], v62 offset:1280
	s_waitcnt lgkmcnt(0)
	v_mul_f64 v[75:76], v[10:11], v[50:51]
	v_fma_f64 v[75:76], v[8:9], v[48:49], -v[75:76]
	v_mul_f64 v[8:9], v[8:9], v[50:51]
	v_add_f64 v[69:70], v[69:70], v[75:76]
	v_fma_f64 v[8:9], v[10:11], v[48:49], v[8:9]
	v_add_f64 v[67:68], v[8:9], v[67:68]
	ds_read_b128 v[8:11], v60 offset:8224
	s_waitcnt lgkmcnt(0)
	v_mul_f64 v[75:76], v[10:11], v[46:47]
	v_mul_f64 v[46:47], v[8:9], v[46:47]
	v_fma_f64 v[75:76], v[8:9], v[44:45], -v[75:76]
	v_fma_f64 v[44:45], v[10:11], v[44:45], v[46:47]
	v_add_f64 v[71:72], v[71:72], v[75:76]
	v_add_f64 v[73:74], v[44:45], v[73:74]
	v_mul_f64 v[44:45], v[10:11], v[50:51]
	v_fma_f64 v[44:45], v[8:9], v[48:49], -v[44:45]
	v_mul_f64 v[8:9], v[8:9], v[50:51]
	v_fma_f64 v[8:9], v[10:11], v[48:49], v[8:9]
	v_add_f64 v[48:49], v[52:53], v[44:45]
	v_add_f64 v[50:51], v[8:9], v[54:55]
	ds_read_b128 v[8:11], v62 offset:1536
	s_waitcnt lgkmcnt(0)
	v_mul_f64 v[44:45], v[6:7], v[10:11]
	v_mul_f64 v[46:47], v[4:5], v[10:11]
	v_fma_f64 v[44:45], v[4:5], v[8:9], -v[44:45]
	v_fma_f64 v[46:47], v[6:7], v[8:9], v[46:47]
	v_add_f64 v[52:53], v[56:57], v[44:45]
	v_add_f64 v[54:55], v[46:47], v[58:59]
	ds_read_b128 v[44:47], v62 offset:1792
	s_waitcnt lgkmcnt(0)
	v_mul_f64 v[56:57], v[6:7], v[46:47]
	v_fma_f64 v[56:57], v[4:5], v[44:45], -v[56:57]
	v_mul_f64 v[4:5], v[4:5], v[46:47]
	v_add_f64 v[56:57], v[69:70], v[56:57]
	v_fma_f64 v[4:5], v[6:7], v[44:45], v[4:5]
	v_add_f64 v[58:59], v[4:5], v[67:68]
	ds_read_b128 v[4:7], v60 offset:8240
	s_waitcnt lgkmcnt(0)
	v_mul_f64 v[67:68], v[6:7], v[10:11]
	v_mul_f64 v[10:11], v[4:5], v[10:11]
	v_fma_f64 v[67:68], v[4:5], v[8:9], -v[67:68]
	v_fma_f64 v[8:9], v[6:7], v[8:9], v[10:11]
	v_add_f64 v[67:68], v[71:72], v[67:68]
	v_add_f64 v[69:70], v[8:9], v[73:74]
	v_mul_f64 v[8:9], v[6:7], v[46:47]
	v_fma_f64 v[8:9], v[4:5], v[44:45], -v[8:9]
	v_mul_f64 v[4:5], v[4:5], v[46:47]
	v_add_f64 v[48:49], v[48:49], v[8:9]
	v_fma_f64 v[4:5], v[6:7], v[44:45], v[4:5]
	v_add_f64 v[50:51], v[4:5], v[50:51]
	ds_read_b128 v[4:7], v60 offset:64
	ds_read_b128 v[8:11], v62 offset:2048
	s_waitcnt lgkmcnt(0)
	v_mul_f64 v[44:45], v[6:7], v[10:11]
	v_mul_f64 v[46:47], v[4:5], v[10:11]
	v_fma_f64 v[44:45], v[4:5], v[8:9], -v[44:45]
	v_fma_f64 v[46:47], v[6:7], v[8:9], v[46:47]
	v_add_f64 v[52:53], v[52:53], v[44:45]
	v_add_f64 v[54:55], v[46:47], v[54:55]
	ds_read_b128 v[44:47], v62 offset:2304
	s_waitcnt lgkmcnt(0)
	v_mul_f64 v[71:72], v[6:7], v[46:47]
	v_fma_f64 v[71:72], v[4:5], v[44:45], -v[71:72]
	v_mul_f64 v[4:5], v[4:5], v[46:47]
	v_add_f64 v[56:57], v[56:57], v[71:72]
	v_fma_f64 v[4:5], v[6:7], v[44:45], v[4:5]
	v_add_f64 v[58:59], v[4:5], v[58:59]
	ds_read_b128 v[4:7], v60 offset:8256
	s_waitcnt lgkmcnt(0)
	v_mul_f64 v[71:72], v[6:7], v[10:11]
	v_mul_f64 v[10:11], v[4:5], v[10:11]
	v_fma_f64 v[71:72], v[4:5], v[8:9], -v[71:72]
	v_fma_f64 v[8:9], v[6:7], v[8:9], v[10:11]
	v_add_f64 v[67:68], v[67:68], v[71:72]
	v_add_f64 v[69:70], v[8:9], v[69:70]
	v_mul_f64 v[8:9], v[6:7], v[46:47]
	v_fma_f64 v[8:9], v[4:5], v[44:45], -v[8:9]
	v_mul_f64 v[4:5], v[4:5], v[46:47]
	v_add_f64 v[48:49], v[48:49], v[8:9]
	v_fma_f64 v[4:5], v[6:7], v[44:45], v[4:5]
	v_add_f64 v[50:51], v[4:5], v[50:51]
	ds_read_b128 v[4:7], v60 offset:80
	;; [unrolled: 31-line block ×27, first 2 shown]
	ds_read_b128 v[8:11], v62 offset:15360
	s_waitcnt lgkmcnt(0)
	v_mul_f64 v[44:45], v[6:7], v[10:11]
	v_mul_f64 v[46:47], v[4:5], v[10:11]
	v_fma_f64 v[44:45], v[4:5], v[8:9], -v[44:45]
	v_fma_f64 v[46:47], v[6:7], v[8:9], v[46:47]
	v_add_f64 v[52:53], v[52:53], v[44:45]
	v_add_f64 v[54:55], v[46:47], v[54:55]
	ds_read_b128 v[44:47], v62 offset:15616
	s_waitcnt lgkmcnt(0)
	v_mul_f64 v[71:72], v[6:7], v[46:47]
	v_fma_f64 v[71:72], v[4:5], v[44:45], -v[71:72]
	v_mul_f64 v[4:5], v[4:5], v[46:47]
	v_add_f64 v[71:72], v[56:57], v[71:72]
	v_fma_f64 v[4:5], v[6:7], v[44:45], v[4:5]
	v_add_f64 v[73:74], v[4:5], v[58:59]
	ds_read_b128 v[4:7], v60 offset:8672
	s_waitcnt lgkmcnt(0)
	v_mul_f64 v[56:57], v[6:7], v[10:11]
	v_mul_f64 v[10:11], v[4:5], v[10:11]
	v_fma_f64 v[56:57], v[4:5], v[8:9], -v[56:57]
	v_fma_f64 v[8:9], v[6:7], v[8:9], v[10:11]
	v_add_f64 v[75:76], v[67:68], v[56:57]
	v_add_f64 v[77:78], v[8:9], v[69:70]
	v_mul_f64 v[8:9], v[6:7], v[46:47]
	v_fma_f64 v[8:9], v[4:5], v[44:45], -v[8:9]
	v_mul_f64 v[4:5], v[4:5], v[46:47]
	v_fma_f64 v[6:7], v[6:7], v[44:45], v[4:5]
	v_add_f64 v[4:5], v[48:49], v[8:9]
	v_add_f64 v[6:7], v[6:7], v[50:51]
	ds_read_b128 v[8:11], v60 offset:496
	ds_read_b128 v[48:51], v62 offset:15872
	;; [unrolled: 1-line block ×4, first 2 shown]
	s_waitcnt lgkmcnt(0)
	s_barrier
	buffer_gl0_inv
	v_mul_f64 v[44:45], v[10:11], v[50:51]
	v_mul_f64 v[46:47], v[8:9], v[50:51]
	v_fma_f64 v[44:45], v[8:9], v[48:49], -v[44:45]
	v_fma_f64 v[46:47], v[10:11], v[48:49], v[46:47]
	v_add_f64 v[52:53], v[52:53], v[44:45]
	v_mul_f64 v[44:45], v[10:11], v[58:59]
	v_add_f64 v[54:55], v[46:47], v[54:55]
	v_fma_f64 v[44:45], v[8:9], v[56:57], -v[44:45]
	v_mul_f64 v[8:9], v[8:9], v[58:59]
	v_add_f64 v[44:45], v[71:72], v[44:45]
	v_fma_f64 v[8:9], v[10:11], v[56:57], v[8:9]
	v_mul_f64 v[10:11], v[67:68], v[50:51]
	v_add_f64 v[46:47], v[8:9], v[73:74]
	v_mul_f64 v[8:9], v[69:70], v[50:51]
	v_fma_f64 v[10:11], v[69:70], v[48:49], v[10:11]
	v_fma_f64 v[8:9], v[67:68], v[48:49], -v[8:9]
	v_add_f64 v[50:51], v[10:11], v[77:78]
	v_mul_f64 v[10:11], v[67:68], v[58:59]
	v_add_f64 v[48:49], v[75:76], v[8:9]
	v_mul_f64 v[8:9], v[69:70], v[58:59]
	v_fma_f64 v[10:11], v[69:70], v[56:57], v[10:11]
	v_fma_f64 v[8:9], v[67:68], v[56:57], -v[8:9]
	v_add_f64 v[56:57], v[10:11], v[6:7]
	v_add_f64 v[58:59], v[4:5], v[8:9]
	s_cbranch_scc1 .LBB130_56
.LBB130_7:                              ;   Parent Loop BB130_4 Depth=1
                                        ; =>  This Inner Loop Header: Depth=2
	v_add_co_u32 v6, s5, v18, s28
	v_add_co_ci_u32_e64 v7, null, s29, v19, s5
	v_cmp_eq_u64_e64 s8, s[28:29], v[26:27]
	v_add_co_u32 v8, s9, v32, v24
	v_cmp_lt_i64_e64 s5, v[6:7], v[22:23]
	v_cmp_le_i64_e64 s6, s[30:31], v[6:7]
	v_add_co_ci_u32_e64 v9, null, v33, v25, s9
	s_and_b32 s46, s40, s8
	s_or_b32 s9, s3, s5
	s_or_b32 s8, s6, s9
	s_nor_b32 s8, s8, s46
	s_and_saveexec_b32 s9, s8
	s_xor_b32 s8, exec_lo, s9
	s_cbranch_execz .LBB130_9
; %bb.8:                                ;   in Loop: Header=BB130_7 Depth=2
	global_load_dwordx4 v[67:70], v[8:9], off
	s_waitcnt vmcnt(0)
	v_xor_b32_e32 v70, 0x80000000, v70
	ds_write_b128 v61, v[67:70]
.LBB130_9:                              ;   in Loop: Header=BB130_7 Depth=2
	s_or_saveexec_b32 s8, s8
	s_xor_b32 s43, s46, -1
	s_xor_b32 exec_lo, exec_lo, s8
	s_cbranch_execz .LBB130_15
; %bb.10:                               ;   in Loop: Header=BB130_7 Depth=2
	s_and_saveexec_b32 s9, s43
	s_xor_b32 s9, exec_lo, s9
	s_cbranch_execz .LBB130_12
; %bb.11:                               ;   in Loop: Header=BB130_7 Depth=2
	v_mov_b32_e32 v67, v2
	v_mov_b32_e32 v68, v2
	;; [unrolled: 1-line block ×4, first 2 shown]
	ds_write_b128 v61, v[67:70]
.LBB130_12:                             ;   in Loop: Header=BB130_7 Depth=2
	s_andn2_saveexec_b32 s9, s9
; %bb.13:                               ;   in Loop: Header=BB130_7 Depth=2
	v_mov_b32_e32 v4, v2
	v_mov_b32_e32 v5, v2
	ds_write_b128 v61, v[2:5]
; %bb.14:                               ;   in Loop: Header=BB130_7 Depth=2
	s_or_b32 exec_lo, exec_lo, s9
.LBB130_15:                             ;   in Loop: Header=BB130_7 Depth=2
	s_or_b32 exec_lo, exec_lo, s8
	v_add_co_u32 v4, s8, v6, 16
	v_add_co_ci_u32_e64 v5, null, 0, v7, s8
	v_cmp_eq_u64_e64 s10, s[28:29], v[40:41]
	v_cmp_lt_i64_e64 s9, v[4:5], v[22:23]
	v_cmp_le_i64_e64 s8, s[30:31], v[4:5]
	s_and_b32 s10, s40, s10
	s_or_b32 s9, s3, s9
	s_or_b32 s9, s8, s9
	s_nor_b32 s9, s9, s10
	s_and_saveexec_b32 s47, s9
	s_xor_b32 s47, exec_lo, s47
	s_cbranch_execz .LBB130_17
; %bb.16:                               ;   in Loop: Header=BB130_7 Depth=2
	v_add_co_u32 v4, s9, v34, v24
	v_add_co_ci_u32_e64 v5, null, v35, v25, s9
	global_load_dwordx4 v[67:70], v[4:5], off
	s_waitcnt vmcnt(0)
	v_xor_b32_e32 v70, 0x80000000, v70
	ds_write_b128 v61, v[67:70] offset:256
.LBB130_17:                             ;   in Loop: Header=BB130_7 Depth=2
	s_andn2_saveexec_b32 s9, s47
	s_cbranch_execz .LBB130_23
; %bb.18:                               ;   in Loop: Header=BB130_7 Depth=2
	s_xor_b32 s10, s10, -1
	s_and_saveexec_b32 s47, s10
	s_xor_b32 s10, exec_lo, s47
	s_cbranch_execz .LBB130_20
; %bb.19:                               ;   in Loop: Header=BB130_7 Depth=2
	v_mov_b32_e32 v67, v2
	v_mov_b32_e32 v68, v2
	;; [unrolled: 1-line block ×4, first 2 shown]
	ds_write_b128 v61, v[67:70] offset:256
.LBB130_20:                             ;   in Loop: Header=BB130_7 Depth=2
	s_andn2_saveexec_b32 s10, s10
; %bb.21:                               ;   in Loop: Header=BB130_7 Depth=2
	v_mov_b32_e32 v4, v2
	v_mov_b32_e32 v5, v2
	ds_write_b128 v61, v[2:5] offset:256
; %bb.22:                               ;   in Loop: Header=BB130_7 Depth=2
	s_or_b32 exec_lo, exec_lo, s10
.LBB130_23:                             ;   in Loop: Header=BB130_7 Depth=2
	s_or_b32 exec_lo, exec_lo, s9
	v_cmp_eq_u64_e64 s9, s[28:29], v[38:39]
	v_cmp_lt_i64_e64 s10, v[6:7], v[36:37]
	s_and_b32 s9, s40, s9
	s_or_b32 s10, s4, s10
	s_or_b32 s10, s10, s9
	s_nor_b32 s6, s6, s10
	s_and_saveexec_b32 s10, s6
	s_xor_b32 s6, exec_lo, s10
	s_cbranch_execz .LBB130_25
; %bb.24:                               ;   in Loop: Header=BB130_7 Depth=2
	global_load_dwordx4 v[4:7], v[8:9], off offset:256
	s_waitcnt vmcnt(0)
	v_xor_b32_e32 v7, 0x80000000, v7
	ds_write_b128 v61, v[4:7] offset:8192
.LBB130_25:                             ;   in Loop: Header=BB130_7 Depth=2
	s_andn2_saveexec_b32 s6, s6
	s_cbranch_execz .LBB130_31
; %bb.26:                               ;   in Loop: Header=BB130_7 Depth=2
	s_xor_b32 s9, s9, -1
	s_and_saveexec_b32 s10, s9
	s_xor_b32 s9, exec_lo, s10
	s_cbranch_execz .LBB130_28
; %bb.27:                               ;   in Loop: Header=BB130_7 Depth=2
	v_mov_b32_e32 v4, v2
	v_mov_b32_e32 v5, v2
	;; [unrolled: 1-line block ×4, first 2 shown]
	ds_write_b128 v61, v[4:7] offset:8192
.LBB130_28:                             ;   in Loop: Header=BB130_7 Depth=2
	s_andn2_saveexec_b32 s9, s9
; %bb.29:                               ;   in Loop: Header=BB130_7 Depth=2
	v_mov_b32_e32 v4, v2
	v_mov_b32_e32 v5, v2
	ds_write_b128 v61, v[2:5] offset:8192
; %bb.30:                               ;   in Loop: Header=BB130_7 Depth=2
	s_or_b32 exec_lo, exec_lo, s9
.LBB130_31:                             ;   in Loop: Header=BB130_7 Depth=2
	s_or_b32 exec_lo, exec_lo, s6
	s_or_b32 s5, s4, s5
	s_or_b32 s5, s8, s5
	s_nor_b32 s5, s5, s46
	s_and_saveexec_b32 s6, s5
	s_xor_b32 s6, exec_lo, s6
	s_cbranch_execz .LBB130_33
; %bb.32:                               ;   in Loop: Header=BB130_7 Depth=2
	v_add_co_u32 v4, s5, v34, v24
	v_add_co_ci_u32_e64 v5, null, v35, v25, s5
	global_load_dwordx4 v[4:7], v[4:5], off offset:256
	s_waitcnt vmcnt(0)
	v_xor_b32_e32 v7, 0x80000000, v7
	ds_write_b128 v61, v[4:7] offset:8448
.LBB130_33:                             ;   in Loop: Header=BB130_7 Depth=2
	s_andn2_saveexec_b32 s5, s6
	s_cbranch_execz .LBB130_39
; %bb.34:                               ;   in Loop: Header=BB130_7 Depth=2
	s_and_saveexec_b32 s6, s43
	s_xor_b32 s6, exec_lo, s6
	s_cbranch_execz .LBB130_36
; %bb.35:                               ;   in Loop: Header=BB130_7 Depth=2
	v_mov_b32_e32 v4, v2
	v_mov_b32_e32 v5, v2
	;; [unrolled: 1-line block ×4, first 2 shown]
	ds_write_b128 v61, v[4:7] offset:8448
.LBB130_36:                             ;   in Loop: Header=BB130_7 Depth=2
	s_andn2_saveexec_b32 s6, s6
; %bb.37:                               ;   in Loop: Header=BB130_7 Depth=2
	v_mov_b32_e32 v4, v2
	v_mov_b32_e32 v5, v2
	ds_write_b128 v61, v[2:5] offset:8448
; %bb.38:                               ;   in Loop: Header=BB130_7 Depth=2
	s_or_b32 exec_lo, exec_lo, s6
.LBB130_39:                             ;   in Loop: Header=BB130_7 Depth=2
	s_or_b32 exec_lo, exec_lo, s5
	v_add_co_u32 v4, s5, v20, s28
	v_add_co_ci_u32_e64 v5, null, s29, v21, s5
	v_add_co_u32 v6, s6, v42, v28
	v_add_co_ci_u32_e64 v7, null, v43, v29, s6
	v_cmp_le_i64_e64 s5, s[30:31], v[4:5]
	s_nor_b32 s6, s5, vcc_lo
	s_and_saveexec_b32 s8, s6
	s_xor_b32 s6, exec_lo, s8
	s_cbranch_execz .LBB130_41
; %bb.40:                               ;   in Loop: Header=BB130_7 Depth=2
	global_load_dwordx4 v[8:11], v[6:7], off offset:-256
	s_waitcnt vmcnt(0)
	ds_write2_b64 v63, v[8:9], v[10:11] offset1:1
.LBB130_41:                             ;   in Loop: Header=BB130_7 Depth=2
	s_andn2_saveexec_b32 s6, s6
	s_cbranch_execz .LBB130_43
; %bb.42:                               ;   in Loop: Header=BB130_7 Depth=2
	v_mov_b32_e32 v8, v2
	v_mov_b32_e32 v9, v2
	;; [unrolled: 1-line block ×4, first 2 shown]
	ds_write_b128 v63, v[8:11]
.LBB130_43:                             ;   in Loop: Header=BB130_7 Depth=2
	s_or_b32 exec_lo, exec_lo, s6
	s_nor_b32 s5, s5, s0
	s_and_saveexec_b32 s6, s5
	s_xor_b32 s5, exec_lo, s6
	s_cbranch_execz .LBB130_45
; %bb.44:                               ;   in Loop: Header=BB130_7 Depth=2
	global_load_dwordx4 v[6:9], v[6:7], off
	s_waitcnt vmcnt(0)
	ds_write2_b64 v64, v[6:7], v[8:9] offset1:1
.LBB130_45:                             ;   in Loop: Header=BB130_7 Depth=2
	s_andn2_saveexec_b32 s5, s5
	s_cbranch_execz .LBB130_47
; %bb.46:                               ;   in Loop: Header=BB130_7 Depth=2
	v_mov_b32_e32 v6, v2
	v_mov_b32_e32 v7, v2
	;; [unrolled: 1-line block ×4, first 2 shown]
	ds_write_b128 v63, v[6:9] offset:256
.LBB130_47:                             ;   in Loop: Header=BB130_7 Depth=2
	s_or_b32 exec_lo, exec_lo, s5
	v_cmp_le_i64_e64 s5, s[34:35], v[4:5]
	v_add_co_u32 v4, s6, v42, v30
	v_add_co_ci_u32_e64 v5, null, v43, v31, s6
	s_nor_b32 s6, s5, vcc_lo
	s_and_saveexec_b32 s8, s6
	s_xor_b32 s6, exec_lo, s8
	s_cbranch_execz .LBB130_49
; %bb.48:                               ;   in Loop: Header=BB130_7 Depth=2
	global_load_dwordx4 v[6:9], v[4:5], off offset:-256
	s_waitcnt vmcnt(0)
	ds_write2_b64 v65, v[6:7], v[8:9] offset1:1
.LBB130_49:                             ;   in Loop: Header=BB130_7 Depth=2
	s_andn2_saveexec_b32 s6, s6
	s_cbranch_execz .LBB130_51
; %bb.50:                               ;   in Loop: Header=BB130_7 Depth=2
	v_mov_b32_e32 v6, v2
	v_mov_b32_e32 v7, v2
	;; [unrolled: 1-line block ×4, first 2 shown]
	ds_write_b128 v63, v[6:9] offset:8192
.LBB130_51:                             ;   in Loop: Header=BB130_7 Depth=2
	s_or_b32 exec_lo, exec_lo, s6
	s_nor_b32 s5, s5, s0
	s_and_saveexec_b32 s6, s5
	s_xor_b32 s5, exec_lo, s6
	s_cbranch_execz .LBB130_53
; %bb.52:                               ;   in Loop: Header=BB130_7 Depth=2
	global_load_dwordx4 v[4:7], v[4:5], off
	s_waitcnt vmcnt(0)
	ds_write2_b64 v66, v[4:5], v[6:7] offset1:1
.LBB130_53:                             ;   in Loop: Header=BB130_7 Depth=2
	s_andn2_saveexec_b32 s5, s5
	s_cbranch_execz .LBB130_6
; %bb.54:                               ;   in Loop: Header=BB130_7 Depth=2
	v_mov_b32_e32 v4, v2
	v_mov_b32_e32 v5, v2
	;; [unrolled: 1-line block ×4, first 2 shown]
	ds_write_b128 v63, v[4:7] offset:8448
	s_branch .LBB130_6
.LBB130_55:                             ;   in Loop: Header=BB130_4 Depth=1
	v_mov_b32_e32 v52, 0
	v_mov_b32_e32 v54, 0
	;; [unrolled: 1-line block ×16, first 2 shown]
.LBB130_56:                             ;   in Loop: Header=BB130_4 Depth=1
	v_mul_lo_u32 v0, s45, v22
	v_mul_lo_u32 v6, s44, v23
	v_mad_u64_u32 v[4:5], null, s44, v22, 0
	v_cmp_gt_i32_e64 s3, s30, v22
	v_add3_u32 v5, v5, v6, v0
	v_lshlrev_b64 v[4:5], 4, v[4:5]
	v_add_co_u32 v0, s4, s38, v4
	v_add_co_ci_u32_e64 v4, null, s39, v5, s4
	s_and_b32 s4, s1, s3
	s_and_saveexec_b32 s5, s4
	s_cbranch_execz .LBB130_58
; %bb.57:                               ;   in Loop: Header=BB130_4 Depth=1
	v_add_co_u32 v9, s4, v0, v12
	v_add_co_ci_u32_e64 v10, null, v4, v13, s4
	v_mul_f64 v[23:24], s[14:15], v[54:55]
	v_mul_f64 v[25:26], s[12:13], v[54:55]
	global_load_dwordx4 v[5:8], v[9:10], off
	v_fma_f64 v[23:24], s[12:13], v[52:53], -v[23:24]
	v_fma_f64 v[25:26], s[14:15], v[52:53], v[25:26]
	s_waitcnt vmcnt(0)
	v_add_f64 v[5:6], v[5:6], v[23:24]
	v_add_f64 v[7:8], v[25:26], v[7:8]
	global_store_dwordx4 v[9:10], v[5:8], off
.LBB130_58:                             ;   in Loop: Header=BB130_4 Depth=1
	s_or_b32 exec_lo, exec_lo, s5
	s_and_b32 s3, s2, s3
	s_and_saveexec_b32 s4, s3
	s_cbranch_execz .LBB130_60
; %bb.59:                               ;   in Loop: Header=BB130_4 Depth=1
	v_lshlrev_b64 v[5:6], 4, v[16:17]
	v_mul_f64 v[10:11], s[14:15], v[46:47]
	v_mul_f64 v[23:24], s[12:13], v[46:47]
	v_add_co_u32 v8, s3, v0, v5
	v_add_co_ci_u32_e64 v9, null, v4, v6, s3
	global_load_dwordx4 v[4:7], v[8:9], off
	v_fma_f64 v[10:11], s[12:13], v[44:45], -v[10:11]
	v_fma_f64 v[23:24], s[14:15], v[44:45], v[23:24]
	s_waitcnt vmcnt(0)
	v_add_f64 v[4:5], v[4:5], v[10:11]
	v_add_f64 v[6:7], v[23:24], v[6:7]
	global_store_dwordx4 v[8:9], v[4:7], off
.LBB130_60:                             ;   in Loop: Header=BB130_4 Depth=1
	s_or_b32 exec_lo, exec_lo, s4
	v_add_nc_u32_e32 v0, 16, v22
	v_ashrrev_i32_e32 v6, 31, v0
	v_mul_lo_u32 v7, s45, v0
	v_mad_u64_u32 v[4:5], null, s44, v0, 0
	v_cmp_gt_i32_e64 s3, s30, v0
	v_mul_lo_u32 v6, s44, v6
	v_add3_u32 v5, v5, v6, v7
	v_lshlrev_b64 v[4:5], 4, v[4:5]
	v_add_co_u32 v0, s4, s38, v4
	v_add_co_ci_u32_e64 v4, null, s39, v5, s4
	s_and_b32 s4, s1, s3
	s_and_saveexec_b32 s5, s4
	s_cbranch_execz .LBB130_62
; %bb.61:                               ;   in Loop: Header=BB130_4 Depth=1
	v_add_co_u32 v9, s4, v0, v12
	v_add_co_ci_u32_e64 v10, null, v4, v13, s4
	v_mul_f64 v[21:22], s[14:15], v[50:51]
	v_mul_f64 v[23:24], s[12:13], v[50:51]
	global_load_dwordx4 v[5:8], v[9:10], off
	v_fma_f64 v[21:22], s[12:13], v[48:49], -v[21:22]
	v_fma_f64 v[23:24], s[14:15], v[48:49], v[23:24]
	s_waitcnt vmcnt(0)
	v_add_f64 v[5:6], v[5:6], v[21:22]
	v_add_f64 v[7:8], v[23:24], v[7:8]
	global_store_dwordx4 v[9:10], v[5:8], off
.LBB130_62:                             ;   in Loop: Header=BB130_4 Depth=1
	s_or_b32 exec_lo, exec_lo, s5
	s_and_b32 s3, s2, s3
	s_and_saveexec_b32 s4, s3
	s_cbranch_execz .LBB130_3
; %bb.63:                               ;   in Loop: Header=BB130_4 Depth=1
	v_lshlrev_b64 v[5:6], 4, v[16:17]
	v_mul_f64 v[10:11], s[14:15], v[56:57]
	v_mul_f64 v[21:22], s[12:13], v[56:57]
	v_add_co_u32 v8, s3, v0, v5
	v_add_co_ci_u32_e64 v9, null, v4, v6, s3
	global_load_dwordx4 v[4:7], v[8:9], off
	v_fma_f64 v[10:11], s[12:13], v[58:59], -v[10:11]
	v_fma_f64 v[21:22], s[14:15], v[58:59], v[21:22]
	s_waitcnt vmcnt(0)
	v_add_f64 v[4:5], v[4:5], v[10:11]
	v_add_f64 v[6:7], v[21:22], v[6:7]
	global_store_dwordx4 v[8:9], v[4:7], off
	s_branch .LBB130_3
.LBB130_64:
	s_endpgm
	.section	.rodata,"a",@progbits
	.p2align	6, 0x0
	.amdhsa_kernel _ZL30rocblas_trmm_outofplace_kernelI19rocblas_complex_numIdELi32ELi2ELb0ELb1ELb1ELb1EPKS1_S2_S1_Ev17rocblas_diagonal_iiT6_lPT7_lllS7_lllPT8_llli
		.amdhsa_group_segment_fixed_size 32768
		.amdhsa_private_segment_fixed_size 0
		.amdhsa_kernarg_size 392
		.amdhsa_user_sgpr_count 6
		.amdhsa_user_sgpr_private_segment_buffer 1
		.amdhsa_user_sgpr_dispatch_ptr 0
		.amdhsa_user_sgpr_queue_ptr 0
		.amdhsa_user_sgpr_kernarg_segment_ptr 1
		.amdhsa_user_sgpr_dispatch_id 0
		.amdhsa_user_sgpr_flat_scratch_init 0
		.amdhsa_user_sgpr_private_segment_size 0
		.amdhsa_wavefront_size32 1
		.amdhsa_uses_dynamic_stack 0
		.amdhsa_system_sgpr_private_segment_wavefront_offset 0
		.amdhsa_system_sgpr_workgroup_id_x 1
		.amdhsa_system_sgpr_workgroup_id_y 1
		.amdhsa_system_sgpr_workgroup_id_z 1
		.amdhsa_system_sgpr_workgroup_info 0
		.amdhsa_system_vgpr_workitem_id 1
		.amdhsa_next_free_vgpr 85
		.amdhsa_next_free_sgpr 48
		.amdhsa_reserve_vcc 1
		.amdhsa_reserve_flat_scratch 0
		.amdhsa_float_round_mode_32 0
		.amdhsa_float_round_mode_16_64 0
		.amdhsa_float_denorm_mode_32 3
		.amdhsa_float_denorm_mode_16_64 3
		.amdhsa_dx10_clamp 1
		.amdhsa_ieee_mode 1
		.amdhsa_fp16_overflow 0
		.amdhsa_workgroup_processor_mode 1
		.amdhsa_memory_ordered 1
		.amdhsa_forward_progress 1
		.amdhsa_shared_vgpr_count 0
		.amdhsa_exception_fp_ieee_invalid_op 0
		.amdhsa_exception_fp_denorm_src 0
		.amdhsa_exception_fp_ieee_div_zero 0
		.amdhsa_exception_fp_ieee_overflow 0
		.amdhsa_exception_fp_ieee_underflow 0
		.amdhsa_exception_fp_ieee_inexact 0
		.amdhsa_exception_int_div_zero 0
	.end_amdhsa_kernel
	.section	.text._ZL30rocblas_trmm_outofplace_kernelI19rocblas_complex_numIdELi32ELi2ELb0ELb1ELb1ELb1EPKS1_S2_S1_Ev17rocblas_diagonal_iiT6_lPT7_lllS7_lllPT8_llli,"axG",@progbits,_ZL30rocblas_trmm_outofplace_kernelI19rocblas_complex_numIdELi32ELi2ELb0ELb1ELb1ELb1EPKS1_S2_S1_Ev17rocblas_diagonal_iiT6_lPT7_lllS7_lllPT8_llli,comdat
.Lfunc_end130:
	.size	_ZL30rocblas_trmm_outofplace_kernelI19rocblas_complex_numIdELi32ELi2ELb0ELb1ELb1ELb1EPKS1_S2_S1_Ev17rocblas_diagonal_iiT6_lPT7_lllS7_lllPT8_llli, .Lfunc_end130-_ZL30rocblas_trmm_outofplace_kernelI19rocblas_complex_numIdELi32ELi2ELb0ELb1ELb1ELb1EPKS1_S2_S1_Ev17rocblas_diagonal_iiT6_lPT7_lllS7_lllPT8_llli
                                        ; -- End function
	.set _ZL30rocblas_trmm_outofplace_kernelI19rocblas_complex_numIdELi32ELi2ELb0ELb1ELb1ELb1EPKS1_S2_S1_Ev17rocblas_diagonal_iiT6_lPT7_lllS7_lllPT8_llli.num_vgpr, 85
	.set _ZL30rocblas_trmm_outofplace_kernelI19rocblas_complex_numIdELi32ELi2ELb0ELb1ELb1ELb1EPKS1_S2_S1_Ev17rocblas_diagonal_iiT6_lPT7_lllS7_lllPT8_llli.num_agpr, 0
	.set _ZL30rocblas_trmm_outofplace_kernelI19rocblas_complex_numIdELi32ELi2ELb0ELb1ELb1ELb1EPKS1_S2_S1_Ev17rocblas_diagonal_iiT6_lPT7_lllS7_lllPT8_llli.numbered_sgpr, 48
	.set _ZL30rocblas_trmm_outofplace_kernelI19rocblas_complex_numIdELi32ELi2ELb0ELb1ELb1ELb1EPKS1_S2_S1_Ev17rocblas_diagonal_iiT6_lPT7_lllS7_lllPT8_llli.num_named_barrier, 0
	.set _ZL30rocblas_trmm_outofplace_kernelI19rocblas_complex_numIdELi32ELi2ELb0ELb1ELb1ELb1EPKS1_S2_S1_Ev17rocblas_diagonal_iiT6_lPT7_lllS7_lllPT8_llli.private_seg_size, 0
	.set _ZL30rocblas_trmm_outofplace_kernelI19rocblas_complex_numIdELi32ELi2ELb0ELb1ELb1ELb1EPKS1_S2_S1_Ev17rocblas_diagonal_iiT6_lPT7_lllS7_lllPT8_llli.uses_vcc, 1
	.set _ZL30rocblas_trmm_outofplace_kernelI19rocblas_complex_numIdELi32ELi2ELb0ELb1ELb1ELb1EPKS1_S2_S1_Ev17rocblas_diagonal_iiT6_lPT7_lllS7_lllPT8_llli.uses_flat_scratch, 0
	.set _ZL30rocblas_trmm_outofplace_kernelI19rocblas_complex_numIdELi32ELi2ELb0ELb1ELb1ELb1EPKS1_S2_S1_Ev17rocblas_diagonal_iiT6_lPT7_lllS7_lllPT8_llli.has_dyn_sized_stack, 0
	.set _ZL30rocblas_trmm_outofplace_kernelI19rocblas_complex_numIdELi32ELi2ELb0ELb1ELb1ELb1EPKS1_S2_S1_Ev17rocblas_diagonal_iiT6_lPT7_lllS7_lllPT8_llli.has_recursion, 0
	.set _ZL30rocblas_trmm_outofplace_kernelI19rocblas_complex_numIdELi32ELi2ELb0ELb1ELb1ELb1EPKS1_S2_S1_Ev17rocblas_diagonal_iiT6_lPT7_lllS7_lllPT8_llli.has_indirect_call, 0
	.section	.AMDGPU.csdata,"",@progbits
; Kernel info:
; codeLenInByte = 10168
; TotalNumSgprs: 50
; NumVgprs: 85
; ScratchSize: 0
; MemoryBound: 0
; FloatMode: 240
; IeeeMode: 1
; LDSByteSize: 32768 bytes/workgroup (compile time only)
; SGPRBlocks: 0
; VGPRBlocks: 10
; NumSGPRsForWavesPerEU: 50
; NumVGPRsForWavesPerEU: 85
; Occupancy: 10
; WaveLimiterHint : 0
; COMPUTE_PGM_RSRC2:SCRATCH_EN: 0
; COMPUTE_PGM_RSRC2:USER_SGPR: 6
; COMPUTE_PGM_RSRC2:TRAP_HANDLER: 0
; COMPUTE_PGM_RSRC2:TGID_X_EN: 1
; COMPUTE_PGM_RSRC2:TGID_Y_EN: 1
; COMPUTE_PGM_RSRC2:TGID_Z_EN: 1
; COMPUTE_PGM_RSRC2:TIDIG_COMP_CNT: 1
	.section	.text._ZL30rocblas_trmm_outofplace_kernelI19rocblas_complex_numIdELi32ELi2ELb0ELb1ELb1ELb1ES1_KS1_S1_Ev17rocblas_diagonal_iiT6_lPT7_lllS6_lllPT8_llli,"axG",@progbits,_ZL30rocblas_trmm_outofplace_kernelI19rocblas_complex_numIdELi32ELi2ELb0ELb1ELb1ELb1ES1_KS1_S1_Ev17rocblas_diagonal_iiT6_lPT7_lllS6_lllPT8_llli,comdat
	.globl	_ZL30rocblas_trmm_outofplace_kernelI19rocblas_complex_numIdELi32ELi2ELb0ELb1ELb1ELb1ES1_KS1_S1_Ev17rocblas_diagonal_iiT6_lPT7_lllS6_lllPT8_llli ; -- Begin function _ZL30rocblas_trmm_outofplace_kernelI19rocblas_complex_numIdELi32ELi2ELb0ELb1ELb1ELb1ES1_KS1_S1_Ev17rocblas_diagonal_iiT6_lPT7_lllS6_lllPT8_llli
	.p2align	8
	.type	_ZL30rocblas_trmm_outofplace_kernelI19rocblas_complex_numIdELi32ELi2ELb0ELb1ELb1ELb1ES1_KS1_S1_Ev17rocblas_diagonal_iiT6_lPT7_lllS6_lllPT8_llli,@function
_ZL30rocblas_trmm_outofplace_kernelI19rocblas_complex_numIdELi32ELi2ELb0ELb1ELb1ELb1ES1_KS1_S1_Ev17rocblas_diagonal_iiT6_lPT7_lllS6_lllPT8_llli: ; @_ZL30rocblas_trmm_outofplace_kernelI19rocblas_complex_numIdELi32ELi2ELb0ELb1ELb1ELb1ES1_KS1_S1_Ev17rocblas_diagonal_iiT6_lPT7_lllS6_lllPT8_llli
; %bb.0:
	s_load_dwordx4 s[28:31], s[4:5], 0x10
	s_waitcnt lgkmcnt(0)
	v_cmp_eq_f64_e64 s0, s[28:29], 0
	v_cmp_eq_f64_e64 s1, s[30:31], 0
	s_and_b32 s0, s0, s1
	s_and_b32 vcc_lo, exec_lo, s0
	s_cbranch_vccnz .LBB131_64
; %bb.1:
	s_load_dwordx4 s[44:47], s[4:5], 0x0
	s_waitcnt lgkmcnt(0)
	s_add_i32 s0, s46, -1
	s_ashr_i32 s1, s0, 31
	s_lshr_b32 s1, s1, 27
	s_add_i32 s0, s0, s1
	s_ashr_i32 s11, s0, 5
	s_cmp_gt_i32 s7, s11
	s_cbranch_scc1 .LBB131_64
; %bb.2:
	s_clause 0x1
	s_load_dwordx16 s[12:27], s[4:5], 0x28
	s_load_dwordx8 s[36:43], s[4:5], 0x68
	v_lshl_add_u32 v2, s6, 5, v0
	s_load_dword s33, s[4:5], 0x94
	v_lshlrev_b32_e32 v4, 4, v0
	v_lshlrev_b32_e32 v60, 9, v1
	v_ashrrev_i32_e32 v3, 31, v2
	v_add_nc_u32_e32 v16, 16, v2
	v_or_b32_e32 v62, 0x4000, v4
	v_add_nc_u32_e32 v61, v60, v4
	v_lshlrev_b64 v[12:13], 4, v[2:3]
	v_ashrrev_i32_e32 v17, 31, v16
	v_add_nc_u32_e32 v63, v62, v60
	v_add_nc_u32_e32 v64, 0x100, v63
	s_waitcnt lgkmcnt(0)
	s_mul_i32 s1, s27, s8
	s_mul_hi_u32 s2, s26, s8
	s_mul_i32 s0, s26, s8
	s_add_i32 s1, s2, s1
	s_mul_i32 s3, s43, s8
	s_lshl_b64 s[0:1], s[0:1], 4
	s_mul_hi_u32 s4, s42, s8
	s_add_u32 s5, s20, s0
	s_addc_u32 s6, s21, s1
	s_lshl_b64 s[0:1], s[22:23], 4
	s_mul_i32 s2, s42, s8
	s_add_u32 s5, s5, s0
	s_addc_u32 s6, s6, s1
	s_add_i32 s3, s4, s3
	v_add_co_u32 v14, vcc_lo, s5, v12
	s_lshl_b64 s[0:1], s[2:3], 4
	v_add_co_ci_u32_e64 v15, null, s6, v13, vcc_lo
	s_add_u32 s2, s36, s0
	s_addc_u32 s3, s37, s1
	s_lshl_b64 s[0:1], s[38:39], 4
	v_sub_co_u32 v4, vcc_lo, s45, v2
	s_add_u32 s36, s2, s0
	s_addc_u32 s37, s3, s1
	s_cmpk_eq_i32 s44, 0x84
	s_mul_i32 s4, s19, s8
	s_cselect_b32 s38, -1, 0
	s_ashr_i32 s0, s45, 31
	s_ashr_i32 s47, s46, 31
	v_sub_co_ci_u32_e64 v5, null, s0, v3, vcc_lo
	s_lshl_b64 s[20:21], s[16:17], 9
	s_lshl_b64 s[22:23], s[24:25], 9
	s_mul_hi_u32 s5, s18, s8
	s_add_u32 s26, s46, -16
	s_addc_u32 s27, s47, -1
	s_add_i32 s5, s5, s4
	s_mul_i32 s4, s18, s8
	s_lshl_b32 s3, s7, 5
	s_lshl_b64 s[4:5], s[4:5], 4
	s_lshl_b64 s[8:9], s[14:15], 4
	v_cmp_gt_i64_e64 s0, 17, v[4:5]
	s_lshl_b32 s39, s33, 5
	s_lshl_b64 s[14:15], s[24:25], 4
	v_add_nc_u32_e32 v65, 0x2000, v63
	v_add_nc_u32_e32 v66, 0x2100, v63
	v_cmp_gt_i32_e64 s1, s45, v2
	v_cmp_gt_i32_e64 s2, s45, v16
	v_add_nc_u32_e32 v18, s3, v0
	v_add_nc_u32_e32 v20, s3, v1
	s_add_u32 s3, s4, s8
	v_mov_b32_e32 v2, 0
	v_mov_b32_e32 v3, 0x3ff00000
	s_addc_u32 s4, s5, s9
	s_add_u32 s12, s12, s3
	s_addc_u32 s13, s13, s4
	s_lshl_b64 s[18:19], s[16:17], 4
	v_cmp_gt_i64_e32 vcc_lo, 1, v[4:5]
	s_branch .LBB131_4
.LBB131_3:                              ;   in Loop: Header=BB131_4 Depth=1
	s_or_b32 exec_lo, exec_lo, s4
	v_add_nc_u32_e32 v18, s39, v18
	v_add_nc_u32_e32 v20, s39, v20
	s_add_i32 s7, s33, s7
	s_cmp_le_i32 s7, s11
	s_cbranch_scc0 .LBB131_64
.LBB131_4:                              ; =>This Loop Header: Depth=1
                                        ;     Child Loop BB131_7 Depth 2
	s_lshl_b32 s3, s7, 5
	v_ashrrev_i32_e32 v19, 31, v18
	v_add_nc_u32_e32 v22, s3, v1
	v_ashrrev_i32_e32 v21, 31, v20
	s_sub_i32 s42, s46, s3
	s_cmp_lt_i32 s42, 1
	v_ashrrev_i32_e32 v23, 31, v22
	s_cbranch_scc1 .LBB131_55
; %bb.5:                                ;   in Loop: Header=BB131_4 Depth=1
	v_lshlrev_b64 v[24:25], 4, v[20:21]
	v_sub_co_u32 v26, s3, v20, v18
	v_lshlrev_b64 v[4:5], 4, v[18:19]
	v_sub_co_ci_u32_e64 v27, null, v21, v19, s3
	v_add_co_u32 v0, s3, 0x100, v24
	v_add_co_ci_u32_e64 v6, null, 0, v25, s3
	v_mad_u64_u32 v[28:29], null, s14, v20, 0x100
	v_mul_lo_u32 v9, s25, v0
	v_mad_u64_u32 v[30:31], null, s24, v0, 0x100
	v_add_co_u32 v0, s3, 0x100, v4
	v_add_co_ci_u32_e64 v4, null, 0, v5, s3
	v_mul_lo_u32 v7, s14, v21
	v_mul_lo_u32 v8, s15, v20
	;; [unrolled: 1-line block ×3, first 2 shown]
	v_mad_u64_u32 v[32:33], null, s18, v18, s[12:13]
	v_mul_lo_u32 v5, s18, v19
	v_mul_lo_u32 v10, s19, v18
	;; [unrolled: 1-line block ×4, first 2 shown]
	v_mad_u64_u32 v[34:35], null, s16, v0, s[12:13]
	v_add_co_u32 v36, s3, v22, 16
	v_add_co_ci_u32_e64 v37, null, 0, v23, s3
	v_add_co_u32 v38, s5, v26, 16
	v_add_co_ci_u32_e64 v39, null, 0, v27, s5
	v_add_co_u32 v40, s5, v26, -16
	v_cmp_le_i64_e64 s4, s[46:47], v[36:37]
	v_mov_b32_e32 v56, 0
	v_mov_b32_e32 v58, 0
	;; [unrolled: 1-line block ×9, first 2 shown]
	v_add3_u32 v29, v8, v29, v7
	v_add3_u32 v31, v9, v31, v6
	;; [unrolled: 1-line block ×4, first 2 shown]
	v_cmp_le_i32_e64 s3, s46, v22
	v_add_co_ci_u32_e64 v41, null, -1, v27, s5
	v_mov_b32_e32 v57, 0
	v_mov_b32_e32 v59, 0
	;; [unrolled: 1-line block ×9, first 2 shown]
	s_mov_b64 s[34:35], 0
	s_branch .LBB131_7
.LBB131_6:                              ;   in Loop: Header=BB131_7 Depth=2
	s_or_b32 exec_lo, exec_lo, s5
	s_waitcnt lgkmcnt(0)
	s_barrier
	buffer_gl0_inv
	ds_read_b128 v[67:70], v60
	ds_read_b128 v[71:74], v60 offset:16
	ds_read_b128 v[8:11], v60 offset:32
	;; [unrolled: 1-line block ×3, first 2 shown]
	ds_read_b128 v[75:78], v62
	v_add_co_u32 v42, s5, v42, s22
	v_add_co_ci_u32_e64 v43, null, s23, v43, s5
	v_add_co_u32 v32, s5, v32, s20
	v_add_co_ci_u32_e64 v33, null, s21, v33, s5
	v_add_co_u32 v34, s5, v34, s20
	v_add_co_ci_u32_e64 v35, null, s21, v35, s5
	s_add_u32 s34, s34, 32
	s_addc_u32 s35, s35, 0
	s_cmp_ge_i32 s34, s42
	s_waitcnt lgkmcnt(0)
	v_mul_f64 v[79:80], v[69:70], v[77:78]
	v_mul_f64 v[81:82], v[67:68], v[77:78]
	v_fma_f64 v[79:80], v[67:68], v[75:76], -v[79:80]
	v_fma_f64 v[81:82], v[69:70], v[75:76], v[81:82]
	v_add_f64 v[79:80], v[52:53], v[79:80]
	v_add_f64 v[81:82], v[81:82], v[54:55]
	ds_read_b128 v[52:55], v62 offset:256
	s_waitcnt lgkmcnt(0)
	v_mul_f64 v[83:84], v[69:70], v[54:55]
	v_fma_f64 v[83:84], v[67:68], v[52:53], -v[83:84]
	v_mul_f64 v[67:68], v[67:68], v[54:55]
	v_fma_f64 v[67:68], v[69:70], v[52:53], v[67:68]
	v_add_f64 v[69:70], v[44:45], v[83:84]
	v_add_f64 v[67:68], v[67:68], v[46:47]
	ds_read_b128 v[44:47], v60 offset:8192
	s_waitcnt lgkmcnt(0)
	v_mul_f64 v[83:84], v[46:47], v[77:78]
	v_mul_f64 v[77:78], v[44:45], v[77:78]
	v_fma_f64 v[83:84], v[44:45], v[75:76], -v[83:84]
	v_fma_f64 v[75:76], v[46:47], v[75:76], v[77:78]
	v_add_f64 v[77:78], v[48:49], v[83:84]
	v_mul_f64 v[48:49], v[46:47], v[54:55]
	v_add_f64 v[75:76], v[75:76], v[50:51]
	v_fma_f64 v[48:49], v[44:45], v[52:53], -v[48:49]
	v_mul_f64 v[44:45], v[44:45], v[54:55]
	v_add_f64 v[58:59], v[58:59], v[48:49]
	v_fma_f64 v[44:45], v[46:47], v[52:53], v[44:45]
	v_add_f64 v[56:57], v[44:45], v[56:57]
	ds_read_b128 v[44:47], v62 offset:512
	s_waitcnt lgkmcnt(0)
	v_mul_f64 v[48:49], v[73:74], v[46:47]
	v_mul_f64 v[50:51], v[71:72], v[46:47]
	v_fma_f64 v[48:49], v[71:72], v[44:45], -v[48:49]
	v_fma_f64 v[50:51], v[73:74], v[44:45], v[50:51]
	v_add_f64 v[79:80], v[79:80], v[48:49]
	v_add_f64 v[81:82], v[50:51], v[81:82]
	ds_read_b128 v[48:51], v62 offset:768
	s_waitcnt lgkmcnt(0)
	v_mul_f64 v[52:53], v[73:74], v[50:51]
	v_mul_f64 v[54:55], v[71:72], v[50:51]
	v_fma_f64 v[52:53], v[71:72], v[48:49], -v[52:53]
	v_fma_f64 v[54:55], v[73:74], v[48:49], v[54:55]
	v_add_f64 v[69:70], v[69:70], v[52:53]
	v_add_f64 v[67:68], v[54:55], v[67:68]
	ds_read_b128 v[52:55], v60 offset:8208
	s_waitcnt lgkmcnt(0)
	v_mul_f64 v[71:72], v[54:55], v[46:47]
	v_mul_f64 v[46:47], v[52:53], v[46:47]
	v_fma_f64 v[71:72], v[52:53], v[44:45], -v[71:72]
	v_fma_f64 v[44:45], v[54:55], v[44:45], v[46:47]
	v_mul_f64 v[46:47], v[52:53], v[50:51]
	v_add_f64 v[71:72], v[77:78], v[71:72]
	v_add_f64 v[73:74], v[44:45], v[75:76]
	v_mul_f64 v[44:45], v[54:55], v[50:51]
	v_fma_f64 v[46:47], v[54:55], v[48:49], v[46:47]
	v_fma_f64 v[44:45], v[52:53], v[48:49], -v[44:45]
	v_add_f64 v[54:55], v[46:47], v[56:57]
	v_add_f64 v[52:53], v[58:59], v[44:45]
	ds_read_b128 v[44:47], v62 offset:1024
	s_waitcnt lgkmcnt(0)
	v_mul_f64 v[48:49], v[10:11], v[46:47]
	v_mul_f64 v[50:51], v[8:9], v[46:47]
	v_fma_f64 v[48:49], v[8:9], v[44:45], -v[48:49]
	v_fma_f64 v[50:51], v[10:11], v[44:45], v[50:51]
	v_add_f64 v[56:57], v[79:80], v[48:49]
	v_add_f64 v[58:59], v[50:51], v[81:82]
	ds_read_b128 v[48:51], v62 offset:1280
	s_waitcnt lgkmcnt(0)
	v_mul_f64 v[75:76], v[10:11], v[50:51]
	v_fma_f64 v[75:76], v[8:9], v[48:49], -v[75:76]
	v_mul_f64 v[8:9], v[8:9], v[50:51]
	v_add_f64 v[69:70], v[69:70], v[75:76]
	v_fma_f64 v[8:9], v[10:11], v[48:49], v[8:9]
	v_add_f64 v[67:68], v[8:9], v[67:68]
	ds_read_b128 v[8:11], v60 offset:8224
	s_waitcnt lgkmcnt(0)
	v_mul_f64 v[75:76], v[10:11], v[46:47]
	v_mul_f64 v[46:47], v[8:9], v[46:47]
	v_fma_f64 v[75:76], v[8:9], v[44:45], -v[75:76]
	v_fma_f64 v[44:45], v[10:11], v[44:45], v[46:47]
	v_add_f64 v[71:72], v[71:72], v[75:76]
	v_add_f64 v[73:74], v[44:45], v[73:74]
	v_mul_f64 v[44:45], v[10:11], v[50:51]
	v_fma_f64 v[44:45], v[8:9], v[48:49], -v[44:45]
	v_mul_f64 v[8:9], v[8:9], v[50:51]
	v_fma_f64 v[8:9], v[10:11], v[48:49], v[8:9]
	v_add_f64 v[48:49], v[52:53], v[44:45]
	v_add_f64 v[50:51], v[8:9], v[54:55]
	ds_read_b128 v[8:11], v62 offset:1536
	s_waitcnt lgkmcnt(0)
	v_mul_f64 v[44:45], v[6:7], v[10:11]
	v_mul_f64 v[46:47], v[4:5], v[10:11]
	v_fma_f64 v[44:45], v[4:5], v[8:9], -v[44:45]
	v_fma_f64 v[46:47], v[6:7], v[8:9], v[46:47]
	v_add_f64 v[52:53], v[56:57], v[44:45]
	v_add_f64 v[54:55], v[46:47], v[58:59]
	ds_read_b128 v[44:47], v62 offset:1792
	s_waitcnt lgkmcnt(0)
	v_mul_f64 v[56:57], v[6:7], v[46:47]
	v_fma_f64 v[56:57], v[4:5], v[44:45], -v[56:57]
	v_mul_f64 v[4:5], v[4:5], v[46:47]
	v_add_f64 v[56:57], v[69:70], v[56:57]
	v_fma_f64 v[4:5], v[6:7], v[44:45], v[4:5]
	v_add_f64 v[58:59], v[4:5], v[67:68]
	ds_read_b128 v[4:7], v60 offset:8240
	s_waitcnt lgkmcnt(0)
	v_mul_f64 v[67:68], v[6:7], v[10:11]
	v_mul_f64 v[10:11], v[4:5], v[10:11]
	v_fma_f64 v[67:68], v[4:5], v[8:9], -v[67:68]
	v_fma_f64 v[8:9], v[6:7], v[8:9], v[10:11]
	v_add_f64 v[67:68], v[71:72], v[67:68]
	v_add_f64 v[69:70], v[8:9], v[73:74]
	v_mul_f64 v[8:9], v[6:7], v[46:47]
	v_fma_f64 v[8:9], v[4:5], v[44:45], -v[8:9]
	v_mul_f64 v[4:5], v[4:5], v[46:47]
	v_add_f64 v[48:49], v[48:49], v[8:9]
	v_fma_f64 v[4:5], v[6:7], v[44:45], v[4:5]
	v_add_f64 v[50:51], v[4:5], v[50:51]
	ds_read_b128 v[4:7], v60 offset:64
	ds_read_b128 v[8:11], v62 offset:2048
	s_waitcnt lgkmcnt(0)
	v_mul_f64 v[44:45], v[6:7], v[10:11]
	v_mul_f64 v[46:47], v[4:5], v[10:11]
	v_fma_f64 v[44:45], v[4:5], v[8:9], -v[44:45]
	v_fma_f64 v[46:47], v[6:7], v[8:9], v[46:47]
	v_add_f64 v[52:53], v[52:53], v[44:45]
	v_add_f64 v[54:55], v[46:47], v[54:55]
	ds_read_b128 v[44:47], v62 offset:2304
	s_waitcnt lgkmcnt(0)
	v_mul_f64 v[71:72], v[6:7], v[46:47]
	v_fma_f64 v[71:72], v[4:5], v[44:45], -v[71:72]
	v_mul_f64 v[4:5], v[4:5], v[46:47]
	v_add_f64 v[56:57], v[56:57], v[71:72]
	v_fma_f64 v[4:5], v[6:7], v[44:45], v[4:5]
	v_add_f64 v[58:59], v[4:5], v[58:59]
	ds_read_b128 v[4:7], v60 offset:8256
	s_waitcnt lgkmcnt(0)
	v_mul_f64 v[71:72], v[6:7], v[10:11]
	v_mul_f64 v[10:11], v[4:5], v[10:11]
	v_fma_f64 v[71:72], v[4:5], v[8:9], -v[71:72]
	v_fma_f64 v[8:9], v[6:7], v[8:9], v[10:11]
	v_add_f64 v[67:68], v[67:68], v[71:72]
	v_add_f64 v[69:70], v[8:9], v[69:70]
	v_mul_f64 v[8:9], v[6:7], v[46:47]
	v_fma_f64 v[8:9], v[4:5], v[44:45], -v[8:9]
	v_mul_f64 v[4:5], v[4:5], v[46:47]
	v_add_f64 v[48:49], v[48:49], v[8:9]
	v_fma_f64 v[4:5], v[6:7], v[44:45], v[4:5]
	v_add_f64 v[50:51], v[4:5], v[50:51]
	ds_read_b128 v[4:7], v60 offset:80
	;; [unrolled: 31-line block ×27, first 2 shown]
	ds_read_b128 v[8:11], v62 offset:15360
	s_waitcnt lgkmcnt(0)
	v_mul_f64 v[44:45], v[6:7], v[10:11]
	v_mul_f64 v[46:47], v[4:5], v[10:11]
	v_fma_f64 v[44:45], v[4:5], v[8:9], -v[44:45]
	v_fma_f64 v[46:47], v[6:7], v[8:9], v[46:47]
	v_add_f64 v[52:53], v[52:53], v[44:45]
	v_add_f64 v[54:55], v[46:47], v[54:55]
	ds_read_b128 v[44:47], v62 offset:15616
	s_waitcnt lgkmcnt(0)
	v_mul_f64 v[71:72], v[6:7], v[46:47]
	v_fma_f64 v[71:72], v[4:5], v[44:45], -v[71:72]
	v_mul_f64 v[4:5], v[4:5], v[46:47]
	v_add_f64 v[71:72], v[56:57], v[71:72]
	v_fma_f64 v[4:5], v[6:7], v[44:45], v[4:5]
	v_add_f64 v[73:74], v[4:5], v[58:59]
	ds_read_b128 v[4:7], v60 offset:8672
	s_waitcnt lgkmcnt(0)
	v_mul_f64 v[56:57], v[6:7], v[10:11]
	v_mul_f64 v[10:11], v[4:5], v[10:11]
	v_fma_f64 v[56:57], v[4:5], v[8:9], -v[56:57]
	v_fma_f64 v[8:9], v[6:7], v[8:9], v[10:11]
	v_add_f64 v[75:76], v[67:68], v[56:57]
	v_add_f64 v[77:78], v[8:9], v[69:70]
	v_mul_f64 v[8:9], v[6:7], v[46:47]
	v_fma_f64 v[8:9], v[4:5], v[44:45], -v[8:9]
	v_mul_f64 v[4:5], v[4:5], v[46:47]
	v_fma_f64 v[6:7], v[6:7], v[44:45], v[4:5]
	v_add_f64 v[4:5], v[48:49], v[8:9]
	v_add_f64 v[6:7], v[6:7], v[50:51]
	ds_read_b128 v[8:11], v60 offset:496
	ds_read_b128 v[48:51], v62 offset:15872
	;; [unrolled: 1-line block ×4, first 2 shown]
	s_waitcnt lgkmcnt(0)
	s_barrier
	buffer_gl0_inv
	v_mul_f64 v[44:45], v[10:11], v[50:51]
	v_mul_f64 v[46:47], v[8:9], v[50:51]
	v_fma_f64 v[44:45], v[8:9], v[48:49], -v[44:45]
	v_fma_f64 v[46:47], v[10:11], v[48:49], v[46:47]
	v_add_f64 v[52:53], v[52:53], v[44:45]
	v_mul_f64 v[44:45], v[10:11], v[58:59]
	v_add_f64 v[54:55], v[46:47], v[54:55]
	v_fma_f64 v[44:45], v[8:9], v[56:57], -v[44:45]
	v_mul_f64 v[8:9], v[8:9], v[58:59]
	v_add_f64 v[44:45], v[71:72], v[44:45]
	v_fma_f64 v[8:9], v[10:11], v[56:57], v[8:9]
	v_mul_f64 v[10:11], v[67:68], v[50:51]
	v_add_f64 v[46:47], v[8:9], v[73:74]
	v_mul_f64 v[8:9], v[69:70], v[50:51]
	v_fma_f64 v[10:11], v[69:70], v[48:49], v[10:11]
	v_fma_f64 v[8:9], v[67:68], v[48:49], -v[8:9]
	v_add_f64 v[50:51], v[10:11], v[77:78]
	v_mul_f64 v[10:11], v[67:68], v[58:59]
	v_add_f64 v[48:49], v[75:76], v[8:9]
	v_mul_f64 v[8:9], v[69:70], v[58:59]
	v_fma_f64 v[10:11], v[69:70], v[56:57], v[10:11]
	v_fma_f64 v[8:9], v[67:68], v[56:57], -v[8:9]
	v_add_f64 v[56:57], v[10:11], v[6:7]
	v_add_f64 v[58:59], v[4:5], v[8:9]
	s_cbranch_scc1 .LBB131_56
.LBB131_7:                              ;   Parent Loop BB131_4 Depth=1
                                        ; =>  This Inner Loop Header: Depth=2
	v_add_co_u32 v6, s5, v18, s34
	v_add_co_ci_u32_e64 v7, null, s35, v19, s5
	v_cmp_eq_u64_e64 s8, s[34:35], v[26:27]
	v_add_co_u32 v8, s9, v32, v24
	v_cmp_lt_i64_e64 s5, v[6:7], v[22:23]
	v_cmp_le_i64_e64 s6, s[46:47], v[6:7]
	v_add_co_ci_u32_e64 v9, null, v33, v25, s9
	s_and_b32 s44, s38, s8
	s_or_b32 s9, s3, s5
	s_or_b32 s8, s6, s9
	s_nor_b32 s8, s8, s44
	s_and_saveexec_b32 s9, s8
	s_xor_b32 s8, exec_lo, s9
	s_cbranch_execz .LBB131_9
; %bb.8:                                ;   in Loop: Header=BB131_7 Depth=2
	global_load_dwordx4 v[67:70], v[8:9], off
	s_waitcnt vmcnt(0)
	v_xor_b32_e32 v70, 0x80000000, v70
	ds_write_b128 v61, v[67:70]
.LBB131_9:                              ;   in Loop: Header=BB131_7 Depth=2
	s_or_saveexec_b32 s8, s8
	s_xor_b32 s43, s44, -1
	s_xor_b32 exec_lo, exec_lo, s8
	s_cbranch_execz .LBB131_15
; %bb.10:                               ;   in Loop: Header=BB131_7 Depth=2
	s_and_saveexec_b32 s9, s43
	s_xor_b32 s9, exec_lo, s9
	s_cbranch_execz .LBB131_12
; %bb.11:                               ;   in Loop: Header=BB131_7 Depth=2
	v_mov_b32_e32 v67, v2
	v_mov_b32_e32 v68, v2
	;; [unrolled: 1-line block ×4, first 2 shown]
	ds_write_b128 v61, v[67:70]
.LBB131_12:                             ;   in Loop: Header=BB131_7 Depth=2
	s_andn2_saveexec_b32 s9, s9
; %bb.13:                               ;   in Loop: Header=BB131_7 Depth=2
	v_mov_b32_e32 v4, v2
	v_mov_b32_e32 v5, v2
	ds_write_b128 v61, v[2:5]
; %bb.14:                               ;   in Loop: Header=BB131_7 Depth=2
	s_or_b32 exec_lo, exec_lo, s9
.LBB131_15:                             ;   in Loop: Header=BB131_7 Depth=2
	s_or_b32 exec_lo, exec_lo, s8
	v_add_co_u32 v4, s8, v6, 16
	v_add_co_ci_u32_e64 v5, null, 0, v7, s8
	v_cmp_eq_u64_e64 s10, s[34:35], v[40:41]
	v_cmp_lt_i64_e64 s9, v[4:5], v[22:23]
	v_cmp_le_i64_e64 s8, s[46:47], v[4:5]
	s_and_b32 s10, s38, s10
	s_or_b32 s9, s3, s9
	s_or_b32 s9, s8, s9
	s_nor_b32 s9, s9, s10
	s_and_saveexec_b32 s45, s9
	s_xor_b32 s45, exec_lo, s45
	s_cbranch_execz .LBB131_17
; %bb.16:                               ;   in Loop: Header=BB131_7 Depth=2
	v_add_co_u32 v4, s9, v34, v24
	v_add_co_ci_u32_e64 v5, null, v35, v25, s9
	global_load_dwordx4 v[67:70], v[4:5], off
	s_waitcnt vmcnt(0)
	v_xor_b32_e32 v70, 0x80000000, v70
	ds_write_b128 v61, v[67:70] offset:256
.LBB131_17:                             ;   in Loop: Header=BB131_7 Depth=2
	s_andn2_saveexec_b32 s9, s45
	s_cbranch_execz .LBB131_23
; %bb.18:                               ;   in Loop: Header=BB131_7 Depth=2
	s_xor_b32 s10, s10, -1
	s_and_saveexec_b32 s45, s10
	s_xor_b32 s10, exec_lo, s45
	s_cbranch_execz .LBB131_20
; %bb.19:                               ;   in Loop: Header=BB131_7 Depth=2
	v_mov_b32_e32 v67, v2
	v_mov_b32_e32 v68, v2
	;; [unrolled: 1-line block ×4, first 2 shown]
	ds_write_b128 v61, v[67:70] offset:256
.LBB131_20:                             ;   in Loop: Header=BB131_7 Depth=2
	s_andn2_saveexec_b32 s10, s10
; %bb.21:                               ;   in Loop: Header=BB131_7 Depth=2
	v_mov_b32_e32 v4, v2
	v_mov_b32_e32 v5, v2
	ds_write_b128 v61, v[2:5] offset:256
; %bb.22:                               ;   in Loop: Header=BB131_7 Depth=2
	s_or_b32 exec_lo, exec_lo, s10
.LBB131_23:                             ;   in Loop: Header=BB131_7 Depth=2
	s_or_b32 exec_lo, exec_lo, s9
	v_cmp_eq_u64_e64 s9, s[34:35], v[38:39]
	v_cmp_lt_i64_e64 s10, v[6:7], v[36:37]
	s_and_b32 s9, s38, s9
	s_or_b32 s10, s4, s10
	s_or_b32 s10, s10, s9
	s_nor_b32 s6, s6, s10
	s_and_saveexec_b32 s10, s6
	s_xor_b32 s6, exec_lo, s10
	s_cbranch_execz .LBB131_25
; %bb.24:                               ;   in Loop: Header=BB131_7 Depth=2
	global_load_dwordx4 v[4:7], v[8:9], off offset:256
	s_waitcnt vmcnt(0)
	v_xor_b32_e32 v7, 0x80000000, v7
	ds_write_b128 v61, v[4:7] offset:8192
.LBB131_25:                             ;   in Loop: Header=BB131_7 Depth=2
	s_andn2_saveexec_b32 s6, s6
	s_cbranch_execz .LBB131_31
; %bb.26:                               ;   in Loop: Header=BB131_7 Depth=2
	s_xor_b32 s9, s9, -1
	s_and_saveexec_b32 s10, s9
	s_xor_b32 s9, exec_lo, s10
	s_cbranch_execz .LBB131_28
; %bb.27:                               ;   in Loop: Header=BB131_7 Depth=2
	v_mov_b32_e32 v4, v2
	v_mov_b32_e32 v5, v2
	;; [unrolled: 1-line block ×4, first 2 shown]
	ds_write_b128 v61, v[4:7] offset:8192
.LBB131_28:                             ;   in Loop: Header=BB131_7 Depth=2
	s_andn2_saveexec_b32 s9, s9
; %bb.29:                               ;   in Loop: Header=BB131_7 Depth=2
	v_mov_b32_e32 v4, v2
	v_mov_b32_e32 v5, v2
	ds_write_b128 v61, v[2:5] offset:8192
; %bb.30:                               ;   in Loop: Header=BB131_7 Depth=2
	s_or_b32 exec_lo, exec_lo, s9
.LBB131_31:                             ;   in Loop: Header=BB131_7 Depth=2
	s_or_b32 exec_lo, exec_lo, s6
	s_or_b32 s5, s4, s5
	s_or_b32 s5, s8, s5
	s_nor_b32 s5, s5, s44
	s_and_saveexec_b32 s6, s5
	s_xor_b32 s6, exec_lo, s6
	s_cbranch_execz .LBB131_33
; %bb.32:                               ;   in Loop: Header=BB131_7 Depth=2
	v_add_co_u32 v4, s5, v34, v24
	v_add_co_ci_u32_e64 v5, null, v35, v25, s5
	global_load_dwordx4 v[4:7], v[4:5], off offset:256
	s_waitcnt vmcnt(0)
	v_xor_b32_e32 v7, 0x80000000, v7
	ds_write_b128 v61, v[4:7] offset:8448
.LBB131_33:                             ;   in Loop: Header=BB131_7 Depth=2
	s_andn2_saveexec_b32 s5, s6
	s_cbranch_execz .LBB131_39
; %bb.34:                               ;   in Loop: Header=BB131_7 Depth=2
	s_and_saveexec_b32 s6, s43
	s_xor_b32 s6, exec_lo, s6
	s_cbranch_execz .LBB131_36
; %bb.35:                               ;   in Loop: Header=BB131_7 Depth=2
	v_mov_b32_e32 v4, v2
	v_mov_b32_e32 v5, v2
	;; [unrolled: 1-line block ×4, first 2 shown]
	ds_write_b128 v61, v[4:7] offset:8448
.LBB131_36:                             ;   in Loop: Header=BB131_7 Depth=2
	s_andn2_saveexec_b32 s6, s6
; %bb.37:                               ;   in Loop: Header=BB131_7 Depth=2
	v_mov_b32_e32 v4, v2
	v_mov_b32_e32 v5, v2
	ds_write_b128 v61, v[2:5] offset:8448
; %bb.38:                               ;   in Loop: Header=BB131_7 Depth=2
	s_or_b32 exec_lo, exec_lo, s6
.LBB131_39:                             ;   in Loop: Header=BB131_7 Depth=2
	s_or_b32 exec_lo, exec_lo, s5
	v_add_co_u32 v4, s5, v20, s34
	v_add_co_ci_u32_e64 v5, null, s35, v21, s5
	v_add_co_u32 v6, s6, v42, v28
	v_add_co_ci_u32_e64 v7, null, v43, v29, s6
	v_cmp_le_i64_e64 s5, s[46:47], v[4:5]
	s_nor_b32 s6, s5, vcc_lo
	s_and_saveexec_b32 s8, s6
	s_xor_b32 s6, exec_lo, s8
	s_cbranch_execz .LBB131_41
; %bb.40:                               ;   in Loop: Header=BB131_7 Depth=2
	global_load_dwordx4 v[8:11], v[6:7], off offset:-256
	s_waitcnt vmcnt(0)
	ds_write2_b64 v63, v[8:9], v[10:11] offset1:1
.LBB131_41:                             ;   in Loop: Header=BB131_7 Depth=2
	s_andn2_saveexec_b32 s6, s6
	s_cbranch_execz .LBB131_43
; %bb.42:                               ;   in Loop: Header=BB131_7 Depth=2
	v_mov_b32_e32 v8, v2
	v_mov_b32_e32 v9, v2
	;; [unrolled: 1-line block ×4, first 2 shown]
	ds_write_b128 v63, v[8:11]
.LBB131_43:                             ;   in Loop: Header=BB131_7 Depth=2
	s_or_b32 exec_lo, exec_lo, s6
	s_nor_b32 s5, s5, s0
	s_and_saveexec_b32 s6, s5
	s_xor_b32 s5, exec_lo, s6
	s_cbranch_execz .LBB131_45
; %bb.44:                               ;   in Loop: Header=BB131_7 Depth=2
	global_load_dwordx4 v[6:9], v[6:7], off
	s_waitcnt vmcnt(0)
	ds_write2_b64 v64, v[6:7], v[8:9] offset1:1
.LBB131_45:                             ;   in Loop: Header=BB131_7 Depth=2
	s_andn2_saveexec_b32 s5, s5
	s_cbranch_execz .LBB131_47
; %bb.46:                               ;   in Loop: Header=BB131_7 Depth=2
	v_mov_b32_e32 v6, v2
	v_mov_b32_e32 v7, v2
	;; [unrolled: 1-line block ×4, first 2 shown]
	ds_write_b128 v63, v[6:9] offset:256
.LBB131_47:                             ;   in Loop: Header=BB131_7 Depth=2
	s_or_b32 exec_lo, exec_lo, s5
	v_cmp_le_i64_e64 s5, s[26:27], v[4:5]
	v_add_co_u32 v4, s6, v42, v30
	v_add_co_ci_u32_e64 v5, null, v43, v31, s6
	s_nor_b32 s6, s5, vcc_lo
	s_and_saveexec_b32 s8, s6
	s_xor_b32 s6, exec_lo, s8
	s_cbranch_execz .LBB131_49
; %bb.48:                               ;   in Loop: Header=BB131_7 Depth=2
	global_load_dwordx4 v[6:9], v[4:5], off offset:-256
	s_waitcnt vmcnt(0)
	ds_write2_b64 v65, v[6:7], v[8:9] offset1:1
.LBB131_49:                             ;   in Loop: Header=BB131_7 Depth=2
	s_andn2_saveexec_b32 s6, s6
	s_cbranch_execz .LBB131_51
; %bb.50:                               ;   in Loop: Header=BB131_7 Depth=2
	v_mov_b32_e32 v6, v2
	v_mov_b32_e32 v7, v2
	;; [unrolled: 1-line block ×4, first 2 shown]
	ds_write_b128 v63, v[6:9] offset:8192
.LBB131_51:                             ;   in Loop: Header=BB131_7 Depth=2
	s_or_b32 exec_lo, exec_lo, s6
	s_nor_b32 s5, s5, s0
	s_and_saveexec_b32 s6, s5
	s_xor_b32 s5, exec_lo, s6
	s_cbranch_execz .LBB131_53
; %bb.52:                               ;   in Loop: Header=BB131_7 Depth=2
	global_load_dwordx4 v[4:7], v[4:5], off
	s_waitcnt vmcnt(0)
	ds_write2_b64 v66, v[4:5], v[6:7] offset1:1
.LBB131_53:                             ;   in Loop: Header=BB131_7 Depth=2
	s_andn2_saveexec_b32 s5, s5
	s_cbranch_execz .LBB131_6
; %bb.54:                               ;   in Loop: Header=BB131_7 Depth=2
	v_mov_b32_e32 v4, v2
	v_mov_b32_e32 v5, v2
	;; [unrolled: 1-line block ×4, first 2 shown]
	ds_write_b128 v63, v[4:7] offset:8448
	s_branch .LBB131_6
.LBB131_55:                             ;   in Loop: Header=BB131_4 Depth=1
	v_mov_b32_e32 v52, 0
	v_mov_b32_e32 v54, 0
	;; [unrolled: 1-line block ×16, first 2 shown]
.LBB131_56:                             ;   in Loop: Header=BB131_4 Depth=1
	v_mul_lo_u32 v0, s41, v22
	v_mul_lo_u32 v6, s40, v23
	v_mad_u64_u32 v[4:5], null, s40, v22, 0
	v_cmp_gt_i32_e64 s3, s46, v22
	v_add3_u32 v5, v5, v6, v0
	v_lshlrev_b64 v[4:5], 4, v[4:5]
	v_add_co_u32 v0, s4, s36, v4
	v_add_co_ci_u32_e64 v4, null, s37, v5, s4
	s_and_b32 s4, s1, s3
	s_and_saveexec_b32 s5, s4
	s_cbranch_execz .LBB131_58
; %bb.57:                               ;   in Loop: Header=BB131_4 Depth=1
	v_add_co_u32 v9, s4, v0, v12
	v_add_co_ci_u32_e64 v10, null, v4, v13, s4
	v_mul_f64 v[23:24], s[30:31], v[54:55]
	v_mul_f64 v[25:26], s[28:29], v[54:55]
	global_load_dwordx4 v[5:8], v[9:10], off
	v_fma_f64 v[23:24], s[28:29], v[52:53], -v[23:24]
	v_fma_f64 v[25:26], s[30:31], v[52:53], v[25:26]
	s_waitcnt vmcnt(0)
	v_add_f64 v[5:6], v[5:6], v[23:24]
	v_add_f64 v[7:8], v[25:26], v[7:8]
	global_store_dwordx4 v[9:10], v[5:8], off
.LBB131_58:                             ;   in Loop: Header=BB131_4 Depth=1
	s_or_b32 exec_lo, exec_lo, s5
	s_and_b32 s3, s2, s3
	s_and_saveexec_b32 s4, s3
	s_cbranch_execz .LBB131_60
; %bb.59:                               ;   in Loop: Header=BB131_4 Depth=1
	v_lshlrev_b64 v[5:6], 4, v[16:17]
	v_mul_f64 v[10:11], s[30:31], v[46:47]
	v_mul_f64 v[23:24], s[28:29], v[46:47]
	v_add_co_u32 v8, s3, v0, v5
	v_add_co_ci_u32_e64 v9, null, v4, v6, s3
	global_load_dwordx4 v[4:7], v[8:9], off
	v_fma_f64 v[10:11], s[28:29], v[44:45], -v[10:11]
	v_fma_f64 v[23:24], s[30:31], v[44:45], v[23:24]
	s_waitcnt vmcnt(0)
	v_add_f64 v[4:5], v[4:5], v[10:11]
	v_add_f64 v[6:7], v[23:24], v[6:7]
	global_store_dwordx4 v[8:9], v[4:7], off
.LBB131_60:                             ;   in Loop: Header=BB131_4 Depth=1
	s_or_b32 exec_lo, exec_lo, s4
	v_add_nc_u32_e32 v0, 16, v22
	v_ashrrev_i32_e32 v6, 31, v0
	v_mul_lo_u32 v7, s41, v0
	v_mad_u64_u32 v[4:5], null, s40, v0, 0
	v_cmp_gt_i32_e64 s3, s46, v0
	v_mul_lo_u32 v6, s40, v6
	v_add3_u32 v5, v5, v6, v7
	v_lshlrev_b64 v[4:5], 4, v[4:5]
	v_add_co_u32 v0, s4, s36, v4
	v_add_co_ci_u32_e64 v4, null, s37, v5, s4
	s_and_b32 s4, s1, s3
	s_and_saveexec_b32 s5, s4
	s_cbranch_execz .LBB131_62
; %bb.61:                               ;   in Loop: Header=BB131_4 Depth=1
	v_add_co_u32 v9, s4, v0, v12
	v_add_co_ci_u32_e64 v10, null, v4, v13, s4
	v_mul_f64 v[21:22], s[30:31], v[50:51]
	v_mul_f64 v[23:24], s[28:29], v[50:51]
	global_load_dwordx4 v[5:8], v[9:10], off
	v_fma_f64 v[21:22], s[28:29], v[48:49], -v[21:22]
	v_fma_f64 v[23:24], s[30:31], v[48:49], v[23:24]
	s_waitcnt vmcnt(0)
	v_add_f64 v[5:6], v[5:6], v[21:22]
	v_add_f64 v[7:8], v[23:24], v[7:8]
	global_store_dwordx4 v[9:10], v[5:8], off
.LBB131_62:                             ;   in Loop: Header=BB131_4 Depth=1
	s_or_b32 exec_lo, exec_lo, s5
	s_and_b32 s3, s2, s3
	s_and_saveexec_b32 s4, s3
	s_cbranch_execz .LBB131_3
; %bb.63:                               ;   in Loop: Header=BB131_4 Depth=1
	v_lshlrev_b64 v[5:6], 4, v[16:17]
	v_mul_f64 v[10:11], s[30:31], v[56:57]
	v_mul_f64 v[21:22], s[28:29], v[56:57]
	v_add_co_u32 v8, s3, v0, v5
	v_add_co_ci_u32_e64 v9, null, v4, v6, s3
	global_load_dwordx4 v[4:7], v[8:9], off
	v_fma_f64 v[10:11], s[28:29], v[58:59], -v[10:11]
	v_fma_f64 v[21:22], s[30:31], v[58:59], v[21:22]
	s_waitcnt vmcnt(0)
	v_add_f64 v[4:5], v[4:5], v[10:11]
	v_add_f64 v[6:7], v[21:22], v[6:7]
	global_store_dwordx4 v[8:9], v[4:7], off
	s_branch .LBB131_3
.LBB131_64:
	s_endpgm
	.section	.rodata,"a",@progbits
	.p2align	6, 0x0
	.amdhsa_kernel _ZL30rocblas_trmm_outofplace_kernelI19rocblas_complex_numIdELi32ELi2ELb0ELb1ELb1ELb1ES1_KS1_S1_Ev17rocblas_diagonal_iiT6_lPT7_lllS6_lllPT8_llli
		.amdhsa_group_segment_fixed_size 32768
		.amdhsa_private_segment_fixed_size 0
		.amdhsa_kernarg_size 400
		.amdhsa_user_sgpr_count 6
		.amdhsa_user_sgpr_private_segment_buffer 1
		.amdhsa_user_sgpr_dispatch_ptr 0
		.amdhsa_user_sgpr_queue_ptr 0
		.amdhsa_user_sgpr_kernarg_segment_ptr 1
		.amdhsa_user_sgpr_dispatch_id 0
		.amdhsa_user_sgpr_flat_scratch_init 0
		.amdhsa_user_sgpr_private_segment_size 0
		.amdhsa_wavefront_size32 1
		.amdhsa_uses_dynamic_stack 0
		.amdhsa_system_sgpr_private_segment_wavefront_offset 0
		.amdhsa_system_sgpr_workgroup_id_x 1
		.amdhsa_system_sgpr_workgroup_id_y 1
		.amdhsa_system_sgpr_workgroup_id_z 1
		.amdhsa_system_sgpr_workgroup_info 0
		.amdhsa_system_vgpr_workitem_id 1
		.amdhsa_next_free_vgpr 85
		.amdhsa_next_free_sgpr 48
		.amdhsa_reserve_vcc 1
		.amdhsa_reserve_flat_scratch 0
		.amdhsa_float_round_mode_32 0
		.amdhsa_float_round_mode_16_64 0
		.amdhsa_float_denorm_mode_32 3
		.amdhsa_float_denorm_mode_16_64 3
		.amdhsa_dx10_clamp 1
		.amdhsa_ieee_mode 1
		.amdhsa_fp16_overflow 0
		.amdhsa_workgroup_processor_mode 1
		.amdhsa_memory_ordered 1
		.amdhsa_forward_progress 1
		.amdhsa_shared_vgpr_count 0
		.amdhsa_exception_fp_ieee_invalid_op 0
		.amdhsa_exception_fp_denorm_src 0
		.amdhsa_exception_fp_ieee_div_zero 0
		.amdhsa_exception_fp_ieee_overflow 0
		.amdhsa_exception_fp_ieee_underflow 0
		.amdhsa_exception_fp_ieee_inexact 0
		.amdhsa_exception_int_div_zero 0
	.end_amdhsa_kernel
	.section	.text._ZL30rocblas_trmm_outofplace_kernelI19rocblas_complex_numIdELi32ELi2ELb0ELb1ELb1ELb1ES1_KS1_S1_Ev17rocblas_diagonal_iiT6_lPT7_lllS6_lllPT8_llli,"axG",@progbits,_ZL30rocblas_trmm_outofplace_kernelI19rocblas_complex_numIdELi32ELi2ELb0ELb1ELb1ELb1ES1_KS1_S1_Ev17rocblas_diagonal_iiT6_lPT7_lllS6_lllPT8_llli,comdat
.Lfunc_end131:
	.size	_ZL30rocblas_trmm_outofplace_kernelI19rocblas_complex_numIdELi32ELi2ELb0ELb1ELb1ELb1ES1_KS1_S1_Ev17rocblas_diagonal_iiT6_lPT7_lllS6_lllPT8_llli, .Lfunc_end131-_ZL30rocblas_trmm_outofplace_kernelI19rocblas_complex_numIdELi32ELi2ELb0ELb1ELb1ELb1ES1_KS1_S1_Ev17rocblas_diagonal_iiT6_lPT7_lllS6_lllPT8_llli
                                        ; -- End function
	.set _ZL30rocblas_trmm_outofplace_kernelI19rocblas_complex_numIdELi32ELi2ELb0ELb1ELb1ELb1ES1_KS1_S1_Ev17rocblas_diagonal_iiT6_lPT7_lllS6_lllPT8_llli.num_vgpr, 85
	.set _ZL30rocblas_trmm_outofplace_kernelI19rocblas_complex_numIdELi32ELi2ELb0ELb1ELb1ELb1ES1_KS1_S1_Ev17rocblas_diagonal_iiT6_lPT7_lllS6_lllPT8_llli.num_agpr, 0
	.set _ZL30rocblas_trmm_outofplace_kernelI19rocblas_complex_numIdELi32ELi2ELb0ELb1ELb1ELb1ES1_KS1_S1_Ev17rocblas_diagonal_iiT6_lPT7_lllS6_lllPT8_llli.numbered_sgpr, 48
	.set _ZL30rocblas_trmm_outofplace_kernelI19rocblas_complex_numIdELi32ELi2ELb0ELb1ELb1ELb1ES1_KS1_S1_Ev17rocblas_diagonal_iiT6_lPT7_lllS6_lllPT8_llli.num_named_barrier, 0
	.set _ZL30rocblas_trmm_outofplace_kernelI19rocblas_complex_numIdELi32ELi2ELb0ELb1ELb1ELb1ES1_KS1_S1_Ev17rocblas_diagonal_iiT6_lPT7_lllS6_lllPT8_llli.private_seg_size, 0
	.set _ZL30rocblas_trmm_outofplace_kernelI19rocblas_complex_numIdELi32ELi2ELb0ELb1ELb1ELb1ES1_KS1_S1_Ev17rocblas_diagonal_iiT6_lPT7_lllS6_lllPT8_llli.uses_vcc, 1
	.set _ZL30rocblas_trmm_outofplace_kernelI19rocblas_complex_numIdELi32ELi2ELb0ELb1ELb1ELb1ES1_KS1_S1_Ev17rocblas_diagonal_iiT6_lPT7_lllS6_lllPT8_llli.uses_flat_scratch, 0
	.set _ZL30rocblas_trmm_outofplace_kernelI19rocblas_complex_numIdELi32ELi2ELb0ELb1ELb1ELb1ES1_KS1_S1_Ev17rocblas_diagonal_iiT6_lPT7_lllS6_lllPT8_llli.has_dyn_sized_stack, 0
	.set _ZL30rocblas_trmm_outofplace_kernelI19rocblas_complex_numIdELi32ELi2ELb0ELb1ELb1ELb1ES1_KS1_S1_Ev17rocblas_diagonal_iiT6_lPT7_lllS6_lllPT8_llli.has_recursion, 0
	.set _ZL30rocblas_trmm_outofplace_kernelI19rocblas_complex_numIdELi32ELi2ELb0ELb1ELb1ELb1ES1_KS1_S1_Ev17rocblas_diagonal_iiT6_lPT7_lllS6_lllPT8_llli.has_indirect_call, 0
	.section	.AMDGPU.csdata,"",@progbits
; Kernel info:
; codeLenInByte = 10128
; TotalNumSgprs: 50
; NumVgprs: 85
; ScratchSize: 0
; MemoryBound: 0
; FloatMode: 240
; IeeeMode: 1
; LDSByteSize: 32768 bytes/workgroup (compile time only)
; SGPRBlocks: 0
; VGPRBlocks: 10
; NumSGPRsForWavesPerEU: 50
; NumVGPRsForWavesPerEU: 85
; Occupancy: 10
; WaveLimiterHint : 0
; COMPUTE_PGM_RSRC2:SCRATCH_EN: 0
; COMPUTE_PGM_RSRC2:USER_SGPR: 6
; COMPUTE_PGM_RSRC2:TRAP_HANDLER: 0
; COMPUTE_PGM_RSRC2:TGID_X_EN: 1
; COMPUTE_PGM_RSRC2:TGID_Y_EN: 1
; COMPUTE_PGM_RSRC2:TGID_Z_EN: 1
; COMPUTE_PGM_RSRC2:TIDIG_COMP_CNT: 1
	.section	.text._ZL23rocblas_trmm_lNx_kernelILi16E19rocblas_complex_numIdEPKS1_S2_S1_Ev13rocblas_fill_17rocblas_diagonal_iiT1_lPT2_llS8_llPT3_lli,"axG",@progbits,_ZL23rocblas_trmm_lNx_kernelILi16E19rocblas_complex_numIdEPKS1_S2_S1_Ev13rocblas_fill_17rocblas_diagonal_iiT1_lPT2_llS8_llPT3_lli,comdat
	.globl	_ZL23rocblas_trmm_lNx_kernelILi16E19rocblas_complex_numIdEPKS1_S2_S1_Ev13rocblas_fill_17rocblas_diagonal_iiT1_lPT2_llS8_llPT3_lli ; -- Begin function _ZL23rocblas_trmm_lNx_kernelILi16E19rocblas_complex_numIdEPKS1_S2_S1_Ev13rocblas_fill_17rocblas_diagonal_iiT1_lPT2_llS8_llPT3_lli
	.p2align	8
	.type	_ZL23rocblas_trmm_lNx_kernelILi16E19rocblas_complex_numIdEPKS1_S2_S1_Ev13rocblas_fill_17rocblas_diagonal_iiT1_lPT2_llS8_llPT3_lli,@function
_ZL23rocblas_trmm_lNx_kernelILi16E19rocblas_complex_numIdEPKS1_S2_S1_Ev13rocblas_fill_17rocblas_diagonal_iiT1_lPT2_llS8_llPT3_lli: ; @_ZL23rocblas_trmm_lNx_kernelILi16E19rocblas_complex_numIdEPKS1_S2_S1_Ev13rocblas_fill_17rocblas_diagonal_iiT1_lPT2_llS8_llPT3_lli
; %bb.0:
	s_load_dwordx16 s[8:23], s[4:5], 0x10
	s_waitcnt lgkmcnt(0)
	s_mul_i32 s1, s11, s7
	s_mul_hi_u32 s2, s10, s7
	s_mul_i32 s0, s10, s7
	s_add_i32 s1, s2, s1
	s_lshl_b64 s[0:1], s[0:1], 4
	s_add_u32 s0, s8, s0
	s_addc_u32 s1, s9, s1
	s_load_dwordx4 s[8:11], s[0:1], 0x0
	s_waitcnt lgkmcnt(0)
	v_cmp_neq_f64_e64 s0, s[8:9], 0
	v_cmp_neq_f64_e64 s1, s[10:11], 0
	s_or_b32 s0, s0, s1
	s_andn2_b32 vcc_lo, exec_lo, s0
	s_cbranch_vccnz .LBB132_15
; %bb.1:
	s_load_dwordx4 s[24:27], s[4:5], 0x0
	s_mov_b32 s0, 0
	v_lshlrev_b32_e32 v3, 4, v1
	s_mov_b32 s3, s0
	s_mov_b32 s1, s0
	;; [unrolled: 1-line block ×3, first 2 shown]
	v_mov_b32_e32 v8, s3
	v_mov_b32_e32 v7, s2
	;; [unrolled: 1-line block ×4, first 2 shown]
	v_add_lshl_u32 v4, v3, v0, 4
	v_lshlrev_b32_e32 v2, 4, v0
	ds_write_b128 v4, v[5:8]
	ds_write_b128 v4, v[5:8] offset:4096
	s_waitcnt lgkmcnt(0)
	v_cmp_gt_i32_e64 s0, s26, v1
	v_cmp_gt_i32_e32 vcc_lo, s26, v0
	s_and_b32 s0, s0, vcc_lo
	s_and_saveexec_b32 s1, s0
	s_cbranch_execz .LBB132_3
; %bb.2:
	v_mad_u64_u32 v[5:6], null, s14, v1, 0
	s_mul_i32 s0, s17, s7
	s_mul_hi_u32 s3, s16, s7
	s_mul_i32 s2, s16, s7
	s_add_i32 s3, s3, s0
	s_lshl_b64 s[2:3], s[2:3], 4
	v_mad_u64_u32 v[6:7], null, s15, v1, v[6:7]
	s_add_u32 s0, s12, s2
	s_addc_u32 s2, s13, s3
	v_lshlrev_b64 v[5:6], 4, v[5:6]
	v_add_co_u32 v5, s0, s0, v5
	v_add_co_ci_u32_e64 v6, null, s2, v6, s0
	v_add_co_u32 v5, s0, v5, v2
	v_add_co_ci_u32_e64 v6, null, 0, v6, s0
	global_load_dwordx4 v[5:8], v[5:6], off
	s_waitcnt vmcnt(0)
	ds_write2_b64 v4, v[5:6], v[7:8] offset1:1
.LBB132_3:
	s_or_b32 exec_lo, exec_lo, s1
	s_add_i32 s0, s27, -1
	s_ashr_i32 s1, s0, 31
	s_lshr_b32 s1, s1, 28
	s_add_i32 s0, s0, s1
	s_and_b32 s1, s0, -16
	s_ashr_i32 s0, s0, 4
	s_sub_i32 s1, s27, s1
	s_cmp_ge_i32 s6, s0
	s_cselect_b32 s0, s1, 16
	s_lshl_b32 s1, s6, 4
	v_cmp_gt_i32_e64 s0, s0, v1
	s_ashr_i32 s2, s1, 31
	s_and_b32 s0, vcc_lo, s0
	s_and_saveexec_b32 s3, s0
	s_cbranch_execz .LBB132_5
; %bb.4:
	v_mad_u64_u32 v[5:6], null, s20, v1, 0
	s_mul_i32 s6, s23, s7
	s_mul_hi_u32 s13, s22, s7
	s_mul_i32 s12, s22, s7
	s_add_i32 s13, s13, s6
	s_mul_i32 s14, s20, s2
	s_lshl_b64 s[12:13], s[12:13], 4
	v_mad_u64_u32 v[6:7], null, s21, v1, v[6:7]
	s_mul_hi_u32 s6, s20, s1
	s_add_u32 s16, s18, s12
	s_mul_i32 s15, s21, s1
	s_addc_u32 s17, s19, s13
	s_add_i32 s6, s6, s14
	s_mul_i32 s12, s20, s1
	s_add_i32 s13, s6, s15
	v_lshlrev_b64 v[5:6], 4, v[5:6]
	s_lshl_b64 s[12:13], s[12:13], 4
	v_add_nc_u32_e32 v9, 0x1000, v4
	s_add_u32 s6, s16, s12
	s_addc_u32 s12, s17, s13
	v_add_co_u32 v5, vcc_lo, s6, v5
	v_add_co_ci_u32_e64 v6, null, s12, v6, vcc_lo
	v_add_co_u32 v5, vcc_lo, v5, v2
	v_add_co_ci_u32_e64 v6, null, 0, v6, vcc_lo
	global_load_dwordx4 v[5:8], v[5:6], off
	s_waitcnt vmcnt(0)
	ds_write2_b64 v9, v[5:6], v[7:8] offset1:1
.LBB132_5:
	s_or_b32 exec_lo, exec_lo, s3
	v_cmp_eq_u32_e32 vcc_lo, v1, v0
	s_cmpk_eq_i32 s25, 0x84
	s_cselect_b32 s3, -1, 0
	s_and_b32 s6, vcc_lo, s3
	s_and_saveexec_b32 s3, s6
	s_cbranch_execz .LBB132_7
; %bb.6:
	v_mov_b32_e32 v5, 0
	v_mov_b32_e32 v6, 0x3ff00000
	;; [unrolled: 1-line block ×4, first 2 shown]
	ds_write_b128 v4, v[5:8]
.LBB132_7:
	s_or_b32 exec_lo, exec_lo, s3
	s_cmpk_lg_i32 s24, 0x79
	s_cbranch_scc0 .LBB132_9
; %bb.8:
	v_cmp_lt_u32_e32 vcc_lo, v0, v1
	s_and_b32 s3, vcc_lo, exec_lo
	s_cbranch_execz .LBB132_10
	s_branch .LBB132_11
.LBB132_9:
	s_mov_b32 s3, 0
.LBB132_10:
	v_cmp_gt_u32_e32 vcc_lo, v0, v1
	s_andn2_b32 s3, s3, exec_lo
	s_and_b32 s6, vcc_lo, exec_lo
	s_or_b32 s3, s3, s6
.LBB132_11:
	s_and_saveexec_b32 s6, s3
	s_cbranch_execz .LBB132_13
; %bb.12:
	v_mov_b32_e32 v5, 0
	v_mov_b32_e32 v6, v5
	;; [unrolled: 1-line block ×4, first 2 shown]
	ds_write_b128 v4, v[5:8]
.LBB132_13:
	s_or_b32 exec_lo, exec_lo, s6
	s_waitcnt lgkmcnt(0)
	s_barrier
	buffer_gl0_inv
	s_and_saveexec_b32 s3, s0
	s_cbranch_execz .LBB132_15
; %bb.14:
	v_lshlrev_b32_e32 v0, 4, v3
	ds_read_b128 v[3:6], v0 offset:4096
	ds_read_b128 v[7:10], v2
	ds_read_b128 v[11:14], v2 offset:256
	ds_read_b128 v[15:18], v0 offset:4112
	;; [unrolled: 1-line block ×4, first 2 shown]
	s_waitcnt lgkmcnt(4)
	v_mul_f64 v[27:28], v[3:4], v[9:10]
	v_mul_f64 v[9:10], v[5:6], v[9:10]
	s_waitcnt lgkmcnt(2)
	v_mul_f64 v[35:36], v[15:16], v[13:14]
	s_waitcnt lgkmcnt(0)
	v_mul_f64 v[37:38], v[23:24], v[21:22]
	v_mul_f64 v[13:14], v[17:18], v[13:14]
	v_mul_f64 v[21:22], v[25:26], v[21:22]
	v_fma_f64 v[5:6], v[5:6], v[7:8], v[27:28]
	ds_read_b128 v[27:30], v2 offset:768
	ds_read_b128 v[31:34], v0 offset:4144
	v_fma_f64 v[17:18], v[17:18], v[11:12], v[35:36]
	v_fma_f64 v[35:36], v[3:4], v[7:8], -v[9:10]
	v_fma_f64 v[25:26], v[25:26], v[19:20], v[37:38]
	v_fma_f64 v[37:38], v[15:16], v[11:12], -v[13:14]
	s_waitcnt lgkmcnt(0)
	v_mul_f64 v[41:42], v[31:32], v[29:30]
	v_add_f64 v[39:40], v[5:6], 0
	ds_read_b128 v[3:6], v2 offset:1024
	ds_read_b128 v[7:10], v0 offset:4160
	v_mul_f64 v[29:30], v[33:34], v[29:30]
	v_add_f64 v[35:36], v[35:36], 0
	s_waitcnt lgkmcnt(0)
	v_mul_f64 v[43:44], v[7:8], v[5:6]
	v_add_f64 v[39:40], v[39:40], v[17:18]
	v_fma_f64 v[33:34], v[33:34], v[27:28], v[41:42]
	v_fma_f64 v[41:42], v[23:24], v[19:20], -v[21:22]
	v_add_f64 v[35:36], v[35:36], v[37:38]
	ds_read_b128 v[11:14], v2 offset:1280
	ds_read_b128 v[15:18], v0 offset:4176
	v_mul_f64 v[5:6], v[9:10], v[5:6]
	v_fma_f64 v[9:10], v[9:10], v[3:4], v[43:44]
	v_add_f64 v[37:38], v[39:40], v[25:26]
	v_fma_f64 v[43:44], v[31:32], v[27:28], -v[29:30]
	s_waitcnt lgkmcnt(0)
	v_mul_f64 v[39:40], v[15:16], v[13:14]
	v_add_f64 v[35:36], v[35:36], v[41:42]
	ds_read_b128 v[19:22], v2 offset:1536
	ds_read_b128 v[23:26], v0 offset:4192
	v_mul_f64 v[13:14], v[17:18], v[13:14]
	v_add_f64 v[37:38], v[37:38], v[33:34]
	ds_read_b128 v[27:30], v2 offset:1792
	ds_read_b128 v[31:34], v0 offset:4208
	s_waitcnt lgkmcnt(2)
	v_mul_f64 v[41:42], v[23:24], v[21:22]
	v_fma_f64 v[17:18], v[17:18], v[11:12], v[39:40]
	v_fma_f64 v[39:40], v[7:8], v[3:4], -v[5:6]
	v_add_f64 v[35:36], v[35:36], v[43:44]
	v_mul_f64 v[21:22], v[25:26], v[21:22]
	s_waitcnt lgkmcnt(0)
	v_mul_f64 v[43:44], v[31:32], v[29:30]
	v_add_f64 v[37:38], v[37:38], v[9:10]
	ds_read_b128 v[3:6], v2 offset:2048
	ds_read_b128 v[7:10], v0 offset:4224
	v_fma_f64 v[25:26], v[25:26], v[19:20], v[41:42]
	v_fma_f64 v[41:42], v[15:16], v[11:12], -v[13:14]
	v_mul_f64 v[29:30], v[33:34], v[29:30]
	v_add_f64 v[35:36], v[35:36], v[39:40]
	s_waitcnt lgkmcnt(0)
	v_mul_f64 v[39:40], v[7:8], v[5:6]
	v_add_f64 v[37:38], v[37:38], v[17:18]
	v_fma_f64 v[33:34], v[33:34], v[27:28], v[43:44]
	v_fma_f64 v[43:44], v[23:24], v[19:20], -v[21:22]
	ds_read_b128 v[11:14], v2 offset:2304
	ds_read_b128 v[15:18], v0 offset:4240
	v_mul_f64 v[5:6], v[9:10], v[5:6]
	v_add_f64 v[35:36], v[35:36], v[41:42]
	v_fma_f64 v[9:10], v[9:10], v[3:4], v[39:40]
	v_add_f64 v[37:38], v[37:38], v[25:26]
	s_waitcnt lgkmcnt(0)
	v_mul_f64 v[41:42], v[15:16], v[13:14]
	v_fma_f64 v[39:40], v[31:32], v[27:28], -v[29:30]
	ds_read_b128 v[19:22], v2 offset:2560
	ds_read_b128 v[23:26], v0 offset:4256
	v_mul_f64 v[13:14], v[17:18], v[13:14]
	v_add_f64 v[35:36], v[35:36], v[43:44]
	v_add_f64 v[37:38], v[37:38], v[33:34]
	s_waitcnt lgkmcnt(0)
	v_mul_f64 v[43:44], v[23:24], v[21:22]
	v_fma_f64 v[17:18], v[17:18], v[11:12], v[41:42]
	v_fma_f64 v[41:42], v[7:8], v[3:4], -v[5:6]
	ds_read_b128 v[27:30], v2 offset:2816
	ds_read_b128 v[31:34], v0 offset:4272
	v_add_f64 v[35:36], v[35:36], v[39:40]
	v_mul_f64 v[21:22], v[25:26], v[21:22]
	v_add_f64 v[37:38], v[37:38], v[9:10]
	v_fma_f64 v[25:26], v[25:26], v[19:20], v[43:44]
	s_waitcnt lgkmcnt(0)
	v_mul_f64 v[39:40], v[31:32], v[29:30]
	v_fma_f64 v[43:44], v[15:16], v[11:12], -v[13:14]
	ds_read_b128 v[3:6], v2 offset:3072
	ds_read_b128 v[7:10], v0 offset:4288
	v_add_f64 v[35:36], v[35:36], v[41:42]
	v_mul_f64 v[29:30], v[33:34], v[29:30]
	v_add_f64 v[37:38], v[37:38], v[17:18]
	ds_read_b128 v[11:14], v2 offset:3328
	ds_read_b128 v[15:18], v0 offset:4304
	s_waitcnt lgkmcnt(2)
	v_mul_f64 v[41:42], v[7:8], v[5:6]
	v_fma_f64 v[33:34], v[33:34], v[27:28], v[39:40]
	v_fma_f64 v[39:40], v[23:24], v[19:20], -v[21:22]
	v_add_f64 v[35:36], v[35:36], v[43:44]
	v_mul_f64 v[5:6], v[9:10], v[5:6]
	s_waitcnt lgkmcnt(0)
	v_mul_f64 v[43:44], v[15:16], v[13:14]
	v_add_f64 v[37:38], v[37:38], v[25:26]
	ds_read_b128 v[19:22], v2 offset:3584
	ds_read_b128 v[23:26], v0 offset:4320
	v_fma_f64 v[9:10], v[9:10], v[3:4], v[41:42]
	v_fma_f64 v[41:42], v[31:32], v[27:28], -v[29:30]
	v_mul_f64 v[13:14], v[17:18], v[13:14]
	v_add_f64 v[35:36], v[35:36], v[39:40]
	v_fma_f64 v[3:4], v[7:8], v[3:4], -v[5:6]
	s_waitcnt lgkmcnt(0)
	v_mul_f64 v[39:40], v[23:24], v[21:22]
	v_add_f64 v[37:38], v[37:38], v[33:34]
	v_fma_f64 v[17:18], v[17:18], v[11:12], v[43:44]
	ds_read_b128 v[27:30], v2 offset:3840
	ds_read_b128 v[31:34], v0 offset:4336
	v_mul_f64 v[21:22], v[25:26], v[21:22]
	v_fma_f64 v[11:12], v[15:16], v[11:12], -v[13:14]
	v_add_f64 v[5:6], v[35:36], v[41:42]
	s_clause 0x1
	s_load_dwordx4 s[12:15], s[4:5], 0x50
	s_load_dwordx2 s[4:5], s[4:5], 0x60
	v_fma_f64 v[25:26], v[25:26], v[19:20], v[39:40]
	v_add_f64 v[7:8], v[37:38], v[9:10]
	s_waitcnt lgkmcnt(0)
	v_mul_f64 v[9:10], v[31:32], v[29:30]
	v_fma_f64 v[13:14], v[23:24], v[19:20], -v[21:22]
	s_mul_i32 s0, s5, s7
	v_add_f64 v[3:4], v[5:6], v[3:4]
	s_mul_hi_u32 s3, s4, s7
	s_mul_i32 s4, s4, s7
	s_add_i32 s5, s3, s0
	s_mul_i32 s6, s14, s2
	s_lshl_b64 s[2:3], s[4:5], 4
	s_mul_hi_u32 s0, s14, s1
	s_add_u32 s5, s12, s2
	s_mul_i32 s4, s15, s1
	s_addc_u32 s7, s13, s3
	s_add_i32 s0, s0, s6
	s_mul_i32 s2, s14, s1
	s_add_i32 s3, s0, s4
	s_lshl_b64 s[0:1], s[2:3], 4
	s_add_u32 s0, s5, s0
	v_add_f64 v[5:6], v[7:8], v[17:18]
	v_mul_f64 v[7:8], v[33:34], v[29:30]
	v_fma_f64 v[9:10], v[33:34], v[27:28], v[9:10]
	s_addc_u32 s1, s7, s1
	v_add_f64 v[3:4], v[3:4], v[11:12]
	v_add_f64 v[5:6], v[5:6], v[25:26]
	v_fma_f64 v[7:8], v[31:32], v[27:28], -v[7:8]
	v_add_f64 v[3:4], v[3:4], v[13:14]
	v_add_f64 v[5:6], v[5:6], v[9:10]
	v_mad_u64_u32 v[9:10], null, s14, v1, 0
	v_add_f64 v[3:4], v[3:4], v[7:8]
	v_mov_b32_e32 v0, v10
	v_mad_u64_u32 v[0:1], null, s15, v1, v[0:1]
	v_mov_b32_e32 v10, v0
	v_mul_f64 v[7:8], s[8:9], v[5:6]
	v_mul_f64 v[11:12], s[10:11], v[5:6]
	v_lshlrev_b64 v[0:1], 4, v[9:10]
	v_add_co_u32 v0, vcc_lo, s0, v0
	v_add_co_ci_u32_e64 v1, null, s1, v1, vcc_lo
	v_add_co_u32 v0, vcc_lo, v0, v2
	v_add_co_ci_u32_e64 v1, null, 0, v1, vcc_lo
	v_fma_f64 v[5:6], s[10:11], v[3:4], v[7:8]
	v_fma_f64 v[3:4], s[8:9], v[3:4], -v[11:12]
	global_store_dwordx4 v[0:1], v[3:6], off
.LBB132_15:
	s_endpgm
	.section	.rodata,"a",@progbits
	.p2align	6, 0x0
	.amdhsa_kernel _ZL23rocblas_trmm_lNx_kernelILi16E19rocblas_complex_numIdEPKS1_S2_S1_Ev13rocblas_fill_17rocblas_diagonal_iiT1_lPT2_llS8_llPT3_lli
		.amdhsa_group_segment_fixed_size 8192
		.amdhsa_private_segment_fixed_size 0
		.amdhsa_kernarg_size 108
		.amdhsa_user_sgpr_count 6
		.amdhsa_user_sgpr_private_segment_buffer 1
		.amdhsa_user_sgpr_dispatch_ptr 0
		.amdhsa_user_sgpr_queue_ptr 0
		.amdhsa_user_sgpr_kernarg_segment_ptr 1
		.amdhsa_user_sgpr_dispatch_id 0
		.amdhsa_user_sgpr_flat_scratch_init 0
		.amdhsa_user_sgpr_private_segment_size 0
		.amdhsa_wavefront_size32 1
		.amdhsa_uses_dynamic_stack 0
		.amdhsa_system_sgpr_private_segment_wavefront_offset 0
		.amdhsa_system_sgpr_workgroup_id_x 1
		.amdhsa_system_sgpr_workgroup_id_y 0
		.amdhsa_system_sgpr_workgroup_id_z 1
		.amdhsa_system_sgpr_workgroup_info 0
		.amdhsa_system_vgpr_workitem_id 1
		.amdhsa_next_free_vgpr 45
		.amdhsa_next_free_sgpr 28
		.amdhsa_reserve_vcc 1
		.amdhsa_reserve_flat_scratch 0
		.amdhsa_float_round_mode_32 0
		.amdhsa_float_round_mode_16_64 0
		.amdhsa_float_denorm_mode_32 3
		.amdhsa_float_denorm_mode_16_64 3
		.amdhsa_dx10_clamp 1
		.amdhsa_ieee_mode 1
		.amdhsa_fp16_overflow 0
		.amdhsa_workgroup_processor_mode 1
		.amdhsa_memory_ordered 1
		.amdhsa_forward_progress 1
		.amdhsa_shared_vgpr_count 0
		.amdhsa_exception_fp_ieee_invalid_op 0
		.amdhsa_exception_fp_denorm_src 0
		.amdhsa_exception_fp_ieee_div_zero 0
		.amdhsa_exception_fp_ieee_overflow 0
		.amdhsa_exception_fp_ieee_underflow 0
		.amdhsa_exception_fp_ieee_inexact 0
		.amdhsa_exception_int_div_zero 0
	.end_amdhsa_kernel
	.section	.text._ZL23rocblas_trmm_lNx_kernelILi16E19rocblas_complex_numIdEPKS1_S2_S1_Ev13rocblas_fill_17rocblas_diagonal_iiT1_lPT2_llS8_llPT3_lli,"axG",@progbits,_ZL23rocblas_trmm_lNx_kernelILi16E19rocblas_complex_numIdEPKS1_S2_S1_Ev13rocblas_fill_17rocblas_diagonal_iiT1_lPT2_llS8_llPT3_lli,comdat
.Lfunc_end132:
	.size	_ZL23rocblas_trmm_lNx_kernelILi16E19rocblas_complex_numIdEPKS1_S2_S1_Ev13rocblas_fill_17rocblas_diagonal_iiT1_lPT2_llS8_llPT3_lli, .Lfunc_end132-_ZL23rocblas_trmm_lNx_kernelILi16E19rocblas_complex_numIdEPKS1_S2_S1_Ev13rocblas_fill_17rocblas_diagonal_iiT1_lPT2_llS8_llPT3_lli
                                        ; -- End function
	.set _ZL23rocblas_trmm_lNx_kernelILi16E19rocblas_complex_numIdEPKS1_S2_S1_Ev13rocblas_fill_17rocblas_diagonal_iiT1_lPT2_llS8_llPT3_lli.num_vgpr, 45
	.set _ZL23rocblas_trmm_lNx_kernelILi16E19rocblas_complex_numIdEPKS1_S2_S1_Ev13rocblas_fill_17rocblas_diagonal_iiT1_lPT2_llS8_llPT3_lli.num_agpr, 0
	.set _ZL23rocblas_trmm_lNx_kernelILi16E19rocblas_complex_numIdEPKS1_S2_S1_Ev13rocblas_fill_17rocblas_diagonal_iiT1_lPT2_llS8_llPT3_lli.numbered_sgpr, 28
	.set _ZL23rocblas_trmm_lNx_kernelILi16E19rocblas_complex_numIdEPKS1_S2_S1_Ev13rocblas_fill_17rocblas_diagonal_iiT1_lPT2_llS8_llPT3_lli.num_named_barrier, 0
	.set _ZL23rocblas_trmm_lNx_kernelILi16E19rocblas_complex_numIdEPKS1_S2_S1_Ev13rocblas_fill_17rocblas_diagonal_iiT1_lPT2_llS8_llPT3_lli.private_seg_size, 0
	.set _ZL23rocblas_trmm_lNx_kernelILi16E19rocblas_complex_numIdEPKS1_S2_S1_Ev13rocblas_fill_17rocblas_diagonal_iiT1_lPT2_llS8_llPT3_lli.uses_vcc, 1
	.set _ZL23rocblas_trmm_lNx_kernelILi16E19rocblas_complex_numIdEPKS1_S2_S1_Ev13rocblas_fill_17rocblas_diagonal_iiT1_lPT2_llS8_llPT3_lli.uses_flat_scratch, 0
	.set _ZL23rocblas_trmm_lNx_kernelILi16E19rocblas_complex_numIdEPKS1_S2_S1_Ev13rocblas_fill_17rocblas_diagonal_iiT1_lPT2_llS8_llPT3_lli.has_dyn_sized_stack, 0
	.set _ZL23rocblas_trmm_lNx_kernelILi16E19rocblas_complex_numIdEPKS1_S2_S1_Ev13rocblas_fill_17rocblas_diagonal_iiT1_lPT2_llS8_llPT3_lli.has_recursion, 0
	.set _ZL23rocblas_trmm_lNx_kernelILi16E19rocblas_complex_numIdEPKS1_S2_S1_Ev13rocblas_fill_17rocblas_diagonal_iiT1_lPT2_llS8_llPT3_lli.has_indirect_call, 0
	.section	.AMDGPU.csdata,"",@progbits
; Kernel info:
; codeLenInByte = 1948
; TotalNumSgprs: 30
; NumVgprs: 45
; ScratchSize: 0
; MemoryBound: 0
; FloatMode: 240
; IeeeMode: 1
; LDSByteSize: 8192 bytes/workgroup (compile time only)
; SGPRBlocks: 0
; VGPRBlocks: 5
; NumSGPRsForWavesPerEU: 30
; NumVGPRsForWavesPerEU: 45
; Occupancy: 16
; WaveLimiterHint : 0
; COMPUTE_PGM_RSRC2:SCRATCH_EN: 0
; COMPUTE_PGM_RSRC2:USER_SGPR: 6
; COMPUTE_PGM_RSRC2:TRAP_HANDLER: 0
; COMPUTE_PGM_RSRC2:TGID_X_EN: 1
; COMPUTE_PGM_RSRC2:TGID_Y_EN: 0
; COMPUTE_PGM_RSRC2:TGID_Z_EN: 1
; COMPUTE_PGM_RSRC2:TIDIG_COMP_CNT: 1
	.section	.text._ZL23rocblas_trmm_lNx_kernelILi16E19rocblas_complex_numIdES1_KS1_S1_Ev13rocblas_fill_17rocblas_diagonal_iiT1_lPT2_llS7_llPT3_lli,"axG",@progbits,_ZL23rocblas_trmm_lNx_kernelILi16E19rocblas_complex_numIdES1_KS1_S1_Ev13rocblas_fill_17rocblas_diagonal_iiT1_lPT2_llS7_llPT3_lli,comdat
	.globl	_ZL23rocblas_trmm_lNx_kernelILi16E19rocblas_complex_numIdES1_KS1_S1_Ev13rocblas_fill_17rocblas_diagonal_iiT1_lPT2_llS7_llPT3_lli ; -- Begin function _ZL23rocblas_trmm_lNx_kernelILi16E19rocblas_complex_numIdES1_KS1_S1_Ev13rocblas_fill_17rocblas_diagonal_iiT1_lPT2_llS7_llPT3_lli
	.p2align	8
	.type	_ZL23rocblas_trmm_lNx_kernelILi16E19rocblas_complex_numIdES1_KS1_S1_Ev13rocblas_fill_17rocblas_diagonal_iiT1_lPT2_llS7_llPT3_lli,@function
_ZL23rocblas_trmm_lNx_kernelILi16E19rocblas_complex_numIdES1_KS1_S1_Ev13rocblas_fill_17rocblas_diagonal_iiT1_lPT2_llS7_llPT3_lli: ; @_ZL23rocblas_trmm_lNx_kernelILi16E19rocblas_complex_numIdES1_KS1_S1_Ev13rocblas_fill_17rocblas_diagonal_iiT1_lPT2_llS7_llPT3_lli
; %bb.0:
	s_load_dwordx4 s[24:27], s[4:5], 0x10
	s_waitcnt lgkmcnt(0)
	v_cmp_neq_f64_e64 s0, s[24:25], 0
	v_cmp_neq_f64_e64 s1, s[26:27], 0
	s_or_b32 s0, s0, s1
	s_andn2_b32 vcc_lo, exec_lo, s0
	s_cbranch_vccnz .LBB133_15
; %bb.1:
	s_clause 0x1
	s_load_dwordx4 s[28:31], s[4:5], 0x0
	s_load_dwordx16 s[8:23], s[4:5], 0x28
	s_mov_b32 s0, 0
	v_lshlrev_b32_e32 v3, 4, v1
	s_mov_b32 s3, s0
	s_mov_b32 s1, s0
	;; [unrolled: 1-line block ×3, first 2 shown]
	v_mov_b32_e32 v8, s3
	v_mov_b32_e32 v7, s2
	;; [unrolled: 1-line block ×4, first 2 shown]
	v_add_lshl_u32 v4, v3, v0, 4
	v_lshlrev_b32_e32 v2, 4, v0
	ds_write_b128 v4, v[5:8]
	ds_write_b128 v4, v[5:8] offset:4096
	s_waitcnt lgkmcnt(0)
	v_cmp_gt_i32_e64 s0, s30, v1
	v_cmp_gt_i32_e32 vcc_lo, s30, v0
	s_and_b32 s0, s0, vcc_lo
	s_and_saveexec_b32 s1, s0
	s_cbranch_execz .LBB133_3
; %bb.2:
	v_mad_u64_u32 v[5:6], null, s10, v1, 0
	s_mul_i32 s0, s13, s7
	s_mul_hi_u32 s3, s12, s7
	s_mul_i32 s2, s12, s7
	s_add_i32 s3, s3, s0
	s_lshl_b64 s[2:3], s[2:3], 4
	v_mad_u64_u32 v[6:7], null, s11, v1, v[6:7]
	s_add_u32 s0, s8, s2
	s_addc_u32 s2, s9, s3
	v_lshlrev_b64 v[5:6], 4, v[5:6]
	v_add_co_u32 v5, s0, s0, v5
	v_add_co_ci_u32_e64 v6, null, s2, v6, s0
	v_add_co_u32 v5, s0, v5, v2
	v_add_co_ci_u32_e64 v6, null, 0, v6, s0
	global_load_dwordx4 v[5:8], v[5:6], off
	s_waitcnt vmcnt(0)
	ds_write2_b64 v4, v[5:6], v[7:8] offset1:1
.LBB133_3:
	s_or_b32 exec_lo, exec_lo, s1
	s_add_i32 s0, s31, -1
	s_ashr_i32 s1, s0, 31
	s_lshr_b32 s1, s1, 28
	s_add_i32 s0, s0, s1
	s_and_b32 s1, s0, -16
	s_ashr_i32 s0, s0, 4
	s_sub_i32 s1, s31, s1
	s_cmp_ge_i32 s6, s0
	s_cselect_b32 s0, s1, 16
	s_lshl_b32 s1, s6, 4
	v_cmp_gt_i32_e64 s0, s0, v1
	s_ashr_i32 s2, s1, 31
	s_and_b32 s0, vcc_lo, s0
	s_and_saveexec_b32 s3, s0
	s_cbranch_execz .LBB133_5
; %bb.4:
	v_mad_u64_u32 v[5:6], null, s16, v1, 0
	s_mul_i32 s6, s19, s7
	s_mul_hi_u32 s9, s18, s7
	s_mul_i32 s8, s18, s7
	s_add_i32 s9, s9, s6
	s_mul_i32 s10, s16, s2
	s_lshl_b64 s[8:9], s[8:9], 4
	v_mad_u64_u32 v[6:7], null, s17, v1, v[6:7]
	s_mul_hi_u32 s6, s16, s1
	s_add_u32 s12, s14, s8
	s_mul_i32 s11, s17, s1
	s_addc_u32 s13, s15, s9
	s_add_i32 s6, s6, s10
	s_mul_i32 s8, s16, s1
	s_add_i32 s9, s6, s11
	v_lshlrev_b64 v[5:6], 4, v[5:6]
	s_lshl_b64 s[8:9], s[8:9], 4
	v_add_nc_u32_e32 v9, 0x1000, v4
	s_add_u32 s6, s12, s8
	s_addc_u32 s8, s13, s9
	v_add_co_u32 v5, vcc_lo, s6, v5
	v_add_co_ci_u32_e64 v6, null, s8, v6, vcc_lo
	v_add_co_u32 v5, vcc_lo, v5, v2
	v_add_co_ci_u32_e64 v6, null, 0, v6, vcc_lo
	global_load_dwordx4 v[5:8], v[5:6], off
	s_waitcnt vmcnt(0)
	ds_write2_b64 v9, v[5:6], v[7:8] offset1:1
.LBB133_5:
	s_or_b32 exec_lo, exec_lo, s3
	v_cmp_eq_u32_e32 vcc_lo, v1, v0
	s_cmpk_eq_i32 s29, 0x84
	s_cselect_b32 s3, -1, 0
	s_and_b32 s6, vcc_lo, s3
	s_and_saveexec_b32 s3, s6
	s_cbranch_execz .LBB133_7
; %bb.6:
	v_mov_b32_e32 v5, 0
	v_mov_b32_e32 v6, 0x3ff00000
	;; [unrolled: 1-line block ×4, first 2 shown]
	ds_write_b128 v4, v[5:8]
.LBB133_7:
	s_or_b32 exec_lo, exec_lo, s3
	s_cmpk_lg_i32 s28, 0x79
	s_cbranch_scc0 .LBB133_9
; %bb.8:
	v_cmp_lt_u32_e32 vcc_lo, v0, v1
	s_and_b32 s3, vcc_lo, exec_lo
	s_cbranch_execz .LBB133_10
	s_branch .LBB133_11
.LBB133_9:
	s_mov_b32 s3, 0
.LBB133_10:
	v_cmp_gt_u32_e32 vcc_lo, v0, v1
	s_andn2_b32 s3, s3, exec_lo
	s_and_b32 s6, vcc_lo, exec_lo
	s_or_b32 s3, s3, s6
.LBB133_11:
	s_and_saveexec_b32 s6, s3
	s_cbranch_execz .LBB133_13
; %bb.12:
	v_mov_b32_e32 v5, 0
	v_mov_b32_e32 v6, v5
	;; [unrolled: 1-line block ×4, first 2 shown]
	ds_write_b128 v4, v[5:8]
.LBB133_13:
	s_or_b32 exec_lo, exec_lo, s6
	s_waitcnt lgkmcnt(0)
	s_barrier
	buffer_gl0_inv
	s_and_saveexec_b32 s3, s0
	s_cbranch_execz .LBB133_15
; %bb.14:
	v_lshlrev_b32_e32 v0, 4, v3
	s_load_dwordx2 s[4:5], s[4:5], 0x68
	s_mul_i32 s0, s22, s2
	s_mul_hi_u32 s6, s22, s1
	ds_read_b128 v[3:6], v0 offset:4096
	ds_read_b128 v[7:10], v2
	ds_read_b128 v[11:14], v2 offset:256
	ds_read_b128 v[15:18], v0 offset:4112
	;; [unrolled: 1-line block ×4, first 2 shown]
	s_waitcnt lgkmcnt(0)
	s_mul_i32 s3, s5, s7
	s_mul_hi_u32 s5, s4, s7
	v_mul_f64 v[27:28], v[3:4], v[9:10]
	v_mul_f64 v[9:10], v[5:6], v[9:10]
	;; [unrolled: 1-line block ×6, first 2 shown]
	s_mul_i32 s2, s4, s7
	s_add_i32 s3, s5, s3
	s_mul_i32 s4, s23, s1
	s_lshl_b64 s[2:3], s[2:3], 4
	s_add_u32 s5, s20, s2
	s_addc_u32 s7, s21, s3
	s_add_i32 s0, s6, s0
	s_mul_i32 s2, s22, s1
	s_add_i32 s3, s0, s4
	s_lshl_b64 s[0:1], s[2:3], 4
	s_add_u32 s0, s5, s0
	s_addc_u32 s1, s7, s1
	v_fma_f64 v[5:6], v[5:6], v[7:8], v[27:28]
	ds_read_b128 v[27:30], v2 offset:768
	ds_read_b128 v[31:34], v0 offset:4144
	v_fma_f64 v[17:18], v[17:18], v[11:12], v[35:36]
	v_fma_f64 v[35:36], v[3:4], v[7:8], -v[9:10]
	v_fma_f64 v[25:26], v[25:26], v[19:20], v[37:38]
	v_fma_f64 v[37:38], v[15:16], v[11:12], -v[13:14]
	s_waitcnt lgkmcnt(0)
	v_mul_f64 v[41:42], v[31:32], v[29:30]
	v_add_f64 v[39:40], v[5:6], 0
	ds_read_b128 v[3:6], v2 offset:1024
	ds_read_b128 v[7:10], v0 offset:4160
	v_mul_f64 v[29:30], v[33:34], v[29:30]
	v_add_f64 v[35:36], v[35:36], 0
	s_waitcnt lgkmcnt(0)
	v_mul_f64 v[43:44], v[7:8], v[5:6]
	v_add_f64 v[39:40], v[39:40], v[17:18]
	v_fma_f64 v[33:34], v[33:34], v[27:28], v[41:42]
	v_fma_f64 v[41:42], v[23:24], v[19:20], -v[21:22]
	v_add_f64 v[35:36], v[35:36], v[37:38]
	ds_read_b128 v[11:14], v2 offset:1280
	ds_read_b128 v[15:18], v0 offset:4176
	v_mul_f64 v[5:6], v[9:10], v[5:6]
	v_fma_f64 v[9:10], v[9:10], v[3:4], v[43:44]
	v_add_f64 v[37:38], v[39:40], v[25:26]
	v_fma_f64 v[43:44], v[31:32], v[27:28], -v[29:30]
	s_waitcnt lgkmcnt(0)
	v_mul_f64 v[39:40], v[15:16], v[13:14]
	v_add_f64 v[35:36], v[35:36], v[41:42]
	ds_read_b128 v[19:22], v2 offset:1536
	ds_read_b128 v[23:26], v0 offset:4192
	v_mul_f64 v[13:14], v[17:18], v[13:14]
	v_add_f64 v[37:38], v[37:38], v[33:34]
	ds_read_b128 v[27:30], v2 offset:1792
	ds_read_b128 v[31:34], v0 offset:4208
	s_waitcnt lgkmcnt(2)
	v_mul_f64 v[41:42], v[23:24], v[21:22]
	v_fma_f64 v[17:18], v[17:18], v[11:12], v[39:40]
	v_fma_f64 v[39:40], v[7:8], v[3:4], -v[5:6]
	v_add_f64 v[35:36], v[35:36], v[43:44]
	v_mul_f64 v[21:22], v[25:26], v[21:22]
	s_waitcnt lgkmcnt(0)
	v_mul_f64 v[43:44], v[31:32], v[29:30]
	v_add_f64 v[37:38], v[37:38], v[9:10]
	ds_read_b128 v[3:6], v2 offset:2048
	ds_read_b128 v[7:10], v0 offset:4224
	v_fma_f64 v[25:26], v[25:26], v[19:20], v[41:42]
	v_fma_f64 v[41:42], v[15:16], v[11:12], -v[13:14]
	v_mul_f64 v[29:30], v[33:34], v[29:30]
	v_add_f64 v[35:36], v[35:36], v[39:40]
	s_waitcnt lgkmcnt(0)
	v_mul_f64 v[39:40], v[7:8], v[5:6]
	v_add_f64 v[37:38], v[37:38], v[17:18]
	v_fma_f64 v[33:34], v[33:34], v[27:28], v[43:44]
	v_fma_f64 v[43:44], v[23:24], v[19:20], -v[21:22]
	ds_read_b128 v[11:14], v2 offset:2304
	ds_read_b128 v[15:18], v0 offset:4240
	v_mul_f64 v[5:6], v[9:10], v[5:6]
	v_add_f64 v[35:36], v[35:36], v[41:42]
	v_fma_f64 v[9:10], v[9:10], v[3:4], v[39:40]
	v_add_f64 v[37:38], v[37:38], v[25:26]
	s_waitcnt lgkmcnt(0)
	v_mul_f64 v[41:42], v[15:16], v[13:14]
	v_fma_f64 v[39:40], v[31:32], v[27:28], -v[29:30]
	ds_read_b128 v[19:22], v2 offset:2560
	ds_read_b128 v[23:26], v0 offset:4256
	v_mul_f64 v[13:14], v[17:18], v[13:14]
	v_add_f64 v[35:36], v[35:36], v[43:44]
	v_add_f64 v[37:38], v[37:38], v[33:34]
	s_waitcnt lgkmcnt(0)
	v_mul_f64 v[43:44], v[23:24], v[21:22]
	v_fma_f64 v[17:18], v[17:18], v[11:12], v[41:42]
	v_fma_f64 v[41:42], v[7:8], v[3:4], -v[5:6]
	ds_read_b128 v[27:30], v2 offset:2816
	ds_read_b128 v[31:34], v0 offset:4272
	v_add_f64 v[35:36], v[35:36], v[39:40]
	v_mul_f64 v[21:22], v[25:26], v[21:22]
	v_add_f64 v[37:38], v[37:38], v[9:10]
	v_fma_f64 v[25:26], v[25:26], v[19:20], v[43:44]
	s_waitcnt lgkmcnt(0)
	v_mul_f64 v[39:40], v[31:32], v[29:30]
	v_fma_f64 v[43:44], v[15:16], v[11:12], -v[13:14]
	ds_read_b128 v[3:6], v2 offset:3072
	ds_read_b128 v[7:10], v0 offset:4288
	v_add_f64 v[35:36], v[35:36], v[41:42]
	v_mul_f64 v[29:30], v[33:34], v[29:30]
	v_add_f64 v[37:38], v[37:38], v[17:18]
	ds_read_b128 v[11:14], v2 offset:3328
	ds_read_b128 v[15:18], v0 offset:4304
	s_waitcnt lgkmcnt(2)
	v_mul_f64 v[41:42], v[7:8], v[5:6]
	v_fma_f64 v[33:34], v[33:34], v[27:28], v[39:40]
	v_fma_f64 v[39:40], v[23:24], v[19:20], -v[21:22]
	v_add_f64 v[35:36], v[35:36], v[43:44]
	v_mul_f64 v[5:6], v[9:10], v[5:6]
	s_waitcnt lgkmcnt(0)
	v_mul_f64 v[43:44], v[15:16], v[13:14]
	v_add_f64 v[37:38], v[37:38], v[25:26]
	ds_read_b128 v[19:22], v2 offset:3584
	ds_read_b128 v[23:26], v0 offset:4320
	v_fma_f64 v[9:10], v[9:10], v[3:4], v[41:42]
	v_fma_f64 v[41:42], v[31:32], v[27:28], -v[29:30]
	v_mul_f64 v[13:14], v[17:18], v[13:14]
	v_add_f64 v[35:36], v[35:36], v[39:40]
	v_fma_f64 v[3:4], v[7:8], v[3:4], -v[5:6]
	s_waitcnt lgkmcnt(0)
	v_mul_f64 v[39:40], v[23:24], v[21:22]
	v_add_f64 v[37:38], v[37:38], v[33:34]
	v_fma_f64 v[17:18], v[17:18], v[11:12], v[43:44]
	ds_read_b128 v[27:30], v2 offset:3840
	ds_read_b128 v[31:34], v0 offset:4336
	v_mul_f64 v[21:22], v[25:26], v[21:22]
	v_fma_f64 v[11:12], v[15:16], v[11:12], -v[13:14]
	v_add_f64 v[5:6], v[35:36], v[41:42]
	v_fma_f64 v[25:26], v[25:26], v[19:20], v[39:40]
	v_add_f64 v[7:8], v[37:38], v[9:10]
	s_waitcnt lgkmcnt(0)
	v_mul_f64 v[9:10], v[31:32], v[29:30]
	v_fma_f64 v[13:14], v[23:24], v[19:20], -v[21:22]
	v_add_f64 v[3:4], v[5:6], v[3:4]
	v_add_f64 v[5:6], v[7:8], v[17:18]
	v_mul_f64 v[7:8], v[33:34], v[29:30]
	v_fma_f64 v[9:10], v[33:34], v[27:28], v[9:10]
	v_add_f64 v[3:4], v[3:4], v[11:12]
	v_add_f64 v[5:6], v[5:6], v[25:26]
	v_fma_f64 v[7:8], v[31:32], v[27:28], -v[7:8]
	v_add_f64 v[3:4], v[3:4], v[13:14]
	v_add_f64 v[5:6], v[5:6], v[9:10]
	v_mad_u64_u32 v[9:10], null, s22, v1, 0
	v_add_f64 v[3:4], v[3:4], v[7:8]
	v_mov_b32_e32 v0, v10
	v_mad_u64_u32 v[0:1], null, s23, v1, v[0:1]
	v_mov_b32_e32 v10, v0
	v_mul_f64 v[7:8], s[24:25], v[5:6]
	v_mul_f64 v[11:12], s[26:27], v[5:6]
	v_lshlrev_b64 v[0:1], 4, v[9:10]
	v_add_co_u32 v0, vcc_lo, s0, v0
	v_add_co_ci_u32_e64 v1, null, s1, v1, vcc_lo
	v_add_co_u32 v0, vcc_lo, v0, v2
	v_add_co_ci_u32_e64 v1, null, 0, v1, vcc_lo
	v_fma_f64 v[5:6], s[26:27], v[3:4], v[7:8]
	v_fma_f64 v[3:4], s[24:25], v[3:4], -v[11:12]
	global_store_dwordx4 v[0:1], v[3:6], off
.LBB133_15:
	s_endpgm
	.section	.rodata,"a",@progbits
	.p2align	6, 0x0
	.amdhsa_kernel _ZL23rocblas_trmm_lNx_kernelILi16E19rocblas_complex_numIdES1_KS1_S1_Ev13rocblas_fill_17rocblas_diagonal_iiT1_lPT2_llS7_llPT3_lli
		.amdhsa_group_segment_fixed_size 8192
		.amdhsa_private_segment_fixed_size 0
		.amdhsa_kernarg_size 116
		.amdhsa_user_sgpr_count 6
		.amdhsa_user_sgpr_private_segment_buffer 1
		.amdhsa_user_sgpr_dispatch_ptr 0
		.amdhsa_user_sgpr_queue_ptr 0
		.amdhsa_user_sgpr_kernarg_segment_ptr 1
		.amdhsa_user_sgpr_dispatch_id 0
		.amdhsa_user_sgpr_flat_scratch_init 0
		.amdhsa_user_sgpr_private_segment_size 0
		.amdhsa_wavefront_size32 1
		.amdhsa_uses_dynamic_stack 0
		.amdhsa_system_sgpr_private_segment_wavefront_offset 0
		.amdhsa_system_sgpr_workgroup_id_x 1
		.amdhsa_system_sgpr_workgroup_id_y 0
		.amdhsa_system_sgpr_workgroup_id_z 1
		.amdhsa_system_sgpr_workgroup_info 0
		.amdhsa_system_vgpr_workitem_id 1
		.amdhsa_next_free_vgpr 45
		.amdhsa_next_free_sgpr 32
		.amdhsa_reserve_vcc 1
		.amdhsa_reserve_flat_scratch 0
		.amdhsa_float_round_mode_32 0
		.amdhsa_float_round_mode_16_64 0
		.amdhsa_float_denorm_mode_32 3
		.amdhsa_float_denorm_mode_16_64 3
		.amdhsa_dx10_clamp 1
		.amdhsa_ieee_mode 1
		.amdhsa_fp16_overflow 0
		.amdhsa_workgroup_processor_mode 1
		.amdhsa_memory_ordered 1
		.amdhsa_forward_progress 1
		.amdhsa_shared_vgpr_count 0
		.amdhsa_exception_fp_ieee_invalid_op 0
		.amdhsa_exception_fp_denorm_src 0
		.amdhsa_exception_fp_ieee_div_zero 0
		.amdhsa_exception_fp_ieee_overflow 0
		.amdhsa_exception_fp_ieee_underflow 0
		.amdhsa_exception_fp_ieee_inexact 0
		.amdhsa_exception_int_div_zero 0
	.end_amdhsa_kernel
	.section	.text._ZL23rocblas_trmm_lNx_kernelILi16E19rocblas_complex_numIdES1_KS1_S1_Ev13rocblas_fill_17rocblas_diagonal_iiT1_lPT2_llS7_llPT3_lli,"axG",@progbits,_ZL23rocblas_trmm_lNx_kernelILi16E19rocblas_complex_numIdES1_KS1_S1_Ev13rocblas_fill_17rocblas_diagonal_iiT1_lPT2_llS7_llPT3_lli,comdat
.Lfunc_end133:
	.size	_ZL23rocblas_trmm_lNx_kernelILi16E19rocblas_complex_numIdES1_KS1_S1_Ev13rocblas_fill_17rocblas_diagonal_iiT1_lPT2_llS7_llPT3_lli, .Lfunc_end133-_ZL23rocblas_trmm_lNx_kernelILi16E19rocblas_complex_numIdES1_KS1_S1_Ev13rocblas_fill_17rocblas_diagonal_iiT1_lPT2_llS7_llPT3_lli
                                        ; -- End function
	.set _ZL23rocblas_trmm_lNx_kernelILi16E19rocblas_complex_numIdES1_KS1_S1_Ev13rocblas_fill_17rocblas_diagonal_iiT1_lPT2_llS7_llPT3_lli.num_vgpr, 45
	.set _ZL23rocblas_trmm_lNx_kernelILi16E19rocblas_complex_numIdES1_KS1_S1_Ev13rocblas_fill_17rocblas_diagonal_iiT1_lPT2_llS7_llPT3_lli.num_agpr, 0
	.set _ZL23rocblas_trmm_lNx_kernelILi16E19rocblas_complex_numIdES1_KS1_S1_Ev13rocblas_fill_17rocblas_diagonal_iiT1_lPT2_llS7_llPT3_lli.numbered_sgpr, 32
	.set _ZL23rocblas_trmm_lNx_kernelILi16E19rocblas_complex_numIdES1_KS1_S1_Ev13rocblas_fill_17rocblas_diagonal_iiT1_lPT2_llS7_llPT3_lli.num_named_barrier, 0
	.set _ZL23rocblas_trmm_lNx_kernelILi16E19rocblas_complex_numIdES1_KS1_S1_Ev13rocblas_fill_17rocblas_diagonal_iiT1_lPT2_llS7_llPT3_lli.private_seg_size, 0
	.set _ZL23rocblas_trmm_lNx_kernelILi16E19rocblas_complex_numIdES1_KS1_S1_Ev13rocblas_fill_17rocblas_diagonal_iiT1_lPT2_llS7_llPT3_lli.uses_vcc, 1
	.set _ZL23rocblas_trmm_lNx_kernelILi16E19rocblas_complex_numIdES1_KS1_S1_Ev13rocblas_fill_17rocblas_diagonal_iiT1_lPT2_llS7_llPT3_lli.uses_flat_scratch, 0
	.set _ZL23rocblas_trmm_lNx_kernelILi16E19rocblas_complex_numIdES1_KS1_S1_Ev13rocblas_fill_17rocblas_diagonal_iiT1_lPT2_llS7_llPT3_lli.has_dyn_sized_stack, 0
	.set _ZL23rocblas_trmm_lNx_kernelILi16E19rocblas_complex_numIdES1_KS1_S1_Ev13rocblas_fill_17rocblas_diagonal_iiT1_lPT2_llS7_llPT3_lli.has_recursion, 0
	.set _ZL23rocblas_trmm_lNx_kernelILi16E19rocblas_complex_numIdES1_KS1_S1_Ev13rocblas_fill_17rocblas_diagonal_iiT1_lPT2_llS7_llPT3_lli.has_indirect_call, 0
	.section	.AMDGPU.csdata,"",@progbits
; Kernel info:
; codeLenInByte = 1900
; TotalNumSgprs: 34
; NumVgprs: 45
; ScratchSize: 0
; MemoryBound: 0
; FloatMode: 240
; IeeeMode: 1
; LDSByteSize: 8192 bytes/workgroup (compile time only)
; SGPRBlocks: 0
; VGPRBlocks: 5
; NumSGPRsForWavesPerEU: 34
; NumVGPRsForWavesPerEU: 45
; Occupancy: 16
; WaveLimiterHint : 0
; COMPUTE_PGM_RSRC2:SCRATCH_EN: 0
; COMPUTE_PGM_RSRC2:USER_SGPR: 6
; COMPUTE_PGM_RSRC2:TRAP_HANDLER: 0
; COMPUTE_PGM_RSRC2:TGID_X_EN: 1
; COMPUTE_PGM_RSRC2:TGID_Y_EN: 0
; COMPUTE_PGM_RSRC2:TGID_Z_EN: 1
; COMPUTE_PGM_RSRC2:TIDIG_COMP_CNT: 1
	.section	.text._ZL23rocblas_trmm_lTx_kernelILi16ELb0E19rocblas_complex_numIdEPKS1_S2_S1_Ev13rocblas_fill_17rocblas_diagonal_iiT2_lPT3_llS8_llPT4_lli,"axG",@progbits,_ZL23rocblas_trmm_lTx_kernelILi16ELb0E19rocblas_complex_numIdEPKS1_S2_S1_Ev13rocblas_fill_17rocblas_diagonal_iiT2_lPT3_llS8_llPT4_lli,comdat
	.globl	_ZL23rocblas_trmm_lTx_kernelILi16ELb0E19rocblas_complex_numIdEPKS1_S2_S1_Ev13rocblas_fill_17rocblas_diagonal_iiT2_lPT3_llS8_llPT4_lli ; -- Begin function _ZL23rocblas_trmm_lTx_kernelILi16ELb0E19rocblas_complex_numIdEPKS1_S2_S1_Ev13rocblas_fill_17rocblas_diagonal_iiT2_lPT3_llS8_llPT4_lli
	.p2align	8
	.type	_ZL23rocblas_trmm_lTx_kernelILi16ELb0E19rocblas_complex_numIdEPKS1_S2_S1_Ev13rocblas_fill_17rocblas_diagonal_iiT2_lPT3_llS8_llPT4_lli,@function
_ZL23rocblas_trmm_lTx_kernelILi16ELb0E19rocblas_complex_numIdEPKS1_S2_S1_Ev13rocblas_fill_17rocblas_diagonal_iiT2_lPT3_llS8_llPT4_lli: ; @_ZL23rocblas_trmm_lTx_kernelILi16ELb0E19rocblas_complex_numIdEPKS1_S2_S1_Ev13rocblas_fill_17rocblas_diagonal_iiT2_lPT3_llS8_llPT4_lli
; %bb.0:
	s_load_dwordx16 s[8:23], s[4:5], 0x10
	s_waitcnt lgkmcnt(0)
	s_mul_i32 s1, s11, s7
	s_mul_hi_u32 s2, s10, s7
	s_mul_i32 s0, s10, s7
	s_add_i32 s1, s2, s1
	s_lshl_b64 s[0:1], s[0:1], 4
	s_add_u32 s0, s8, s0
	s_addc_u32 s1, s9, s1
	s_load_dwordx4 s[8:11], s[0:1], 0x0
	s_waitcnt lgkmcnt(0)
	v_cmp_neq_f64_e64 s0, s[8:9], 0
	v_cmp_neq_f64_e64 s1, s[10:11], 0
	s_or_b32 s0, s0, s1
	s_andn2_b32 vcc_lo, exec_lo, s0
	s_cbranch_vccnz .LBB134_15
; %bb.1:
	s_load_dwordx4 s[24:27], s[4:5], 0x0
	s_mov_b32 s0, 0
	v_lshlrev_b32_e32 v3, 4, v1
	s_mov_b32 s3, s0
	s_mov_b32 s1, s0
	;; [unrolled: 1-line block ×3, first 2 shown]
	v_mov_b32_e32 v8, s3
	v_mov_b32_e32 v7, s2
	;; [unrolled: 1-line block ×4, first 2 shown]
	v_add_lshl_u32 v4, v3, v0, 4
	v_lshlrev_b32_e32 v2, 4, v0
	ds_write_b128 v4, v[5:8]
	ds_write_b128 v4, v[5:8] offset:4096
	s_waitcnt lgkmcnt(0)
	s_barrier
	buffer_gl0_inv
	v_cmp_gt_i32_e64 s0, s26, v1
	v_cmp_gt_i32_e32 vcc_lo, s26, v0
	s_and_b32 s0, s0, vcc_lo
	s_and_saveexec_b32 s1, s0
	s_cbranch_execz .LBB134_3
; %bb.2:
	v_mad_u64_u32 v[5:6], null, s14, v1, 0
	s_mul_i32 s0, s17, s7
	s_mul_hi_u32 s3, s16, s7
	s_mul_i32 s2, s16, s7
	s_add_i32 s3, s3, s0
	v_lshl_add_u32 v9, v0, 8, v3
	s_lshl_b64 s[2:3], s[2:3], 4
	v_mad_u64_u32 v[6:7], null, s15, v1, v[6:7]
	s_add_u32 s0, s12, s2
	s_addc_u32 s2, s13, s3
	v_lshlrev_b64 v[5:6], 4, v[5:6]
	v_add_co_u32 v5, s0, s0, v5
	v_add_co_ci_u32_e64 v6, null, s2, v6, s0
	v_add_co_u32 v5, s0, v5, v2
	v_add_co_ci_u32_e64 v6, null, 0, v6, s0
	global_load_dwordx4 v[5:8], v[5:6], off
	s_waitcnt vmcnt(0)
	ds_write2_b64 v9, v[5:6], v[7:8] offset1:1
.LBB134_3:
	s_or_b32 exec_lo, exec_lo, s1
	s_add_i32 s0, s27, -1
	s_ashr_i32 s1, s0, 31
	s_lshr_b32 s1, s1, 28
	s_add_i32 s0, s0, s1
	s_and_b32 s1, s0, -16
	s_ashr_i32 s0, s0, 4
	s_sub_i32 s1, s27, s1
	s_cmp_ge_i32 s6, s0
	s_cselect_b32 s0, s1, 16
	s_lshl_b32 s1, s6, 4
	v_cmp_gt_i32_e64 s0, s0, v1
	s_ashr_i32 s2, s1, 31
	s_and_b32 s0, vcc_lo, s0
	s_and_saveexec_b32 s3, s0
	s_cbranch_execz .LBB134_5
; %bb.4:
	v_mad_u64_u32 v[5:6], null, s20, v1, 0
	s_mul_i32 s6, s23, s7
	s_mul_hi_u32 s13, s22, s7
	s_mul_i32 s12, s22, s7
	s_add_i32 s13, s13, s6
	s_mul_i32 s14, s20, s2
	s_lshl_b64 s[12:13], s[12:13], 4
	v_mad_u64_u32 v[6:7], null, s21, v1, v[6:7]
	s_mul_hi_u32 s6, s20, s1
	s_add_u32 s16, s18, s12
	s_mul_i32 s15, s21, s1
	s_addc_u32 s17, s19, s13
	s_add_i32 s6, s6, s14
	s_mul_i32 s12, s20, s1
	s_add_i32 s13, s6, s15
	v_lshlrev_b64 v[5:6], 4, v[5:6]
	s_lshl_b64 s[12:13], s[12:13], 4
	v_add_nc_u32_e32 v9, 0x1000, v4
	s_add_u32 s6, s16, s12
	s_addc_u32 s12, s17, s13
	v_add_co_u32 v5, vcc_lo, s6, v5
	v_add_co_ci_u32_e64 v6, null, s12, v6, vcc_lo
	v_add_co_u32 v5, vcc_lo, v5, v2
	v_add_co_ci_u32_e64 v6, null, 0, v6, vcc_lo
	global_load_dwordx4 v[5:8], v[5:6], off
	s_waitcnt vmcnt(0)
	ds_write2_b64 v9, v[5:6], v[7:8] offset1:1
.LBB134_5:
	s_or_b32 exec_lo, exec_lo, s3
	v_cmp_eq_u32_e32 vcc_lo, v1, v0
	s_cmpk_eq_i32 s25, 0x84
	s_cselect_b32 s3, -1, 0
	s_and_b32 s6, vcc_lo, s3
	s_and_saveexec_b32 s3, s6
	s_cbranch_execz .LBB134_7
; %bb.6:
	v_mov_b32_e32 v5, 0
	v_mov_b32_e32 v6, 0x3ff00000
	;; [unrolled: 1-line block ×4, first 2 shown]
	ds_write_b128 v4, v[5:8]
.LBB134_7:
	s_or_b32 exec_lo, exec_lo, s3
	s_cmpk_lg_i32 s24, 0x7a
	s_waitcnt lgkmcnt(0)
	s_barrier
	buffer_gl0_inv
	s_cbranch_scc0 .LBB134_9
; %bb.8:
	v_cmp_lt_u32_e32 vcc_lo, v0, v1
	s_and_b32 s3, vcc_lo, exec_lo
	s_cbranch_execz .LBB134_10
	s_branch .LBB134_11
.LBB134_9:
	s_mov_b32 s3, 0
.LBB134_10:
	v_cmp_gt_u32_e32 vcc_lo, v0, v1
	s_andn2_b32 s3, s3, exec_lo
	s_and_b32 s6, vcc_lo, exec_lo
	s_or_b32 s3, s3, s6
.LBB134_11:
	s_and_saveexec_b32 s6, s3
	s_cbranch_execz .LBB134_13
; %bb.12:
	v_mov_b32_e32 v5, 0
	v_mov_b32_e32 v6, v5
	;; [unrolled: 1-line block ×4, first 2 shown]
	ds_write_b128 v4, v[5:8]
.LBB134_13:
	s_or_b32 exec_lo, exec_lo, s6
	s_waitcnt lgkmcnt(0)
	s_barrier
	buffer_gl0_inv
	s_and_saveexec_b32 s3, s0
	s_cbranch_execz .LBB134_15
; %bb.14:
	v_lshlrev_b32_e32 v0, 4, v3
	ds_read_b128 v[3:6], v0 offset:4096
	ds_read_b128 v[7:10], v2
	ds_read_b128 v[11:14], v2 offset:256
	ds_read_b128 v[15:18], v0 offset:4112
	;; [unrolled: 1-line block ×4, first 2 shown]
	s_waitcnt lgkmcnt(4)
	v_mul_f64 v[27:28], v[3:4], v[9:10]
	v_mul_f64 v[9:10], v[5:6], v[9:10]
	s_waitcnt lgkmcnt(2)
	v_mul_f64 v[35:36], v[15:16], v[13:14]
	s_waitcnt lgkmcnt(0)
	v_mul_f64 v[37:38], v[23:24], v[21:22]
	v_mul_f64 v[13:14], v[17:18], v[13:14]
	;; [unrolled: 1-line block ×3, first 2 shown]
	v_fma_f64 v[5:6], v[5:6], v[7:8], v[27:28]
	ds_read_b128 v[27:30], v2 offset:768
	ds_read_b128 v[31:34], v0 offset:4144
	v_fma_f64 v[17:18], v[17:18], v[11:12], v[35:36]
	v_fma_f64 v[35:36], v[3:4], v[7:8], -v[9:10]
	v_fma_f64 v[25:26], v[25:26], v[19:20], v[37:38]
	v_fma_f64 v[37:38], v[15:16], v[11:12], -v[13:14]
	s_waitcnt lgkmcnt(0)
	v_mul_f64 v[41:42], v[31:32], v[29:30]
	v_add_f64 v[39:40], v[5:6], 0
	ds_read_b128 v[3:6], v2 offset:1024
	ds_read_b128 v[7:10], v0 offset:4160
	v_mul_f64 v[29:30], v[33:34], v[29:30]
	v_add_f64 v[35:36], v[35:36], 0
	s_waitcnt lgkmcnt(0)
	v_mul_f64 v[43:44], v[7:8], v[5:6]
	v_add_f64 v[39:40], v[39:40], v[17:18]
	v_fma_f64 v[33:34], v[33:34], v[27:28], v[41:42]
	v_fma_f64 v[41:42], v[23:24], v[19:20], -v[21:22]
	v_add_f64 v[35:36], v[35:36], v[37:38]
	ds_read_b128 v[11:14], v2 offset:1280
	ds_read_b128 v[15:18], v0 offset:4176
	v_mul_f64 v[5:6], v[9:10], v[5:6]
	v_fma_f64 v[9:10], v[9:10], v[3:4], v[43:44]
	v_add_f64 v[37:38], v[39:40], v[25:26]
	v_fma_f64 v[43:44], v[31:32], v[27:28], -v[29:30]
	s_waitcnt lgkmcnt(0)
	v_mul_f64 v[39:40], v[15:16], v[13:14]
	v_add_f64 v[35:36], v[35:36], v[41:42]
	ds_read_b128 v[19:22], v2 offset:1536
	ds_read_b128 v[23:26], v0 offset:4192
	v_mul_f64 v[13:14], v[17:18], v[13:14]
	v_add_f64 v[37:38], v[37:38], v[33:34]
	ds_read_b128 v[27:30], v2 offset:1792
	ds_read_b128 v[31:34], v0 offset:4208
	s_waitcnt lgkmcnt(2)
	v_mul_f64 v[41:42], v[23:24], v[21:22]
	v_fma_f64 v[17:18], v[17:18], v[11:12], v[39:40]
	v_fma_f64 v[39:40], v[7:8], v[3:4], -v[5:6]
	v_add_f64 v[35:36], v[35:36], v[43:44]
	v_mul_f64 v[21:22], v[25:26], v[21:22]
	s_waitcnt lgkmcnt(0)
	v_mul_f64 v[43:44], v[31:32], v[29:30]
	v_add_f64 v[37:38], v[37:38], v[9:10]
	ds_read_b128 v[3:6], v2 offset:2048
	ds_read_b128 v[7:10], v0 offset:4224
	v_fma_f64 v[25:26], v[25:26], v[19:20], v[41:42]
	v_fma_f64 v[41:42], v[15:16], v[11:12], -v[13:14]
	v_mul_f64 v[29:30], v[33:34], v[29:30]
	v_add_f64 v[35:36], v[35:36], v[39:40]
	s_waitcnt lgkmcnt(0)
	v_mul_f64 v[39:40], v[7:8], v[5:6]
	v_add_f64 v[37:38], v[37:38], v[17:18]
	v_fma_f64 v[33:34], v[33:34], v[27:28], v[43:44]
	v_fma_f64 v[43:44], v[23:24], v[19:20], -v[21:22]
	ds_read_b128 v[11:14], v2 offset:2304
	ds_read_b128 v[15:18], v0 offset:4240
	v_mul_f64 v[5:6], v[9:10], v[5:6]
	v_add_f64 v[35:36], v[35:36], v[41:42]
	v_fma_f64 v[9:10], v[9:10], v[3:4], v[39:40]
	v_add_f64 v[37:38], v[37:38], v[25:26]
	s_waitcnt lgkmcnt(0)
	v_mul_f64 v[41:42], v[15:16], v[13:14]
	v_fma_f64 v[39:40], v[31:32], v[27:28], -v[29:30]
	ds_read_b128 v[19:22], v2 offset:2560
	ds_read_b128 v[23:26], v0 offset:4256
	v_mul_f64 v[13:14], v[17:18], v[13:14]
	v_add_f64 v[35:36], v[35:36], v[43:44]
	v_add_f64 v[37:38], v[37:38], v[33:34]
	s_waitcnt lgkmcnt(0)
	v_mul_f64 v[43:44], v[23:24], v[21:22]
	v_fma_f64 v[17:18], v[17:18], v[11:12], v[41:42]
	v_fma_f64 v[41:42], v[7:8], v[3:4], -v[5:6]
	ds_read_b128 v[27:30], v2 offset:2816
	ds_read_b128 v[31:34], v0 offset:4272
	v_add_f64 v[35:36], v[35:36], v[39:40]
	v_mul_f64 v[21:22], v[25:26], v[21:22]
	v_add_f64 v[37:38], v[37:38], v[9:10]
	v_fma_f64 v[25:26], v[25:26], v[19:20], v[43:44]
	s_waitcnt lgkmcnt(0)
	v_mul_f64 v[39:40], v[31:32], v[29:30]
	v_fma_f64 v[43:44], v[15:16], v[11:12], -v[13:14]
	ds_read_b128 v[3:6], v2 offset:3072
	ds_read_b128 v[7:10], v0 offset:4288
	v_add_f64 v[35:36], v[35:36], v[41:42]
	v_mul_f64 v[29:30], v[33:34], v[29:30]
	v_add_f64 v[37:38], v[37:38], v[17:18]
	ds_read_b128 v[11:14], v2 offset:3328
	ds_read_b128 v[15:18], v0 offset:4304
	s_waitcnt lgkmcnt(2)
	v_mul_f64 v[41:42], v[7:8], v[5:6]
	v_fma_f64 v[33:34], v[33:34], v[27:28], v[39:40]
	v_fma_f64 v[39:40], v[23:24], v[19:20], -v[21:22]
	v_add_f64 v[35:36], v[35:36], v[43:44]
	v_mul_f64 v[5:6], v[9:10], v[5:6]
	s_waitcnt lgkmcnt(0)
	v_mul_f64 v[43:44], v[15:16], v[13:14]
	v_add_f64 v[37:38], v[37:38], v[25:26]
	ds_read_b128 v[19:22], v2 offset:3584
	ds_read_b128 v[23:26], v0 offset:4320
	v_fma_f64 v[9:10], v[9:10], v[3:4], v[41:42]
	v_fma_f64 v[41:42], v[31:32], v[27:28], -v[29:30]
	v_mul_f64 v[13:14], v[17:18], v[13:14]
	v_add_f64 v[35:36], v[35:36], v[39:40]
	v_fma_f64 v[3:4], v[7:8], v[3:4], -v[5:6]
	s_waitcnt lgkmcnt(0)
	v_mul_f64 v[39:40], v[23:24], v[21:22]
	v_add_f64 v[37:38], v[37:38], v[33:34]
	v_fma_f64 v[17:18], v[17:18], v[11:12], v[43:44]
	ds_read_b128 v[27:30], v2 offset:3840
	ds_read_b128 v[31:34], v0 offset:4336
	v_mul_f64 v[21:22], v[25:26], v[21:22]
	v_fma_f64 v[11:12], v[15:16], v[11:12], -v[13:14]
	v_add_f64 v[5:6], v[35:36], v[41:42]
	s_clause 0x1
	s_load_dwordx4 s[12:15], s[4:5], 0x50
	s_load_dwordx2 s[4:5], s[4:5], 0x60
	v_fma_f64 v[25:26], v[25:26], v[19:20], v[39:40]
	v_add_f64 v[7:8], v[37:38], v[9:10]
	s_waitcnt lgkmcnt(0)
	v_mul_f64 v[9:10], v[31:32], v[29:30]
	v_fma_f64 v[13:14], v[23:24], v[19:20], -v[21:22]
	s_mul_i32 s0, s5, s7
	v_add_f64 v[3:4], v[5:6], v[3:4]
	s_mul_hi_u32 s3, s4, s7
	s_mul_i32 s4, s4, s7
	s_add_i32 s5, s3, s0
	s_mul_i32 s6, s14, s2
	s_lshl_b64 s[2:3], s[4:5], 4
	s_mul_hi_u32 s0, s14, s1
	s_add_u32 s5, s12, s2
	s_mul_i32 s4, s15, s1
	s_addc_u32 s7, s13, s3
	s_add_i32 s0, s0, s6
	s_mul_i32 s2, s14, s1
	s_add_i32 s3, s0, s4
	s_lshl_b64 s[0:1], s[2:3], 4
	s_add_u32 s0, s5, s0
	v_add_f64 v[5:6], v[7:8], v[17:18]
	v_mul_f64 v[7:8], v[33:34], v[29:30]
	v_fma_f64 v[9:10], v[33:34], v[27:28], v[9:10]
	s_addc_u32 s1, s7, s1
	v_add_f64 v[3:4], v[3:4], v[11:12]
	v_add_f64 v[5:6], v[5:6], v[25:26]
	v_fma_f64 v[7:8], v[31:32], v[27:28], -v[7:8]
	v_add_f64 v[3:4], v[3:4], v[13:14]
	v_add_f64 v[5:6], v[5:6], v[9:10]
	v_mad_u64_u32 v[9:10], null, s14, v1, 0
	v_add_f64 v[3:4], v[3:4], v[7:8]
	v_mov_b32_e32 v0, v10
	v_mad_u64_u32 v[0:1], null, s15, v1, v[0:1]
	v_mov_b32_e32 v10, v0
	v_mul_f64 v[7:8], s[8:9], v[5:6]
	v_mul_f64 v[11:12], s[10:11], v[5:6]
	v_lshlrev_b64 v[0:1], 4, v[9:10]
	v_add_co_u32 v0, vcc_lo, s0, v0
	v_add_co_ci_u32_e64 v1, null, s1, v1, vcc_lo
	v_add_co_u32 v0, vcc_lo, v0, v2
	v_add_co_ci_u32_e64 v1, null, 0, v1, vcc_lo
	v_fma_f64 v[5:6], s[10:11], v[3:4], v[7:8]
	v_fma_f64 v[3:4], s[8:9], v[3:4], -v[11:12]
	global_store_dwordx4 v[0:1], v[3:6], off
.LBB134_15:
	s_endpgm
	.section	.rodata,"a",@progbits
	.p2align	6, 0x0
	.amdhsa_kernel _ZL23rocblas_trmm_lTx_kernelILi16ELb0E19rocblas_complex_numIdEPKS1_S2_S1_Ev13rocblas_fill_17rocblas_diagonal_iiT2_lPT3_llS8_llPT4_lli
		.amdhsa_group_segment_fixed_size 8192
		.amdhsa_private_segment_fixed_size 0
		.amdhsa_kernarg_size 108
		.amdhsa_user_sgpr_count 6
		.amdhsa_user_sgpr_private_segment_buffer 1
		.amdhsa_user_sgpr_dispatch_ptr 0
		.amdhsa_user_sgpr_queue_ptr 0
		.amdhsa_user_sgpr_kernarg_segment_ptr 1
		.amdhsa_user_sgpr_dispatch_id 0
		.amdhsa_user_sgpr_flat_scratch_init 0
		.amdhsa_user_sgpr_private_segment_size 0
		.amdhsa_wavefront_size32 1
		.amdhsa_uses_dynamic_stack 0
		.amdhsa_system_sgpr_private_segment_wavefront_offset 0
		.amdhsa_system_sgpr_workgroup_id_x 1
		.amdhsa_system_sgpr_workgroup_id_y 0
		.amdhsa_system_sgpr_workgroup_id_z 1
		.amdhsa_system_sgpr_workgroup_info 0
		.amdhsa_system_vgpr_workitem_id 1
		.amdhsa_next_free_vgpr 45
		.amdhsa_next_free_sgpr 28
		.amdhsa_reserve_vcc 1
		.amdhsa_reserve_flat_scratch 0
		.amdhsa_float_round_mode_32 0
		.amdhsa_float_round_mode_16_64 0
		.amdhsa_float_denorm_mode_32 3
		.amdhsa_float_denorm_mode_16_64 3
		.amdhsa_dx10_clamp 1
		.amdhsa_ieee_mode 1
		.amdhsa_fp16_overflow 0
		.amdhsa_workgroup_processor_mode 1
		.amdhsa_memory_ordered 1
		.amdhsa_forward_progress 1
		.amdhsa_shared_vgpr_count 0
		.amdhsa_exception_fp_ieee_invalid_op 0
		.amdhsa_exception_fp_denorm_src 0
		.amdhsa_exception_fp_ieee_div_zero 0
		.amdhsa_exception_fp_ieee_overflow 0
		.amdhsa_exception_fp_ieee_underflow 0
		.amdhsa_exception_fp_ieee_inexact 0
		.amdhsa_exception_int_div_zero 0
	.end_amdhsa_kernel
	.section	.text._ZL23rocblas_trmm_lTx_kernelILi16ELb0E19rocblas_complex_numIdEPKS1_S2_S1_Ev13rocblas_fill_17rocblas_diagonal_iiT2_lPT3_llS8_llPT4_lli,"axG",@progbits,_ZL23rocblas_trmm_lTx_kernelILi16ELb0E19rocblas_complex_numIdEPKS1_S2_S1_Ev13rocblas_fill_17rocblas_diagonal_iiT2_lPT3_llS8_llPT4_lli,comdat
.Lfunc_end134:
	.size	_ZL23rocblas_trmm_lTx_kernelILi16ELb0E19rocblas_complex_numIdEPKS1_S2_S1_Ev13rocblas_fill_17rocblas_diagonal_iiT2_lPT3_llS8_llPT4_lli, .Lfunc_end134-_ZL23rocblas_trmm_lTx_kernelILi16ELb0E19rocblas_complex_numIdEPKS1_S2_S1_Ev13rocblas_fill_17rocblas_diagonal_iiT2_lPT3_llS8_llPT4_lli
                                        ; -- End function
	.set _ZL23rocblas_trmm_lTx_kernelILi16ELb0E19rocblas_complex_numIdEPKS1_S2_S1_Ev13rocblas_fill_17rocblas_diagonal_iiT2_lPT3_llS8_llPT4_lli.num_vgpr, 45
	.set _ZL23rocblas_trmm_lTx_kernelILi16ELb0E19rocblas_complex_numIdEPKS1_S2_S1_Ev13rocblas_fill_17rocblas_diagonal_iiT2_lPT3_llS8_llPT4_lli.num_agpr, 0
	.set _ZL23rocblas_trmm_lTx_kernelILi16ELb0E19rocblas_complex_numIdEPKS1_S2_S1_Ev13rocblas_fill_17rocblas_diagonal_iiT2_lPT3_llS8_llPT4_lli.numbered_sgpr, 28
	.set _ZL23rocblas_trmm_lTx_kernelILi16ELb0E19rocblas_complex_numIdEPKS1_S2_S1_Ev13rocblas_fill_17rocblas_diagonal_iiT2_lPT3_llS8_llPT4_lli.num_named_barrier, 0
	.set _ZL23rocblas_trmm_lTx_kernelILi16ELb0E19rocblas_complex_numIdEPKS1_S2_S1_Ev13rocblas_fill_17rocblas_diagonal_iiT2_lPT3_llS8_llPT4_lli.private_seg_size, 0
	.set _ZL23rocblas_trmm_lTx_kernelILi16ELb0E19rocblas_complex_numIdEPKS1_S2_S1_Ev13rocblas_fill_17rocblas_diagonal_iiT2_lPT3_llS8_llPT4_lli.uses_vcc, 1
	.set _ZL23rocblas_trmm_lTx_kernelILi16ELb0E19rocblas_complex_numIdEPKS1_S2_S1_Ev13rocblas_fill_17rocblas_diagonal_iiT2_lPT3_llS8_llPT4_lli.uses_flat_scratch, 0
	.set _ZL23rocblas_trmm_lTx_kernelILi16ELb0E19rocblas_complex_numIdEPKS1_S2_S1_Ev13rocblas_fill_17rocblas_diagonal_iiT2_lPT3_llS8_llPT4_lli.has_dyn_sized_stack, 0
	.set _ZL23rocblas_trmm_lTx_kernelILi16ELb0E19rocblas_complex_numIdEPKS1_S2_S1_Ev13rocblas_fill_17rocblas_diagonal_iiT2_lPT3_llS8_llPT4_lli.has_recursion, 0
	.set _ZL23rocblas_trmm_lTx_kernelILi16ELb0E19rocblas_complex_numIdEPKS1_S2_S1_Ev13rocblas_fill_17rocblas_diagonal_iiT2_lPT3_llS8_llPT4_lli.has_indirect_call, 0
	.section	.AMDGPU.csdata,"",@progbits
; Kernel info:
; codeLenInByte = 1984
; TotalNumSgprs: 30
; NumVgprs: 45
; ScratchSize: 0
; MemoryBound: 0
; FloatMode: 240
; IeeeMode: 1
; LDSByteSize: 8192 bytes/workgroup (compile time only)
; SGPRBlocks: 0
; VGPRBlocks: 5
; NumSGPRsForWavesPerEU: 30
; NumVGPRsForWavesPerEU: 45
; Occupancy: 16
; WaveLimiterHint : 0
; COMPUTE_PGM_RSRC2:SCRATCH_EN: 0
; COMPUTE_PGM_RSRC2:USER_SGPR: 6
; COMPUTE_PGM_RSRC2:TRAP_HANDLER: 0
; COMPUTE_PGM_RSRC2:TGID_X_EN: 1
; COMPUTE_PGM_RSRC2:TGID_Y_EN: 0
; COMPUTE_PGM_RSRC2:TGID_Z_EN: 1
; COMPUTE_PGM_RSRC2:TIDIG_COMP_CNT: 1
	.section	.text._ZL23rocblas_trmm_lTx_kernelILi16ELb0E19rocblas_complex_numIdES1_KS1_S1_Ev13rocblas_fill_17rocblas_diagonal_iiT2_lPT3_llS7_llPT4_lli,"axG",@progbits,_ZL23rocblas_trmm_lTx_kernelILi16ELb0E19rocblas_complex_numIdES1_KS1_S1_Ev13rocblas_fill_17rocblas_diagonal_iiT2_lPT3_llS7_llPT4_lli,comdat
	.globl	_ZL23rocblas_trmm_lTx_kernelILi16ELb0E19rocblas_complex_numIdES1_KS1_S1_Ev13rocblas_fill_17rocblas_diagonal_iiT2_lPT3_llS7_llPT4_lli ; -- Begin function _ZL23rocblas_trmm_lTx_kernelILi16ELb0E19rocblas_complex_numIdES1_KS1_S1_Ev13rocblas_fill_17rocblas_diagonal_iiT2_lPT3_llS7_llPT4_lli
	.p2align	8
	.type	_ZL23rocblas_trmm_lTx_kernelILi16ELb0E19rocblas_complex_numIdES1_KS1_S1_Ev13rocblas_fill_17rocblas_diagonal_iiT2_lPT3_llS7_llPT4_lli,@function
_ZL23rocblas_trmm_lTx_kernelILi16ELb0E19rocblas_complex_numIdES1_KS1_S1_Ev13rocblas_fill_17rocblas_diagonal_iiT2_lPT3_llS7_llPT4_lli: ; @_ZL23rocblas_trmm_lTx_kernelILi16ELb0E19rocblas_complex_numIdES1_KS1_S1_Ev13rocblas_fill_17rocblas_diagonal_iiT2_lPT3_llS7_llPT4_lli
; %bb.0:
	s_load_dwordx4 s[24:27], s[4:5], 0x10
	s_waitcnt lgkmcnt(0)
	v_cmp_neq_f64_e64 s0, s[24:25], 0
	v_cmp_neq_f64_e64 s1, s[26:27], 0
	s_or_b32 s0, s0, s1
	s_andn2_b32 vcc_lo, exec_lo, s0
	s_cbranch_vccnz .LBB135_15
; %bb.1:
	s_clause 0x1
	s_load_dwordx4 s[28:31], s[4:5], 0x0
	s_load_dwordx16 s[8:23], s[4:5], 0x28
	s_mov_b32 s0, 0
	v_lshlrev_b32_e32 v3, 4, v1
	s_mov_b32 s3, s0
	s_mov_b32 s1, s0
	;; [unrolled: 1-line block ×3, first 2 shown]
	v_mov_b32_e32 v8, s3
	v_mov_b32_e32 v7, s2
	;; [unrolled: 1-line block ×4, first 2 shown]
	v_add_lshl_u32 v4, v3, v0, 4
	v_lshlrev_b32_e32 v2, 4, v0
	ds_write_b128 v4, v[5:8]
	ds_write_b128 v4, v[5:8] offset:4096
	s_waitcnt lgkmcnt(0)
	s_barrier
	v_cmp_gt_i32_e64 s0, s30, v1
	v_cmp_gt_i32_e32 vcc_lo, s30, v0
	buffer_gl0_inv
	s_and_b32 s0, s0, vcc_lo
	s_and_saveexec_b32 s1, s0
	s_cbranch_execz .LBB135_3
; %bb.2:
	v_mad_u64_u32 v[5:6], null, s10, v1, 0
	s_mul_i32 s0, s13, s7
	s_mul_hi_u32 s3, s12, s7
	s_mul_i32 s2, s12, s7
	s_add_i32 s3, s3, s0
	v_lshl_add_u32 v9, v0, 8, v3
	s_lshl_b64 s[2:3], s[2:3], 4
	v_mad_u64_u32 v[6:7], null, s11, v1, v[6:7]
	s_add_u32 s0, s8, s2
	s_addc_u32 s2, s9, s3
	v_lshlrev_b64 v[5:6], 4, v[5:6]
	v_add_co_u32 v5, s0, s0, v5
	v_add_co_ci_u32_e64 v6, null, s2, v6, s0
	v_add_co_u32 v5, s0, v5, v2
	v_add_co_ci_u32_e64 v6, null, 0, v6, s0
	global_load_dwordx4 v[5:8], v[5:6], off
	s_waitcnt vmcnt(0)
	ds_write2_b64 v9, v[5:6], v[7:8] offset1:1
.LBB135_3:
	s_or_b32 exec_lo, exec_lo, s1
	s_add_i32 s0, s31, -1
	s_ashr_i32 s1, s0, 31
	s_lshr_b32 s1, s1, 28
	s_add_i32 s0, s0, s1
	s_and_b32 s1, s0, -16
	s_ashr_i32 s0, s0, 4
	s_sub_i32 s1, s31, s1
	s_cmp_ge_i32 s6, s0
	s_cselect_b32 s0, s1, 16
	s_lshl_b32 s1, s6, 4
	v_cmp_gt_i32_e64 s0, s0, v1
	s_ashr_i32 s2, s1, 31
	s_and_b32 s0, vcc_lo, s0
	s_and_saveexec_b32 s3, s0
	s_cbranch_execz .LBB135_5
; %bb.4:
	v_mad_u64_u32 v[5:6], null, s16, v1, 0
	s_mul_i32 s6, s19, s7
	s_mul_hi_u32 s9, s18, s7
	s_mul_i32 s8, s18, s7
	s_add_i32 s9, s9, s6
	s_mul_i32 s10, s16, s2
	s_lshl_b64 s[8:9], s[8:9], 4
	v_mad_u64_u32 v[6:7], null, s17, v1, v[6:7]
	s_mul_hi_u32 s6, s16, s1
	s_add_u32 s12, s14, s8
	s_mul_i32 s11, s17, s1
	s_addc_u32 s13, s15, s9
	s_add_i32 s6, s6, s10
	s_mul_i32 s8, s16, s1
	s_add_i32 s9, s6, s11
	v_lshlrev_b64 v[5:6], 4, v[5:6]
	s_lshl_b64 s[8:9], s[8:9], 4
	v_add_nc_u32_e32 v9, 0x1000, v4
	s_add_u32 s6, s12, s8
	s_addc_u32 s8, s13, s9
	v_add_co_u32 v5, vcc_lo, s6, v5
	v_add_co_ci_u32_e64 v6, null, s8, v6, vcc_lo
	v_add_co_u32 v5, vcc_lo, v5, v2
	v_add_co_ci_u32_e64 v6, null, 0, v6, vcc_lo
	global_load_dwordx4 v[5:8], v[5:6], off
	s_waitcnt vmcnt(0)
	ds_write2_b64 v9, v[5:6], v[7:8] offset1:1
.LBB135_5:
	s_or_b32 exec_lo, exec_lo, s3
	v_cmp_eq_u32_e32 vcc_lo, v1, v0
	s_cmpk_eq_i32 s29, 0x84
	s_cselect_b32 s3, -1, 0
	s_and_b32 s6, vcc_lo, s3
	s_and_saveexec_b32 s3, s6
	s_cbranch_execz .LBB135_7
; %bb.6:
	v_mov_b32_e32 v5, 0
	v_mov_b32_e32 v6, 0x3ff00000
	;; [unrolled: 1-line block ×4, first 2 shown]
	ds_write_b128 v4, v[5:8]
.LBB135_7:
	s_or_b32 exec_lo, exec_lo, s3
	s_cmpk_lg_i32 s28, 0x7a
	s_waitcnt lgkmcnt(0)
	s_barrier
	buffer_gl0_inv
	s_cbranch_scc0 .LBB135_9
; %bb.8:
	v_cmp_lt_u32_e32 vcc_lo, v0, v1
	s_and_b32 s3, vcc_lo, exec_lo
	s_cbranch_execz .LBB135_10
	s_branch .LBB135_11
.LBB135_9:
	s_mov_b32 s3, 0
.LBB135_10:
	v_cmp_gt_u32_e32 vcc_lo, v0, v1
	s_andn2_b32 s3, s3, exec_lo
	s_and_b32 s6, vcc_lo, exec_lo
	s_or_b32 s3, s3, s6
.LBB135_11:
	s_and_saveexec_b32 s6, s3
	s_cbranch_execz .LBB135_13
; %bb.12:
	v_mov_b32_e32 v5, 0
	v_mov_b32_e32 v6, v5
	;; [unrolled: 1-line block ×4, first 2 shown]
	ds_write_b128 v4, v[5:8]
.LBB135_13:
	s_or_b32 exec_lo, exec_lo, s6
	s_waitcnt lgkmcnt(0)
	s_barrier
	buffer_gl0_inv
	s_and_saveexec_b32 s3, s0
	s_cbranch_execz .LBB135_15
; %bb.14:
	v_lshlrev_b32_e32 v0, 4, v3
	s_load_dwordx2 s[4:5], s[4:5], 0x68
	s_mul_i32 s0, s22, s2
	s_mul_hi_u32 s6, s22, s1
	ds_read_b128 v[3:6], v0 offset:4096
	ds_read_b128 v[7:10], v2
	ds_read_b128 v[11:14], v2 offset:256
	ds_read_b128 v[15:18], v0 offset:4112
	;; [unrolled: 1-line block ×4, first 2 shown]
	s_waitcnt lgkmcnt(0)
	s_mul_i32 s3, s5, s7
	s_mul_hi_u32 s5, s4, s7
	v_mul_f64 v[27:28], v[3:4], v[9:10]
	v_mul_f64 v[9:10], v[5:6], v[9:10]
	;; [unrolled: 1-line block ×6, first 2 shown]
	s_mul_i32 s2, s4, s7
	s_add_i32 s3, s5, s3
	s_mul_i32 s4, s23, s1
	s_lshl_b64 s[2:3], s[2:3], 4
	s_add_u32 s5, s20, s2
	s_addc_u32 s7, s21, s3
	s_add_i32 s0, s6, s0
	s_mul_i32 s2, s22, s1
	s_add_i32 s3, s0, s4
	s_lshl_b64 s[0:1], s[2:3], 4
	s_add_u32 s0, s5, s0
	s_addc_u32 s1, s7, s1
	v_fma_f64 v[5:6], v[5:6], v[7:8], v[27:28]
	ds_read_b128 v[27:30], v2 offset:768
	ds_read_b128 v[31:34], v0 offset:4144
	v_fma_f64 v[17:18], v[17:18], v[11:12], v[35:36]
	v_fma_f64 v[35:36], v[3:4], v[7:8], -v[9:10]
	v_fma_f64 v[25:26], v[25:26], v[19:20], v[37:38]
	v_fma_f64 v[37:38], v[15:16], v[11:12], -v[13:14]
	s_waitcnt lgkmcnt(0)
	v_mul_f64 v[41:42], v[31:32], v[29:30]
	v_add_f64 v[39:40], v[5:6], 0
	ds_read_b128 v[3:6], v2 offset:1024
	ds_read_b128 v[7:10], v0 offset:4160
	v_mul_f64 v[29:30], v[33:34], v[29:30]
	v_add_f64 v[35:36], v[35:36], 0
	s_waitcnt lgkmcnt(0)
	v_mul_f64 v[43:44], v[7:8], v[5:6]
	v_add_f64 v[39:40], v[39:40], v[17:18]
	v_fma_f64 v[33:34], v[33:34], v[27:28], v[41:42]
	v_fma_f64 v[41:42], v[23:24], v[19:20], -v[21:22]
	v_add_f64 v[35:36], v[35:36], v[37:38]
	ds_read_b128 v[11:14], v2 offset:1280
	ds_read_b128 v[15:18], v0 offset:4176
	v_mul_f64 v[5:6], v[9:10], v[5:6]
	v_fma_f64 v[9:10], v[9:10], v[3:4], v[43:44]
	v_add_f64 v[37:38], v[39:40], v[25:26]
	v_fma_f64 v[43:44], v[31:32], v[27:28], -v[29:30]
	s_waitcnt lgkmcnt(0)
	v_mul_f64 v[39:40], v[15:16], v[13:14]
	v_add_f64 v[35:36], v[35:36], v[41:42]
	ds_read_b128 v[19:22], v2 offset:1536
	ds_read_b128 v[23:26], v0 offset:4192
	v_mul_f64 v[13:14], v[17:18], v[13:14]
	v_add_f64 v[37:38], v[37:38], v[33:34]
	ds_read_b128 v[27:30], v2 offset:1792
	ds_read_b128 v[31:34], v0 offset:4208
	s_waitcnt lgkmcnt(2)
	v_mul_f64 v[41:42], v[23:24], v[21:22]
	v_fma_f64 v[17:18], v[17:18], v[11:12], v[39:40]
	v_fma_f64 v[39:40], v[7:8], v[3:4], -v[5:6]
	v_add_f64 v[35:36], v[35:36], v[43:44]
	v_mul_f64 v[21:22], v[25:26], v[21:22]
	s_waitcnt lgkmcnt(0)
	v_mul_f64 v[43:44], v[31:32], v[29:30]
	v_add_f64 v[37:38], v[37:38], v[9:10]
	ds_read_b128 v[3:6], v2 offset:2048
	ds_read_b128 v[7:10], v0 offset:4224
	v_fma_f64 v[25:26], v[25:26], v[19:20], v[41:42]
	v_fma_f64 v[41:42], v[15:16], v[11:12], -v[13:14]
	v_mul_f64 v[29:30], v[33:34], v[29:30]
	v_add_f64 v[35:36], v[35:36], v[39:40]
	s_waitcnt lgkmcnt(0)
	v_mul_f64 v[39:40], v[7:8], v[5:6]
	v_add_f64 v[37:38], v[37:38], v[17:18]
	v_fma_f64 v[33:34], v[33:34], v[27:28], v[43:44]
	v_fma_f64 v[43:44], v[23:24], v[19:20], -v[21:22]
	ds_read_b128 v[11:14], v2 offset:2304
	ds_read_b128 v[15:18], v0 offset:4240
	v_mul_f64 v[5:6], v[9:10], v[5:6]
	v_add_f64 v[35:36], v[35:36], v[41:42]
	v_fma_f64 v[9:10], v[9:10], v[3:4], v[39:40]
	v_add_f64 v[37:38], v[37:38], v[25:26]
	s_waitcnt lgkmcnt(0)
	v_mul_f64 v[41:42], v[15:16], v[13:14]
	v_fma_f64 v[39:40], v[31:32], v[27:28], -v[29:30]
	ds_read_b128 v[19:22], v2 offset:2560
	ds_read_b128 v[23:26], v0 offset:4256
	v_mul_f64 v[13:14], v[17:18], v[13:14]
	v_add_f64 v[35:36], v[35:36], v[43:44]
	v_add_f64 v[37:38], v[37:38], v[33:34]
	s_waitcnt lgkmcnt(0)
	v_mul_f64 v[43:44], v[23:24], v[21:22]
	v_fma_f64 v[17:18], v[17:18], v[11:12], v[41:42]
	v_fma_f64 v[41:42], v[7:8], v[3:4], -v[5:6]
	ds_read_b128 v[27:30], v2 offset:2816
	ds_read_b128 v[31:34], v0 offset:4272
	v_add_f64 v[35:36], v[35:36], v[39:40]
	v_mul_f64 v[21:22], v[25:26], v[21:22]
	v_add_f64 v[37:38], v[37:38], v[9:10]
	v_fma_f64 v[25:26], v[25:26], v[19:20], v[43:44]
	s_waitcnt lgkmcnt(0)
	v_mul_f64 v[39:40], v[31:32], v[29:30]
	v_fma_f64 v[43:44], v[15:16], v[11:12], -v[13:14]
	ds_read_b128 v[3:6], v2 offset:3072
	ds_read_b128 v[7:10], v0 offset:4288
	v_add_f64 v[35:36], v[35:36], v[41:42]
	v_mul_f64 v[29:30], v[33:34], v[29:30]
	v_add_f64 v[37:38], v[37:38], v[17:18]
	ds_read_b128 v[11:14], v2 offset:3328
	ds_read_b128 v[15:18], v0 offset:4304
	s_waitcnt lgkmcnt(2)
	v_mul_f64 v[41:42], v[7:8], v[5:6]
	v_fma_f64 v[33:34], v[33:34], v[27:28], v[39:40]
	v_fma_f64 v[39:40], v[23:24], v[19:20], -v[21:22]
	v_add_f64 v[35:36], v[35:36], v[43:44]
	v_mul_f64 v[5:6], v[9:10], v[5:6]
	s_waitcnt lgkmcnt(0)
	v_mul_f64 v[43:44], v[15:16], v[13:14]
	v_add_f64 v[37:38], v[37:38], v[25:26]
	ds_read_b128 v[19:22], v2 offset:3584
	ds_read_b128 v[23:26], v0 offset:4320
	v_fma_f64 v[9:10], v[9:10], v[3:4], v[41:42]
	v_fma_f64 v[41:42], v[31:32], v[27:28], -v[29:30]
	v_mul_f64 v[13:14], v[17:18], v[13:14]
	v_add_f64 v[35:36], v[35:36], v[39:40]
	v_fma_f64 v[3:4], v[7:8], v[3:4], -v[5:6]
	s_waitcnt lgkmcnt(0)
	v_mul_f64 v[39:40], v[23:24], v[21:22]
	v_add_f64 v[37:38], v[37:38], v[33:34]
	v_fma_f64 v[17:18], v[17:18], v[11:12], v[43:44]
	ds_read_b128 v[27:30], v2 offset:3840
	ds_read_b128 v[31:34], v0 offset:4336
	v_mul_f64 v[21:22], v[25:26], v[21:22]
	v_fma_f64 v[11:12], v[15:16], v[11:12], -v[13:14]
	v_add_f64 v[5:6], v[35:36], v[41:42]
	v_fma_f64 v[25:26], v[25:26], v[19:20], v[39:40]
	v_add_f64 v[7:8], v[37:38], v[9:10]
	s_waitcnt lgkmcnt(0)
	v_mul_f64 v[9:10], v[31:32], v[29:30]
	v_fma_f64 v[13:14], v[23:24], v[19:20], -v[21:22]
	v_add_f64 v[3:4], v[5:6], v[3:4]
	v_add_f64 v[5:6], v[7:8], v[17:18]
	v_mul_f64 v[7:8], v[33:34], v[29:30]
	v_fma_f64 v[9:10], v[33:34], v[27:28], v[9:10]
	v_add_f64 v[3:4], v[3:4], v[11:12]
	v_add_f64 v[5:6], v[5:6], v[25:26]
	v_fma_f64 v[7:8], v[31:32], v[27:28], -v[7:8]
	v_add_f64 v[3:4], v[3:4], v[13:14]
	v_add_f64 v[5:6], v[5:6], v[9:10]
	v_mad_u64_u32 v[9:10], null, s22, v1, 0
	v_add_f64 v[3:4], v[3:4], v[7:8]
	v_mov_b32_e32 v0, v10
	v_mad_u64_u32 v[0:1], null, s23, v1, v[0:1]
	v_mov_b32_e32 v10, v0
	v_mul_f64 v[7:8], s[24:25], v[5:6]
	v_mul_f64 v[11:12], s[26:27], v[5:6]
	v_lshlrev_b64 v[0:1], 4, v[9:10]
	v_add_co_u32 v0, vcc_lo, s0, v0
	v_add_co_ci_u32_e64 v1, null, s1, v1, vcc_lo
	v_add_co_u32 v0, vcc_lo, v0, v2
	v_add_co_ci_u32_e64 v1, null, 0, v1, vcc_lo
	v_fma_f64 v[5:6], s[26:27], v[3:4], v[7:8]
	v_fma_f64 v[3:4], s[24:25], v[3:4], -v[11:12]
	global_store_dwordx4 v[0:1], v[3:6], off
.LBB135_15:
	s_endpgm
	.section	.rodata,"a",@progbits
	.p2align	6, 0x0
	.amdhsa_kernel _ZL23rocblas_trmm_lTx_kernelILi16ELb0E19rocblas_complex_numIdES1_KS1_S1_Ev13rocblas_fill_17rocblas_diagonal_iiT2_lPT3_llS7_llPT4_lli
		.amdhsa_group_segment_fixed_size 8192
		.amdhsa_private_segment_fixed_size 0
		.amdhsa_kernarg_size 116
		.amdhsa_user_sgpr_count 6
		.amdhsa_user_sgpr_private_segment_buffer 1
		.amdhsa_user_sgpr_dispatch_ptr 0
		.amdhsa_user_sgpr_queue_ptr 0
		.amdhsa_user_sgpr_kernarg_segment_ptr 1
		.amdhsa_user_sgpr_dispatch_id 0
		.amdhsa_user_sgpr_flat_scratch_init 0
		.amdhsa_user_sgpr_private_segment_size 0
		.amdhsa_wavefront_size32 1
		.amdhsa_uses_dynamic_stack 0
		.amdhsa_system_sgpr_private_segment_wavefront_offset 0
		.amdhsa_system_sgpr_workgroup_id_x 1
		.amdhsa_system_sgpr_workgroup_id_y 0
		.amdhsa_system_sgpr_workgroup_id_z 1
		.amdhsa_system_sgpr_workgroup_info 0
		.amdhsa_system_vgpr_workitem_id 1
		.amdhsa_next_free_vgpr 45
		.amdhsa_next_free_sgpr 32
		.amdhsa_reserve_vcc 1
		.amdhsa_reserve_flat_scratch 0
		.amdhsa_float_round_mode_32 0
		.amdhsa_float_round_mode_16_64 0
		.amdhsa_float_denorm_mode_32 3
		.amdhsa_float_denorm_mode_16_64 3
		.amdhsa_dx10_clamp 1
		.amdhsa_ieee_mode 1
		.amdhsa_fp16_overflow 0
		.amdhsa_workgroup_processor_mode 1
		.amdhsa_memory_ordered 1
		.amdhsa_forward_progress 1
		.amdhsa_shared_vgpr_count 0
		.amdhsa_exception_fp_ieee_invalid_op 0
		.amdhsa_exception_fp_denorm_src 0
		.amdhsa_exception_fp_ieee_div_zero 0
		.amdhsa_exception_fp_ieee_overflow 0
		.amdhsa_exception_fp_ieee_underflow 0
		.amdhsa_exception_fp_ieee_inexact 0
		.amdhsa_exception_int_div_zero 0
	.end_amdhsa_kernel
	.section	.text._ZL23rocblas_trmm_lTx_kernelILi16ELb0E19rocblas_complex_numIdES1_KS1_S1_Ev13rocblas_fill_17rocblas_diagonal_iiT2_lPT3_llS7_llPT4_lli,"axG",@progbits,_ZL23rocblas_trmm_lTx_kernelILi16ELb0E19rocblas_complex_numIdES1_KS1_S1_Ev13rocblas_fill_17rocblas_diagonal_iiT2_lPT3_llS7_llPT4_lli,comdat
.Lfunc_end135:
	.size	_ZL23rocblas_trmm_lTx_kernelILi16ELb0E19rocblas_complex_numIdES1_KS1_S1_Ev13rocblas_fill_17rocblas_diagonal_iiT2_lPT3_llS7_llPT4_lli, .Lfunc_end135-_ZL23rocblas_trmm_lTx_kernelILi16ELb0E19rocblas_complex_numIdES1_KS1_S1_Ev13rocblas_fill_17rocblas_diagonal_iiT2_lPT3_llS7_llPT4_lli
                                        ; -- End function
	.set _ZL23rocblas_trmm_lTx_kernelILi16ELb0E19rocblas_complex_numIdES1_KS1_S1_Ev13rocblas_fill_17rocblas_diagonal_iiT2_lPT3_llS7_llPT4_lli.num_vgpr, 45
	.set _ZL23rocblas_trmm_lTx_kernelILi16ELb0E19rocblas_complex_numIdES1_KS1_S1_Ev13rocblas_fill_17rocblas_diagonal_iiT2_lPT3_llS7_llPT4_lli.num_agpr, 0
	.set _ZL23rocblas_trmm_lTx_kernelILi16ELb0E19rocblas_complex_numIdES1_KS1_S1_Ev13rocblas_fill_17rocblas_diagonal_iiT2_lPT3_llS7_llPT4_lli.numbered_sgpr, 32
	.set _ZL23rocblas_trmm_lTx_kernelILi16ELb0E19rocblas_complex_numIdES1_KS1_S1_Ev13rocblas_fill_17rocblas_diagonal_iiT2_lPT3_llS7_llPT4_lli.num_named_barrier, 0
	.set _ZL23rocblas_trmm_lTx_kernelILi16ELb0E19rocblas_complex_numIdES1_KS1_S1_Ev13rocblas_fill_17rocblas_diagonal_iiT2_lPT3_llS7_llPT4_lli.private_seg_size, 0
	.set _ZL23rocblas_trmm_lTx_kernelILi16ELb0E19rocblas_complex_numIdES1_KS1_S1_Ev13rocblas_fill_17rocblas_diagonal_iiT2_lPT3_llS7_llPT4_lli.uses_vcc, 1
	.set _ZL23rocblas_trmm_lTx_kernelILi16ELb0E19rocblas_complex_numIdES1_KS1_S1_Ev13rocblas_fill_17rocblas_diagonal_iiT2_lPT3_llS7_llPT4_lli.uses_flat_scratch, 0
	.set _ZL23rocblas_trmm_lTx_kernelILi16ELb0E19rocblas_complex_numIdES1_KS1_S1_Ev13rocblas_fill_17rocblas_diagonal_iiT2_lPT3_llS7_llPT4_lli.has_dyn_sized_stack, 0
	.set _ZL23rocblas_trmm_lTx_kernelILi16ELb0E19rocblas_complex_numIdES1_KS1_S1_Ev13rocblas_fill_17rocblas_diagonal_iiT2_lPT3_llS7_llPT4_lli.has_recursion, 0
	.set _ZL23rocblas_trmm_lTx_kernelILi16ELb0E19rocblas_complex_numIdES1_KS1_S1_Ev13rocblas_fill_17rocblas_diagonal_iiT2_lPT3_llS7_llPT4_lli.has_indirect_call, 0
	.section	.AMDGPU.csdata,"",@progbits
; Kernel info:
; codeLenInByte = 1936
; TotalNumSgprs: 34
; NumVgprs: 45
; ScratchSize: 0
; MemoryBound: 0
; FloatMode: 240
; IeeeMode: 1
; LDSByteSize: 8192 bytes/workgroup (compile time only)
; SGPRBlocks: 0
; VGPRBlocks: 5
; NumSGPRsForWavesPerEU: 34
; NumVGPRsForWavesPerEU: 45
; Occupancy: 16
; WaveLimiterHint : 0
; COMPUTE_PGM_RSRC2:SCRATCH_EN: 0
; COMPUTE_PGM_RSRC2:USER_SGPR: 6
; COMPUTE_PGM_RSRC2:TRAP_HANDLER: 0
; COMPUTE_PGM_RSRC2:TGID_X_EN: 1
; COMPUTE_PGM_RSRC2:TGID_Y_EN: 0
; COMPUTE_PGM_RSRC2:TGID_Z_EN: 1
; COMPUTE_PGM_RSRC2:TIDIG_COMP_CNT: 1
	.section	.text._ZL23rocblas_trmm_lTx_kernelILi16ELb1E19rocblas_complex_numIdEPKS1_S2_S1_Ev13rocblas_fill_17rocblas_diagonal_iiT2_lPT3_llS8_llPT4_lli,"axG",@progbits,_ZL23rocblas_trmm_lTx_kernelILi16ELb1E19rocblas_complex_numIdEPKS1_S2_S1_Ev13rocblas_fill_17rocblas_diagonal_iiT2_lPT3_llS8_llPT4_lli,comdat
	.globl	_ZL23rocblas_trmm_lTx_kernelILi16ELb1E19rocblas_complex_numIdEPKS1_S2_S1_Ev13rocblas_fill_17rocblas_diagonal_iiT2_lPT3_llS8_llPT4_lli ; -- Begin function _ZL23rocblas_trmm_lTx_kernelILi16ELb1E19rocblas_complex_numIdEPKS1_S2_S1_Ev13rocblas_fill_17rocblas_diagonal_iiT2_lPT3_llS8_llPT4_lli
	.p2align	8
	.type	_ZL23rocblas_trmm_lTx_kernelILi16ELb1E19rocblas_complex_numIdEPKS1_S2_S1_Ev13rocblas_fill_17rocblas_diagonal_iiT2_lPT3_llS8_llPT4_lli,@function
_ZL23rocblas_trmm_lTx_kernelILi16ELb1E19rocblas_complex_numIdEPKS1_S2_S1_Ev13rocblas_fill_17rocblas_diagonal_iiT2_lPT3_llS8_llPT4_lli: ; @_ZL23rocblas_trmm_lTx_kernelILi16ELb1E19rocblas_complex_numIdEPKS1_S2_S1_Ev13rocblas_fill_17rocblas_diagonal_iiT2_lPT3_llS8_llPT4_lli
; %bb.0:
	s_load_dwordx16 s[8:23], s[4:5], 0x10
	s_waitcnt lgkmcnt(0)
	s_mul_i32 s1, s11, s7
	s_mul_hi_u32 s2, s10, s7
	s_mul_i32 s0, s10, s7
	s_add_i32 s1, s2, s1
	s_lshl_b64 s[0:1], s[0:1], 4
	s_add_u32 s0, s8, s0
	s_addc_u32 s1, s9, s1
	s_load_dwordx4 s[8:11], s[0:1], 0x0
	s_waitcnt lgkmcnt(0)
	v_cmp_neq_f64_e64 s0, s[8:9], 0
	v_cmp_neq_f64_e64 s1, s[10:11], 0
	s_or_b32 s0, s0, s1
	s_andn2_b32 vcc_lo, exec_lo, s0
	s_cbranch_vccnz .LBB136_15
; %bb.1:
	s_load_dwordx4 s[24:27], s[4:5], 0x0
	s_mov_b32 s0, 0
	v_lshlrev_b32_e32 v3, 4, v1
	s_mov_b32 s3, s0
	s_mov_b32 s1, s0
	;; [unrolled: 1-line block ×3, first 2 shown]
	v_mov_b32_e32 v8, s3
	v_mov_b32_e32 v7, s2
	;; [unrolled: 1-line block ×4, first 2 shown]
	v_add_lshl_u32 v4, v3, v0, 4
	v_lshlrev_b32_e32 v2, 4, v0
	ds_write_b128 v4, v[5:8]
	ds_write_b128 v4, v[5:8] offset:4096
	s_waitcnt lgkmcnt(0)
	s_barrier
	buffer_gl0_inv
	v_cmp_gt_i32_e64 s0, s26, v1
	v_cmp_gt_i32_e32 vcc_lo, s26, v0
	s_and_b32 s0, s0, vcc_lo
	s_and_saveexec_b32 s1, s0
	s_cbranch_execz .LBB136_3
; %bb.2:
	v_mad_u64_u32 v[5:6], null, s14, v1, 0
	s_mul_i32 s0, s17, s7
	s_mul_hi_u32 s3, s16, s7
	s_mul_i32 s2, s16, s7
	s_add_i32 s3, s3, s0
	v_lshl_add_u32 v9, v0, 8, v3
	s_lshl_b64 s[2:3], s[2:3], 4
	v_mad_u64_u32 v[6:7], null, s15, v1, v[6:7]
	s_add_u32 s0, s12, s2
	s_addc_u32 s2, s13, s3
	v_lshlrev_b64 v[5:6], 4, v[5:6]
	v_add_co_u32 v5, s0, s0, v5
	v_add_co_ci_u32_e64 v6, null, s2, v6, s0
	v_add_co_u32 v5, s0, v5, v2
	v_add_co_ci_u32_e64 v6, null, 0, v6, s0
	global_load_dwordx4 v[5:8], v[5:6], off
	s_waitcnt vmcnt(0)
	v_xor_b32_e32 v8, 0x80000000, v8
	ds_write_b128 v9, v[5:8]
.LBB136_3:
	s_or_b32 exec_lo, exec_lo, s1
	s_add_i32 s0, s27, -1
	s_ashr_i32 s1, s0, 31
	s_lshr_b32 s1, s1, 28
	s_add_i32 s0, s0, s1
	s_and_b32 s1, s0, -16
	s_ashr_i32 s0, s0, 4
	s_sub_i32 s1, s27, s1
	s_cmp_ge_i32 s6, s0
	s_cselect_b32 s0, s1, 16
	s_lshl_b32 s1, s6, 4
	v_cmp_gt_i32_e64 s0, s0, v1
	s_ashr_i32 s2, s1, 31
	s_and_b32 s0, vcc_lo, s0
	s_and_saveexec_b32 s3, s0
	s_cbranch_execz .LBB136_5
; %bb.4:
	v_mad_u64_u32 v[5:6], null, s20, v1, 0
	s_mul_i32 s6, s23, s7
	s_mul_hi_u32 s13, s22, s7
	s_mul_i32 s12, s22, s7
	s_add_i32 s13, s13, s6
	s_mul_i32 s14, s20, s2
	s_lshl_b64 s[12:13], s[12:13], 4
	v_mad_u64_u32 v[6:7], null, s21, v1, v[6:7]
	s_mul_hi_u32 s6, s20, s1
	s_add_u32 s16, s18, s12
	s_mul_i32 s15, s21, s1
	s_addc_u32 s17, s19, s13
	s_add_i32 s6, s6, s14
	s_mul_i32 s12, s20, s1
	s_add_i32 s13, s6, s15
	v_lshlrev_b64 v[5:6], 4, v[5:6]
	s_lshl_b64 s[12:13], s[12:13], 4
	v_add_nc_u32_e32 v9, 0x1000, v4
	s_add_u32 s6, s16, s12
	s_addc_u32 s12, s17, s13
	v_add_co_u32 v5, vcc_lo, s6, v5
	v_add_co_ci_u32_e64 v6, null, s12, v6, vcc_lo
	v_add_co_u32 v5, vcc_lo, v5, v2
	v_add_co_ci_u32_e64 v6, null, 0, v6, vcc_lo
	global_load_dwordx4 v[5:8], v[5:6], off
	s_waitcnt vmcnt(0)
	ds_write2_b64 v9, v[5:6], v[7:8] offset1:1
.LBB136_5:
	s_or_b32 exec_lo, exec_lo, s3
	v_cmp_eq_u32_e32 vcc_lo, v1, v0
	s_cmpk_eq_i32 s25, 0x84
	s_cselect_b32 s3, -1, 0
	s_and_b32 s6, vcc_lo, s3
	s_and_saveexec_b32 s3, s6
	s_cbranch_execz .LBB136_7
; %bb.6:
	v_mov_b32_e32 v5, 0
	v_mov_b32_e32 v6, 0x3ff00000
	v_mov_b32_e32 v7, v5
	v_mov_b32_e32 v8, v5
	ds_write_b128 v4, v[5:8]
.LBB136_7:
	s_or_b32 exec_lo, exec_lo, s3
	s_cmpk_lg_i32 s24, 0x7a
	s_waitcnt lgkmcnt(0)
	s_barrier
	buffer_gl0_inv
	s_cbranch_scc0 .LBB136_9
; %bb.8:
	v_cmp_lt_u32_e32 vcc_lo, v0, v1
	s_and_b32 s3, vcc_lo, exec_lo
	s_cbranch_execz .LBB136_10
	s_branch .LBB136_11
.LBB136_9:
	s_mov_b32 s3, 0
.LBB136_10:
	v_cmp_gt_u32_e32 vcc_lo, v0, v1
	s_andn2_b32 s3, s3, exec_lo
	s_and_b32 s6, vcc_lo, exec_lo
	s_or_b32 s3, s3, s6
.LBB136_11:
	s_and_saveexec_b32 s6, s3
	s_cbranch_execz .LBB136_13
; %bb.12:
	v_mov_b32_e32 v5, 0
	v_mov_b32_e32 v6, v5
	;; [unrolled: 1-line block ×4, first 2 shown]
	ds_write_b128 v4, v[5:8]
.LBB136_13:
	s_or_b32 exec_lo, exec_lo, s6
	s_waitcnt lgkmcnt(0)
	s_barrier
	buffer_gl0_inv
	s_and_saveexec_b32 s3, s0
	s_cbranch_execz .LBB136_15
; %bb.14:
	v_lshlrev_b32_e32 v0, 4, v3
	ds_read_b128 v[3:6], v0 offset:4096
	ds_read_b128 v[7:10], v2
	ds_read_b128 v[11:14], v2 offset:256
	ds_read_b128 v[15:18], v0 offset:4112
	;; [unrolled: 1-line block ×4, first 2 shown]
	s_waitcnt lgkmcnt(4)
	v_mul_f64 v[27:28], v[3:4], v[9:10]
	v_mul_f64 v[9:10], v[5:6], v[9:10]
	s_waitcnt lgkmcnt(2)
	v_mul_f64 v[35:36], v[15:16], v[13:14]
	s_waitcnt lgkmcnt(0)
	v_mul_f64 v[37:38], v[23:24], v[21:22]
	v_mul_f64 v[13:14], v[17:18], v[13:14]
	;; [unrolled: 1-line block ×3, first 2 shown]
	v_fma_f64 v[5:6], v[5:6], v[7:8], v[27:28]
	ds_read_b128 v[27:30], v2 offset:768
	ds_read_b128 v[31:34], v0 offset:4144
	v_fma_f64 v[17:18], v[17:18], v[11:12], v[35:36]
	v_fma_f64 v[35:36], v[3:4], v[7:8], -v[9:10]
	v_fma_f64 v[25:26], v[25:26], v[19:20], v[37:38]
	v_fma_f64 v[37:38], v[15:16], v[11:12], -v[13:14]
	s_waitcnt lgkmcnt(0)
	v_mul_f64 v[41:42], v[31:32], v[29:30]
	v_add_f64 v[39:40], v[5:6], 0
	ds_read_b128 v[3:6], v2 offset:1024
	ds_read_b128 v[7:10], v0 offset:4160
	v_mul_f64 v[29:30], v[33:34], v[29:30]
	v_add_f64 v[35:36], v[35:36], 0
	s_waitcnt lgkmcnt(0)
	v_mul_f64 v[43:44], v[7:8], v[5:6]
	v_add_f64 v[39:40], v[39:40], v[17:18]
	v_fma_f64 v[33:34], v[33:34], v[27:28], v[41:42]
	v_fma_f64 v[41:42], v[23:24], v[19:20], -v[21:22]
	v_add_f64 v[35:36], v[35:36], v[37:38]
	ds_read_b128 v[11:14], v2 offset:1280
	ds_read_b128 v[15:18], v0 offset:4176
	v_mul_f64 v[5:6], v[9:10], v[5:6]
	v_fma_f64 v[9:10], v[9:10], v[3:4], v[43:44]
	v_add_f64 v[37:38], v[39:40], v[25:26]
	v_fma_f64 v[43:44], v[31:32], v[27:28], -v[29:30]
	s_waitcnt lgkmcnt(0)
	v_mul_f64 v[39:40], v[15:16], v[13:14]
	v_add_f64 v[35:36], v[35:36], v[41:42]
	ds_read_b128 v[19:22], v2 offset:1536
	ds_read_b128 v[23:26], v0 offset:4192
	v_mul_f64 v[13:14], v[17:18], v[13:14]
	v_add_f64 v[37:38], v[37:38], v[33:34]
	ds_read_b128 v[27:30], v2 offset:1792
	ds_read_b128 v[31:34], v0 offset:4208
	s_waitcnt lgkmcnt(2)
	v_mul_f64 v[41:42], v[23:24], v[21:22]
	v_fma_f64 v[17:18], v[17:18], v[11:12], v[39:40]
	v_fma_f64 v[39:40], v[7:8], v[3:4], -v[5:6]
	v_add_f64 v[35:36], v[35:36], v[43:44]
	v_mul_f64 v[21:22], v[25:26], v[21:22]
	s_waitcnt lgkmcnt(0)
	v_mul_f64 v[43:44], v[31:32], v[29:30]
	v_add_f64 v[37:38], v[37:38], v[9:10]
	ds_read_b128 v[3:6], v2 offset:2048
	ds_read_b128 v[7:10], v0 offset:4224
	v_fma_f64 v[25:26], v[25:26], v[19:20], v[41:42]
	v_fma_f64 v[41:42], v[15:16], v[11:12], -v[13:14]
	v_mul_f64 v[29:30], v[33:34], v[29:30]
	v_add_f64 v[35:36], v[35:36], v[39:40]
	s_waitcnt lgkmcnt(0)
	v_mul_f64 v[39:40], v[7:8], v[5:6]
	v_add_f64 v[37:38], v[37:38], v[17:18]
	v_fma_f64 v[33:34], v[33:34], v[27:28], v[43:44]
	v_fma_f64 v[43:44], v[23:24], v[19:20], -v[21:22]
	ds_read_b128 v[11:14], v2 offset:2304
	ds_read_b128 v[15:18], v0 offset:4240
	v_mul_f64 v[5:6], v[9:10], v[5:6]
	v_add_f64 v[35:36], v[35:36], v[41:42]
	v_fma_f64 v[9:10], v[9:10], v[3:4], v[39:40]
	v_add_f64 v[37:38], v[37:38], v[25:26]
	s_waitcnt lgkmcnt(0)
	v_mul_f64 v[41:42], v[15:16], v[13:14]
	v_fma_f64 v[39:40], v[31:32], v[27:28], -v[29:30]
	ds_read_b128 v[19:22], v2 offset:2560
	ds_read_b128 v[23:26], v0 offset:4256
	v_mul_f64 v[13:14], v[17:18], v[13:14]
	v_add_f64 v[35:36], v[35:36], v[43:44]
	v_add_f64 v[37:38], v[37:38], v[33:34]
	s_waitcnt lgkmcnt(0)
	v_mul_f64 v[43:44], v[23:24], v[21:22]
	v_fma_f64 v[17:18], v[17:18], v[11:12], v[41:42]
	v_fma_f64 v[41:42], v[7:8], v[3:4], -v[5:6]
	ds_read_b128 v[27:30], v2 offset:2816
	ds_read_b128 v[31:34], v0 offset:4272
	v_add_f64 v[35:36], v[35:36], v[39:40]
	v_mul_f64 v[21:22], v[25:26], v[21:22]
	v_add_f64 v[37:38], v[37:38], v[9:10]
	v_fma_f64 v[25:26], v[25:26], v[19:20], v[43:44]
	s_waitcnt lgkmcnt(0)
	v_mul_f64 v[39:40], v[31:32], v[29:30]
	v_fma_f64 v[43:44], v[15:16], v[11:12], -v[13:14]
	ds_read_b128 v[3:6], v2 offset:3072
	ds_read_b128 v[7:10], v0 offset:4288
	v_add_f64 v[35:36], v[35:36], v[41:42]
	v_mul_f64 v[29:30], v[33:34], v[29:30]
	v_add_f64 v[37:38], v[37:38], v[17:18]
	ds_read_b128 v[11:14], v2 offset:3328
	ds_read_b128 v[15:18], v0 offset:4304
	s_waitcnt lgkmcnt(2)
	v_mul_f64 v[41:42], v[7:8], v[5:6]
	v_fma_f64 v[33:34], v[33:34], v[27:28], v[39:40]
	v_fma_f64 v[39:40], v[23:24], v[19:20], -v[21:22]
	v_add_f64 v[35:36], v[35:36], v[43:44]
	v_mul_f64 v[5:6], v[9:10], v[5:6]
	s_waitcnt lgkmcnt(0)
	v_mul_f64 v[43:44], v[15:16], v[13:14]
	v_add_f64 v[37:38], v[37:38], v[25:26]
	ds_read_b128 v[19:22], v2 offset:3584
	ds_read_b128 v[23:26], v0 offset:4320
	v_fma_f64 v[9:10], v[9:10], v[3:4], v[41:42]
	v_fma_f64 v[41:42], v[31:32], v[27:28], -v[29:30]
	v_mul_f64 v[13:14], v[17:18], v[13:14]
	v_add_f64 v[35:36], v[35:36], v[39:40]
	v_fma_f64 v[3:4], v[7:8], v[3:4], -v[5:6]
	s_waitcnt lgkmcnt(0)
	v_mul_f64 v[39:40], v[23:24], v[21:22]
	v_add_f64 v[37:38], v[37:38], v[33:34]
	v_fma_f64 v[17:18], v[17:18], v[11:12], v[43:44]
	ds_read_b128 v[27:30], v2 offset:3840
	ds_read_b128 v[31:34], v0 offset:4336
	v_mul_f64 v[21:22], v[25:26], v[21:22]
	v_fma_f64 v[11:12], v[15:16], v[11:12], -v[13:14]
	v_add_f64 v[5:6], v[35:36], v[41:42]
	s_clause 0x1
	s_load_dwordx4 s[12:15], s[4:5], 0x50
	s_load_dwordx2 s[4:5], s[4:5], 0x60
	v_fma_f64 v[25:26], v[25:26], v[19:20], v[39:40]
	v_add_f64 v[7:8], v[37:38], v[9:10]
	s_waitcnt lgkmcnt(0)
	v_mul_f64 v[9:10], v[31:32], v[29:30]
	v_fma_f64 v[13:14], v[23:24], v[19:20], -v[21:22]
	s_mul_i32 s0, s5, s7
	v_add_f64 v[3:4], v[5:6], v[3:4]
	s_mul_hi_u32 s3, s4, s7
	s_mul_i32 s4, s4, s7
	s_add_i32 s5, s3, s0
	s_mul_i32 s6, s14, s2
	s_lshl_b64 s[2:3], s[4:5], 4
	s_mul_hi_u32 s0, s14, s1
	s_add_u32 s5, s12, s2
	s_mul_i32 s4, s15, s1
	s_addc_u32 s7, s13, s3
	s_add_i32 s0, s0, s6
	s_mul_i32 s2, s14, s1
	s_add_i32 s3, s0, s4
	s_lshl_b64 s[0:1], s[2:3], 4
	s_add_u32 s0, s5, s0
	v_add_f64 v[5:6], v[7:8], v[17:18]
	v_mul_f64 v[7:8], v[33:34], v[29:30]
	v_fma_f64 v[9:10], v[33:34], v[27:28], v[9:10]
	s_addc_u32 s1, s7, s1
	v_add_f64 v[3:4], v[3:4], v[11:12]
	v_add_f64 v[5:6], v[5:6], v[25:26]
	v_fma_f64 v[7:8], v[31:32], v[27:28], -v[7:8]
	v_add_f64 v[3:4], v[3:4], v[13:14]
	v_add_f64 v[5:6], v[5:6], v[9:10]
	v_mad_u64_u32 v[9:10], null, s14, v1, 0
	v_add_f64 v[3:4], v[3:4], v[7:8]
	v_mov_b32_e32 v0, v10
	v_mad_u64_u32 v[0:1], null, s15, v1, v[0:1]
	v_mov_b32_e32 v10, v0
	v_mul_f64 v[7:8], s[8:9], v[5:6]
	v_mul_f64 v[11:12], s[10:11], v[5:6]
	v_lshlrev_b64 v[0:1], 4, v[9:10]
	v_add_co_u32 v0, vcc_lo, s0, v0
	v_add_co_ci_u32_e64 v1, null, s1, v1, vcc_lo
	v_add_co_u32 v0, vcc_lo, v0, v2
	v_add_co_ci_u32_e64 v1, null, 0, v1, vcc_lo
	v_fma_f64 v[5:6], s[10:11], v[3:4], v[7:8]
	v_fma_f64 v[3:4], s[8:9], v[3:4], -v[11:12]
	global_store_dwordx4 v[0:1], v[3:6], off
.LBB136_15:
	s_endpgm
	.section	.rodata,"a",@progbits
	.p2align	6, 0x0
	.amdhsa_kernel _ZL23rocblas_trmm_lTx_kernelILi16ELb1E19rocblas_complex_numIdEPKS1_S2_S1_Ev13rocblas_fill_17rocblas_diagonal_iiT2_lPT3_llS8_llPT4_lli
		.amdhsa_group_segment_fixed_size 8192
		.amdhsa_private_segment_fixed_size 0
		.amdhsa_kernarg_size 108
		.amdhsa_user_sgpr_count 6
		.amdhsa_user_sgpr_private_segment_buffer 1
		.amdhsa_user_sgpr_dispatch_ptr 0
		.amdhsa_user_sgpr_queue_ptr 0
		.amdhsa_user_sgpr_kernarg_segment_ptr 1
		.amdhsa_user_sgpr_dispatch_id 0
		.amdhsa_user_sgpr_flat_scratch_init 0
		.amdhsa_user_sgpr_private_segment_size 0
		.amdhsa_wavefront_size32 1
		.amdhsa_uses_dynamic_stack 0
		.amdhsa_system_sgpr_private_segment_wavefront_offset 0
		.amdhsa_system_sgpr_workgroup_id_x 1
		.amdhsa_system_sgpr_workgroup_id_y 0
		.amdhsa_system_sgpr_workgroup_id_z 1
		.amdhsa_system_sgpr_workgroup_info 0
		.amdhsa_system_vgpr_workitem_id 1
		.amdhsa_next_free_vgpr 45
		.amdhsa_next_free_sgpr 28
		.amdhsa_reserve_vcc 1
		.amdhsa_reserve_flat_scratch 0
		.amdhsa_float_round_mode_32 0
		.amdhsa_float_round_mode_16_64 0
		.amdhsa_float_denorm_mode_32 3
		.amdhsa_float_denorm_mode_16_64 3
		.amdhsa_dx10_clamp 1
		.amdhsa_ieee_mode 1
		.amdhsa_fp16_overflow 0
		.amdhsa_workgroup_processor_mode 1
		.amdhsa_memory_ordered 1
		.amdhsa_forward_progress 1
		.amdhsa_shared_vgpr_count 0
		.amdhsa_exception_fp_ieee_invalid_op 0
		.amdhsa_exception_fp_denorm_src 0
		.amdhsa_exception_fp_ieee_div_zero 0
		.amdhsa_exception_fp_ieee_overflow 0
		.amdhsa_exception_fp_ieee_underflow 0
		.amdhsa_exception_fp_ieee_inexact 0
		.amdhsa_exception_int_div_zero 0
	.end_amdhsa_kernel
	.section	.text._ZL23rocblas_trmm_lTx_kernelILi16ELb1E19rocblas_complex_numIdEPKS1_S2_S1_Ev13rocblas_fill_17rocblas_diagonal_iiT2_lPT3_llS8_llPT4_lli,"axG",@progbits,_ZL23rocblas_trmm_lTx_kernelILi16ELb1E19rocblas_complex_numIdEPKS1_S2_S1_Ev13rocblas_fill_17rocblas_diagonal_iiT2_lPT3_llS8_llPT4_lli,comdat
.Lfunc_end136:
	.size	_ZL23rocblas_trmm_lTx_kernelILi16ELb1E19rocblas_complex_numIdEPKS1_S2_S1_Ev13rocblas_fill_17rocblas_diagonal_iiT2_lPT3_llS8_llPT4_lli, .Lfunc_end136-_ZL23rocblas_trmm_lTx_kernelILi16ELb1E19rocblas_complex_numIdEPKS1_S2_S1_Ev13rocblas_fill_17rocblas_diagonal_iiT2_lPT3_llS8_llPT4_lli
                                        ; -- End function
	.set _ZL23rocblas_trmm_lTx_kernelILi16ELb1E19rocblas_complex_numIdEPKS1_S2_S1_Ev13rocblas_fill_17rocblas_diagonal_iiT2_lPT3_llS8_llPT4_lli.num_vgpr, 45
	.set _ZL23rocblas_trmm_lTx_kernelILi16ELb1E19rocblas_complex_numIdEPKS1_S2_S1_Ev13rocblas_fill_17rocblas_diagonal_iiT2_lPT3_llS8_llPT4_lli.num_agpr, 0
	.set _ZL23rocblas_trmm_lTx_kernelILi16ELb1E19rocblas_complex_numIdEPKS1_S2_S1_Ev13rocblas_fill_17rocblas_diagonal_iiT2_lPT3_llS8_llPT4_lli.numbered_sgpr, 28
	.set _ZL23rocblas_trmm_lTx_kernelILi16ELb1E19rocblas_complex_numIdEPKS1_S2_S1_Ev13rocblas_fill_17rocblas_diagonal_iiT2_lPT3_llS8_llPT4_lli.num_named_barrier, 0
	.set _ZL23rocblas_trmm_lTx_kernelILi16ELb1E19rocblas_complex_numIdEPKS1_S2_S1_Ev13rocblas_fill_17rocblas_diagonal_iiT2_lPT3_llS8_llPT4_lli.private_seg_size, 0
	.set _ZL23rocblas_trmm_lTx_kernelILi16ELb1E19rocblas_complex_numIdEPKS1_S2_S1_Ev13rocblas_fill_17rocblas_diagonal_iiT2_lPT3_llS8_llPT4_lli.uses_vcc, 1
	.set _ZL23rocblas_trmm_lTx_kernelILi16ELb1E19rocblas_complex_numIdEPKS1_S2_S1_Ev13rocblas_fill_17rocblas_diagonal_iiT2_lPT3_llS8_llPT4_lli.uses_flat_scratch, 0
	.set _ZL23rocblas_trmm_lTx_kernelILi16ELb1E19rocblas_complex_numIdEPKS1_S2_S1_Ev13rocblas_fill_17rocblas_diagonal_iiT2_lPT3_llS8_llPT4_lli.has_dyn_sized_stack, 0
	.set _ZL23rocblas_trmm_lTx_kernelILi16ELb1E19rocblas_complex_numIdEPKS1_S2_S1_Ev13rocblas_fill_17rocblas_diagonal_iiT2_lPT3_llS8_llPT4_lli.has_recursion, 0
	.set _ZL23rocblas_trmm_lTx_kernelILi16ELb1E19rocblas_complex_numIdEPKS1_S2_S1_Ev13rocblas_fill_17rocblas_diagonal_iiT2_lPT3_llS8_llPT4_lli.has_indirect_call, 0
	.section	.AMDGPU.csdata,"",@progbits
; Kernel info:
; codeLenInByte = 1992
; TotalNumSgprs: 30
; NumVgprs: 45
; ScratchSize: 0
; MemoryBound: 0
; FloatMode: 240
; IeeeMode: 1
; LDSByteSize: 8192 bytes/workgroup (compile time only)
; SGPRBlocks: 0
; VGPRBlocks: 5
; NumSGPRsForWavesPerEU: 30
; NumVGPRsForWavesPerEU: 45
; Occupancy: 16
; WaveLimiterHint : 0
; COMPUTE_PGM_RSRC2:SCRATCH_EN: 0
; COMPUTE_PGM_RSRC2:USER_SGPR: 6
; COMPUTE_PGM_RSRC2:TRAP_HANDLER: 0
; COMPUTE_PGM_RSRC2:TGID_X_EN: 1
; COMPUTE_PGM_RSRC2:TGID_Y_EN: 0
; COMPUTE_PGM_RSRC2:TGID_Z_EN: 1
; COMPUTE_PGM_RSRC2:TIDIG_COMP_CNT: 1
	.section	.text._ZL23rocblas_trmm_lTx_kernelILi16ELb1E19rocblas_complex_numIdES1_KS1_S1_Ev13rocblas_fill_17rocblas_diagonal_iiT2_lPT3_llS7_llPT4_lli,"axG",@progbits,_ZL23rocblas_trmm_lTx_kernelILi16ELb1E19rocblas_complex_numIdES1_KS1_S1_Ev13rocblas_fill_17rocblas_diagonal_iiT2_lPT3_llS7_llPT4_lli,comdat
	.globl	_ZL23rocblas_trmm_lTx_kernelILi16ELb1E19rocblas_complex_numIdES1_KS1_S1_Ev13rocblas_fill_17rocblas_diagonal_iiT2_lPT3_llS7_llPT4_lli ; -- Begin function _ZL23rocblas_trmm_lTx_kernelILi16ELb1E19rocblas_complex_numIdES1_KS1_S1_Ev13rocblas_fill_17rocblas_diagonal_iiT2_lPT3_llS7_llPT4_lli
	.p2align	8
	.type	_ZL23rocblas_trmm_lTx_kernelILi16ELb1E19rocblas_complex_numIdES1_KS1_S1_Ev13rocblas_fill_17rocblas_diagonal_iiT2_lPT3_llS7_llPT4_lli,@function
_ZL23rocblas_trmm_lTx_kernelILi16ELb1E19rocblas_complex_numIdES1_KS1_S1_Ev13rocblas_fill_17rocblas_diagonal_iiT2_lPT3_llS7_llPT4_lli: ; @_ZL23rocblas_trmm_lTx_kernelILi16ELb1E19rocblas_complex_numIdES1_KS1_S1_Ev13rocblas_fill_17rocblas_diagonal_iiT2_lPT3_llS7_llPT4_lli
; %bb.0:
	s_load_dwordx4 s[24:27], s[4:5], 0x10
	s_waitcnt lgkmcnt(0)
	v_cmp_neq_f64_e64 s0, s[24:25], 0
	v_cmp_neq_f64_e64 s1, s[26:27], 0
	s_or_b32 s0, s0, s1
	s_andn2_b32 vcc_lo, exec_lo, s0
	s_cbranch_vccnz .LBB137_15
; %bb.1:
	s_clause 0x1
	s_load_dwordx4 s[28:31], s[4:5], 0x0
	s_load_dwordx16 s[8:23], s[4:5], 0x28
	s_mov_b32 s0, 0
	v_lshlrev_b32_e32 v3, 4, v1
	s_mov_b32 s3, s0
	s_mov_b32 s1, s0
	;; [unrolled: 1-line block ×3, first 2 shown]
	v_mov_b32_e32 v8, s3
	v_mov_b32_e32 v7, s2
	;; [unrolled: 1-line block ×4, first 2 shown]
	v_add_lshl_u32 v4, v3, v0, 4
	v_lshlrev_b32_e32 v2, 4, v0
	ds_write_b128 v4, v[5:8]
	ds_write_b128 v4, v[5:8] offset:4096
	s_waitcnt lgkmcnt(0)
	s_barrier
	v_cmp_gt_i32_e64 s0, s30, v1
	v_cmp_gt_i32_e32 vcc_lo, s30, v0
	buffer_gl0_inv
	s_and_b32 s0, s0, vcc_lo
	s_and_saveexec_b32 s1, s0
	s_cbranch_execz .LBB137_3
; %bb.2:
	v_mad_u64_u32 v[5:6], null, s10, v1, 0
	s_mul_i32 s0, s13, s7
	s_mul_hi_u32 s3, s12, s7
	s_mul_i32 s2, s12, s7
	s_add_i32 s3, s3, s0
	v_lshl_add_u32 v9, v0, 8, v3
	s_lshl_b64 s[2:3], s[2:3], 4
	v_mad_u64_u32 v[6:7], null, s11, v1, v[6:7]
	s_add_u32 s0, s8, s2
	s_addc_u32 s2, s9, s3
	v_lshlrev_b64 v[5:6], 4, v[5:6]
	v_add_co_u32 v5, s0, s0, v5
	v_add_co_ci_u32_e64 v6, null, s2, v6, s0
	v_add_co_u32 v5, s0, v5, v2
	v_add_co_ci_u32_e64 v6, null, 0, v6, s0
	global_load_dwordx4 v[5:8], v[5:6], off
	s_waitcnt vmcnt(0)
	v_xor_b32_e32 v8, 0x80000000, v8
	ds_write_b128 v9, v[5:8]
.LBB137_3:
	s_or_b32 exec_lo, exec_lo, s1
	s_add_i32 s0, s31, -1
	s_ashr_i32 s1, s0, 31
	s_lshr_b32 s1, s1, 28
	s_add_i32 s0, s0, s1
	s_and_b32 s1, s0, -16
	s_ashr_i32 s0, s0, 4
	s_sub_i32 s1, s31, s1
	s_cmp_ge_i32 s6, s0
	s_cselect_b32 s0, s1, 16
	s_lshl_b32 s1, s6, 4
	v_cmp_gt_i32_e64 s0, s0, v1
	s_ashr_i32 s2, s1, 31
	s_and_b32 s0, vcc_lo, s0
	s_and_saveexec_b32 s3, s0
	s_cbranch_execz .LBB137_5
; %bb.4:
	v_mad_u64_u32 v[5:6], null, s16, v1, 0
	s_mul_i32 s6, s19, s7
	s_mul_hi_u32 s9, s18, s7
	s_mul_i32 s8, s18, s7
	s_add_i32 s9, s9, s6
	s_mul_i32 s10, s16, s2
	s_lshl_b64 s[8:9], s[8:9], 4
	v_mad_u64_u32 v[6:7], null, s17, v1, v[6:7]
	s_mul_hi_u32 s6, s16, s1
	s_add_u32 s12, s14, s8
	s_mul_i32 s11, s17, s1
	s_addc_u32 s13, s15, s9
	s_add_i32 s6, s6, s10
	s_mul_i32 s8, s16, s1
	s_add_i32 s9, s6, s11
	v_lshlrev_b64 v[5:6], 4, v[5:6]
	s_lshl_b64 s[8:9], s[8:9], 4
	v_add_nc_u32_e32 v9, 0x1000, v4
	s_add_u32 s6, s12, s8
	s_addc_u32 s8, s13, s9
	v_add_co_u32 v5, vcc_lo, s6, v5
	v_add_co_ci_u32_e64 v6, null, s8, v6, vcc_lo
	v_add_co_u32 v5, vcc_lo, v5, v2
	v_add_co_ci_u32_e64 v6, null, 0, v6, vcc_lo
	global_load_dwordx4 v[5:8], v[5:6], off
	s_waitcnt vmcnt(0)
	ds_write2_b64 v9, v[5:6], v[7:8] offset1:1
.LBB137_5:
	s_or_b32 exec_lo, exec_lo, s3
	v_cmp_eq_u32_e32 vcc_lo, v1, v0
	s_cmpk_eq_i32 s29, 0x84
	s_cselect_b32 s3, -1, 0
	s_and_b32 s6, vcc_lo, s3
	s_and_saveexec_b32 s3, s6
	s_cbranch_execz .LBB137_7
; %bb.6:
	v_mov_b32_e32 v5, 0
	v_mov_b32_e32 v6, 0x3ff00000
	;; [unrolled: 1-line block ×4, first 2 shown]
	ds_write_b128 v4, v[5:8]
.LBB137_7:
	s_or_b32 exec_lo, exec_lo, s3
	s_cmpk_lg_i32 s28, 0x7a
	s_waitcnt lgkmcnt(0)
	s_barrier
	buffer_gl0_inv
	s_cbranch_scc0 .LBB137_9
; %bb.8:
	v_cmp_lt_u32_e32 vcc_lo, v0, v1
	s_and_b32 s3, vcc_lo, exec_lo
	s_cbranch_execz .LBB137_10
	s_branch .LBB137_11
.LBB137_9:
	s_mov_b32 s3, 0
.LBB137_10:
	v_cmp_gt_u32_e32 vcc_lo, v0, v1
	s_andn2_b32 s3, s3, exec_lo
	s_and_b32 s6, vcc_lo, exec_lo
	s_or_b32 s3, s3, s6
.LBB137_11:
	s_and_saveexec_b32 s6, s3
	s_cbranch_execz .LBB137_13
; %bb.12:
	v_mov_b32_e32 v5, 0
	v_mov_b32_e32 v6, v5
	;; [unrolled: 1-line block ×4, first 2 shown]
	ds_write_b128 v4, v[5:8]
.LBB137_13:
	s_or_b32 exec_lo, exec_lo, s6
	s_waitcnt lgkmcnt(0)
	s_barrier
	buffer_gl0_inv
	s_and_saveexec_b32 s3, s0
	s_cbranch_execz .LBB137_15
; %bb.14:
	v_lshlrev_b32_e32 v0, 4, v3
	s_load_dwordx2 s[4:5], s[4:5], 0x68
	s_mul_i32 s0, s22, s2
	s_mul_hi_u32 s6, s22, s1
	ds_read_b128 v[3:6], v0 offset:4096
	ds_read_b128 v[7:10], v2
	ds_read_b128 v[11:14], v2 offset:256
	ds_read_b128 v[15:18], v0 offset:4112
	;; [unrolled: 1-line block ×4, first 2 shown]
	s_waitcnt lgkmcnt(0)
	s_mul_i32 s3, s5, s7
	s_mul_hi_u32 s5, s4, s7
	v_mul_f64 v[27:28], v[3:4], v[9:10]
	v_mul_f64 v[9:10], v[5:6], v[9:10]
	v_mul_f64 v[35:36], v[15:16], v[13:14]
	v_mul_f64 v[37:38], v[23:24], v[21:22]
	v_mul_f64 v[13:14], v[17:18], v[13:14]
	v_mul_f64 v[21:22], v[25:26], v[21:22]
	s_mul_i32 s2, s4, s7
	s_add_i32 s3, s5, s3
	s_mul_i32 s4, s23, s1
	s_lshl_b64 s[2:3], s[2:3], 4
	s_add_u32 s5, s20, s2
	s_addc_u32 s7, s21, s3
	s_add_i32 s0, s6, s0
	s_mul_i32 s2, s22, s1
	s_add_i32 s3, s0, s4
	s_lshl_b64 s[0:1], s[2:3], 4
	s_add_u32 s0, s5, s0
	s_addc_u32 s1, s7, s1
	v_fma_f64 v[5:6], v[5:6], v[7:8], v[27:28]
	ds_read_b128 v[27:30], v2 offset:768
	ds_read_b128 v[31:34], v0 offset:4144
	v_fma_f64 v[17:18], v[17:18], v[11:12], v[35:36]
	v_fma_f64 v[35:36], v[3:4], v[7:8], -v[9:10]
	v_fma_f64 v[25:26], v[25:26], v[19:20], v[37:38]
	v_fma_f64 v[37:38], v[15:16], v[11:12], -v[13:14]
	s_waitcnt lgkmcnt(0)
	v_mul_f64 v[41:42], v[31:32], v[29:30]
	v_add_f64 v[39:40], v[5:6], 0
	ds_read_b128 v[3:6], v2 offset:1024
	ds_read_b128 v[7:10], v0 offset:4160
	v_mul_f64 v[29:30], v[33:34], v[29:30]
	v_add_f64 v[35:36], v[35:36], 0
	s_waitcnt lgkmcnt(0)
	v_mul_f64 v[43:44], v[7:8], v[5:6]
	v_add_f64 v[39:40], v[39:40], v[17:18]
	v_fma_f64 v[33:34], v[33:34], v[27:28], v[41:42]
	v_fma_f64 v[41:42], v[23:24], v[19:20], -v[21:22]
	v_add_f64 v[35:36], v[35:36], v[37:38]
	ds_read_b128 v[11:14], v2 offset:1280
	ds_read_b128 v[15:18], v0 offset:4176
	v_mul_f64 v[5:6], v[9:10], v[5:6]
	v_fma_f64 v[9:10], v[9:10], v[3:4], v[43:44]
	v_add_f64 v[37:38], v[39:40], v[25:26]
	v_fma_f64 v[43:44], v[31:32], v[27:28], -v[29:30]
	s_waitcnt lgkmcnt(0)
	v_mul_f64 v[39:40], v[15:16], v[13:14]
	v_add_f64 v[35:36], v[35:36], v[41:42]
	ds_read_b128 v[19:22], v2 offset:1536
	ds_read_b128 v[23:26], v0 offset:4192
	v_mul_f64 v[13:14], v[17:18], v[13:14]
	v_add_f64 v[37:38], v[37:38], v[33:34]
	ds_read_b128 v[27:30], v2 offset:1792
	ds_read_b128 v[31:34], v0 offset:4208
	s_waitcnt lgkmcnt(2)
	v_mul_f64 v[41:42], v[23:24], v[21:22]
	v_fma_f64 v[17:18], v[17:18], v[11:12], v[39:40]
	v_fma_f64 v[39:40], v[7:8], v[3:4], -v[5:6]
	v_add_f64 v[35:36], v[35:36], v[43:44]
	v_mul_f64 v[21:22], v[25:26], v[21:22]
	s_waitcnt lgkmcnt(0)
	v_mul_f64 v[43:44], v[31:32], v[29:30]
	v_add_f64 v[37:38], v[37:38], v[9:10]
	ds_read_b128 v[3:6], v2 offset:2048
	ds_read_b128 v[7:10], v0 offset:4224
	v_fma_f64 v[25:26], v[25:26], v[19:20], v[41:42]
	v_fma_f64 v[41:42], v[15:16], v[11:12], -v[13:14]
	v_mul_f64 v[29:30], v[33:34], v[29:30]
	v_add_f64 v[35:36], v[35:36], v[39:40]
	s_waitcnt lgkmcnt(0)
	v_mul_f64 v[39:40], v[7:8], v[5:6]
	v_add_f64 v[37:38], v[37:38], v[17:18]
	v_fma_f64 v[33:34], v[33:34], v[27:28], v[43:44]
	v_fma_f64 v[43:44], v[23:24], v[19:20], -v[21:22]
	ds_read_b128 v[11:14], v2 offset:2304
	ds_read_b128 v[15:18], v0 offset:4240
	v_mul_f64 v[5:6], v[9:10], v[5:6]
	v_add_f64 v[35:36], v[35:36], v[41:42]
	v_fma_f64 v[9:10], v[9:10], v[3:4], v[39:40]
	v_add_f64 v[37:38], v[37:38], v[25:26]
	s_waitcnt lgkmcnt(0)
	v_mul_f64 v[41:42], v[15:16], v[13:14]
	v_fma_f64 v[39:40], v[31:32], v[27:28], -v[29:30]
	ds_read_b128 v[19:22], v2 offset:2560
	ds_read_b128 v[23:26], v0 offset:4256
	v_mul_f64 v[13:14], v[17:18], v[13:14]
	v_add_f64 v[35:36], v[35:36], v[43:44]
	v_add_f64 v[37:38], v[37:38], v[33:34]
	s_waitcnt lgkmcnt(0)
	v_mul_f64 v[43:44], v[23:24], v[21:22]
	v_fma_f64 v[17:18], v[17:18], v[11:12], v[41:42]
	v_fma_f64 v[41:42], v[7:8], v[3:4], -v[5:6]
	ds_read_b128 v[27:30], v2 offset:2816
	ds_read_b128 v[31:34], v0 offset:4272
	v_add_f64 v[35:36], v[35:36], v[39:40]
	v_mul_f64 v[21:22], v[25:26], v[21:22]
	v_add_f64 v[37:38], v[37:38], v[9:10]
	v_fma_f64 v[25:26], v[25:26], v[19:20], v[43:44]
	s_waitcnt lgkmcnt(0)
	v_mul_f64 v[39:40], v[31:32], v[29:30]
	v_fma_f64 v[43:44], v[15:16], v[11:12], -v[13:14]
	ds_read_b128 v[3:6], v2 offset:3072
	ds_read_b128 v[7:10], v0 offset:4288
	v_add_f64 v[35:36], v[35:36], v[41:42]
	v_mul_f64 v[29:30], v[33:34], v[29:30]
	v_add_f64 v[37:38], v[37:38], v[17:18]
	ds_read_b128 v[11:14], v2 offset:3328
	ds_read_b128 v[15:18], v0 offset:4304
	s_waitcnt lgkmcnt(2)
	v_mul_f64 v[41:42], v[7:8], v[5:6]
	v_fma_f64 v[33:34], v[33:34], v[27:28], v[39:40]
	v_fma_f64 v[39:40], v[23:24], v[19:20], -v[21:22]
	v_add_f64 v[35:36], v[35:36], v[43:44]
	v_mul_f64 v[5:6], v[9:10], v[5:6]
	s_waitcnt lgkmcnt(0)
	v_mul_f64 v[43:44], v[15:16], v[13:14]
	v_add_f64 v[37:38], v[37:38], v[25:26]
	ds_read_b128 v[19:22], v2 offset:3584
	ds_read_b128 v[23:26], v0 offset:4320
	v_fma_f64 v[9:10], v[9:10], v[3:4], v[41:42]
	v_fma_f64 v[41:42], v[31:32], v[27:28], -v[29:30]
	v_mul_f64 v[13:14], v[17:18], v[13:14]
	v_add_f64 v[35:36], v[35:36], v[39:40]
	v_fma_f64 v[3:4], v[7:8], v[3:4], -v[5:6]
	s_waitcnt lgkmcnt(0)
	v_mul_f64 v[39:40], v[23:24], v[21:22]
	v_add_f64 v[37:38], v[37:38], v[33:34]
	v_fma_f64 v[17:18], v[17:18], v[11:12], v[43:44]
	ds_read_b128 v[27:30], v2 offset:3840
	ds_read_b128 v[31:34], v0 offset:4336
	v_mul_f64 v[21:22], v[25:26], v[21:22]
	v_fma_f64 v[11:12], v[15:16], v[11:12], -v[13:14]
	v_add_f64 v[5:6], v[35:36], v[41:42]
	v_fma_f64 v[25:26], v[25:26], v[19:20], v[39:40]
	v_add_f64 v[7:8], v[37:38], v[9:10]
	s_waitcnt lgkmcnt(0)
	v_mul_f64 v[9:10], v[31:32], v[29:30]
	v_fma_f64 v[13:14], v[23:24], v[19:20], -v[21:22]
	v_add_f64 v[3:4], v[5:6], v[3:4]
	v_add_f64 v[5:6], v[7:8], v[17:18]
	v_mul_f64 v[7:8], v[33:34], v[29:30]
	v_fma_f64 v[9:10], v[33:34], v[27:28], v[9:10]
	v_add_f64 v[3:4], v[3:4], v[11:12]
	v_add_f64 v[5:6], v[5:6], v[25:26]
	v_fma_f64 v[7:8], v[31:32], v[27:28], -v[7:8]
	v_add_f64 v[3:4], v[3:4], v[13:14]
	v_add_f64 v[5:6], v[5:6], v[9:10]
	v_mad_u64_u32 v[9:10], null, s22, v1, 0
	v_add_f64 v[3:4], v[3:4], v[7:8]
	v_mov_b32_e32 v0, v10
	v_mad_u64_u32 v[0:1], null, s23, v1, v[0:1]
	v_mov_b32_e32 v10, v0
	v_mul_f64 v[7:8], s[24:25], v[5:6]
	v_mul_f64 v[11:12], s[26:27], v[5:6]
	v_lshlrev_b64 v[0:1], 4, v[9:10]
	v_add_co_u32 v0, vcc_lo, s0, v0
	v_add_co_ci_u32_e64 v1, null, s1, v1, vcc_lo
	v_add_co_u32 v0, vcc_lo, v0, v2
	v_add_co_ci_u32_e64 v1, null, 0, v1, vcc_lo
	v_fma_f64 v[5:6], s[26:27], v[3:4], v[7:8]
	v_fma_f64 v[3:4], s[24:25], v[3:4], -v[11:12]
	global_store_dwordx4 v[0:1], v[3:6], off
.LBB137_15:
	s_endpgm
	.section	.rodata,"a",@progbits
	.p2align	6, 0x0
	.amdhsa_kernel _ZL23rocblas_trmm_lTx_kernelILi16ELb1E19rocblas_complex_numIdES1_KS1_S1_Ev13rocblas_fill_17rocblas_diagonal_iiT2_lPT3_llS7_llPT4_lli
		.amdhsa_group_segment_fixed_size 8192
		.amdhsa_private_segment_fixed_size 0
		.amdhsa_kernarg_size 116
		.amdhsa_user_sgpr_count 6
		.amdhsa_user_sgpr_private_segment_buffer 1
		.amdhsa_user_sgpr_dispatch_ptr 0
		.amdhsa_user_sgpr_queue_ptr 0
		.amdhsa_user_sgpr_kernarg_segment_ptr 1
		.amdhsa_user_sgpr_dispatch_id 0
		.amdhsa_user_sgpr_flat_scratch_init 0
		.amdhsa_user_sgpr_private_segment_size 0
		.amdhsa_wavefront_size32 1
		.amdhsa_uses_dynamic_stack 0
		.amdhsa_system_sgpr_private_segment_wavefront_offset 0
		.amdhsa_system_sgpr_workgroup_id_x 1
		.amdhsa_system_sgpr_workgroup_id_y 0
		.amdhsa_system_sgpr_workgroup_id_z 1
		.amdhsa_system_sgpr_workgroup_info 0
		.amdhsa_system_vgpr_workitem_id 1
		.amdhsa_next_free_vgpr 45
		.amdhsa_next_free_sgpr 32
		.amdhsa_reserve_vcc 1
		.amdhsa_reserve_flat_scratch 0
		.amdhsa_float_round_mode_32 0
		.amdhsa_float_round_mode_16_64 0
		.amdhsa_float_denorm_mode_32 3
		.amdhsa_float_denorm_mode_16_64 3
		.amdhsa_dx10_clamp 1
		.amdhsa_ieee_mode 1
		.amdhsa_fp16_overflow 0
		.amdhsa_workgroup_processor_mode 1
		.amdhsa_memory_ordered 1
		.amdhsa_forward_progress 1
		.amdhsa_shared_vgpr_count 0
		.amdhsa_exception_fp_ieee_invalid_op 0
		.amdhsa_exception_fp_denorm_src 0
		.amdhsa_exception_fp_ieee_div_zero 0
		.amdhsa_exception_fp_ieee_overflow 0
		.amdhsa_exception_fp_ieee_underflow 0
		.amdhsa_exception_fp_ieee_inexact 0
		.amdhsa_exception_int_div_zero 0
	.end_amdhsa_kernel
	.section	.text._ZL23rocblas_trmm_lTx_kernelILi16ELb1E19rocblas_complex_numIdES1_KS1_S1_Ev13rocblas_fill_17rocblas_diagonal_iiT2_lPT3_llS7_llPT4_lli,"axG",@progbits,_ZL23rocblas_trmm_lTx_kernelILi16ELb1E19rocblas_complex_numIdES1_KS1_S1_Ev13rocblas_fill_17rocblas_diagonal_iiT2_lPT3_llS7_llPT4_lli,comdat
.Lfunc_end137:
	.size	_ZL23rocblas_trmm_lTx_kernelILi16ELb1E19rocblas_complex_numIdES1_KS1_S1_Ev13rocblas_fill_17rocblas_diagonal_iiT2_lPT3_llS7_llPT4_lli, .Lfunc_end137-_ZL23rocblas_trmm_lTx_kernelILi16ELb1E19rocblas_complex_numIdES1_KS1_S1_Ev13rocblas_fill_17rocblas_diagonal_iiT2_lPT3_llS7_llPT4_lli
                                        ; -- End function
	.set _ZL23rocblas_trmm_lTx_kernelILi16ELb1E19rocblas_complex_numIdES1_KS1_S1_Ev13rocblas_fill_17rocblas_diagonal_iiT2_lPT3_llS7_llPT4_lli.num_vgpr, 45
	.set _ZL23rocblas_trmm_lTx_kernelILi16ELb1E19rocblas_complex_numIdES1_KS1_S1_Ev13rocblas_fill_17rocblas_diagonal_iiT2_lPT3_llS7_llPT4_lli.num_agpr, 0
	.set _ZL23rocblas_trmm_lTx_kernelILi16ELb1E19rocblas_complex_numIdES1_KS1_S1_Ev13rocblas_fill_17rocblas_diagonal_iiT2_lPT3_llS7_llPT4_lli.numbered_sgpr, 32
	.set _ZL23rocblas_trmm_lTx_kernelILi16ELb1E19rocblas_complex_numIdES1_KS1_S1_Ev13rocblas_fill_17rocblas_diagonal_iiT2_lPT3_llS7_llPT4_lli.num_named_barrier, 0
	.set _ZL23rocblas_trmm_lTx_kernelILi16ELb1E19rocblas_complex_numIdES1_KS1_S1_Ev13rocblas_fill_17rocblas_diagonal_iiT2_lPT3_llS7_llPT4_lli.private_seg_size, 0
	.set _ZL23rocblas_trmm_lTx_kernelILi16ELb1E19rocblas_complex_numIdES1_KS1_S1_Ev13rocblas_fill_17rocblas_diagonal_iiT2_lPT3_llS7_llPT4_lli.uses_vcc, 1
	.set _ZL23rocblas_trmm_lTx_kernelILi16ELb1E19rocblas_complex_numIdES1_KS1_S1_Ev13rocblas_fill_17rocblas_diagonal_iiT2_lPT3_llS7_llPT4_lli.uses_flat_scratch, 0
	.set _ZL23rocblas_trmm_lTx_kernelILi16ELb1E19rocblas_complex_numIdES1_KS1_S1_Ev13rocblas_fill_17rocblas_diagonal_iiT2_lPT3_llS7_llPT4_lli.has_dyn_sized_stack, 0
	.set _ZL23rocblas_trmm_lTx_kernelILi16ELb1E19rocblas_complex_numIdES1_KS1_S1_Ev13rocblas_fill_17rocblas_diagonal_iiT2_lPT3_llS7_llPT4_lli.has_recursion, 0
	.set _ZL23rocblas_trmm_lTx_kernelILi16ELb1E19rocblas_complex_numIdES1_KS1_S1_Ev13rocblas_fill_17rocblas_diagonal_iiT2_lPT3_llS7_llPT4_lli.has_indirect_call, 0
	.section	.AMDGPU.csdata,"",@progbits
; Kernel info:
; codeLenInByte = 1944
; TotalNumSgprs: 34
; NumVgprs: 45
; ScratchSize: 0
; MemoryBound: 0
; FloatMode: 240
; IeeeMode: 1
; LDSByteSize: 8192 bytes/workgroup (compile time only)
; SGPRBlocks: 0
; VGPRBlocks: 5
; NumSGPRsForWavesPerEU: 34
; NumVGPRsForWavesPerEU: 45
; Occupancy: 16
; WaveLimiterHint : 0
; COMPUTE_PGM_RSRC2:SCRATCH_EN: 0
; COMPUTE_PGM_RSRC2:USER_SGPR: 6
; COMPUTE_PGM_RSRC2:TRAP_HANDLER: 0
; COMPUTE_PGM_RSRC2:TGID_X_EN: 1
; COMPUTE_PGM_RSRC2:TGID_Y_EN: 0
; COMPUTE_PGM_RSRC2:TGID_Z_EN: 1
; COMPUTE_PGM_RSRC2:TIDIG_COMP_CNT: 1
	.section	.text._ZL23rocblas_trmm_rNx_kernelILi16E19rocblas_complex_numIdEPKS1_S2_S1_Ev13rocblas_fill_17rocblas_diagonal_iiT1_lPT2_llS8_llPT3_lli,"axG",@progbits,_ZL23rocblas_trmm_rNx_kernelILi16E19rocblas_complex_numIdEPKS1_S2_S1_Ev13rocblas_fill_17rocblas_diagonal_iiT1_lPT2_llS8_llPT3_lli,comdat
	.globl	_ZL23rocblas_trmm_rNx_kernelILi16E19rocblas_complex_numIdEPKS1_S2_S1_Ev13rocblas_fill_17rocblas_diagonal_iiT1_lPT2_llS8_llPT3_lli ; -- Begin function _ZL23rocblas_trmm_rNx_kernelILi16E19rocblas_complex_numIdEPKS1_S2_S1_Ev13rocblas_fill_17rocblas_diagonal_iiT1_lPT2_llS8_llPT3_lli
	.p2align	8
	.type	_ZL23rocblas_trmm_rNx_kernelILi16E19rocblas_complex_numIdEPKS1_S2_S1_Ev13rocblas_fill_17rocblas_diagonal_iiT1_lPT2_llS8_llPT3_lli,@function
_ZL23rocblas_trmm_rNx_kernelILi16E19rocblas_complex_numIdEPKS1_S2_S1_Ev13rocblas_fill_17rocblas_diagonal_iiT1_lPT2_llS8_llPT3_lli: ; @_ZL23rocblas_trmm_rNx_kernelILi16E19rocblas_complex_numIdEPKS1_S2_S1_Ev13rocblas_fill_17rocblas_diagonal_iiT1_lPT2_llS8_llPT3_lli
; %bb.0:
	s_load_dwordx16 s[8:23], s[4:5], 0x10
	s_waitcnt lgkmcnt(0)
	s_mul_i32 s1, s11, s7
	s_mul_hi_u32 s2, s10, s7
	s_mul_i32 s0, s10, s7
	s_add_i32 s1, s2, s1
	s_lshl_b64 s[0:1], s[0:1], 4
	s_add_u32 s0, s8, s0
	s_addc_u32 s1, s9, s1
	s_load_dwordx4 s[8:11], s[0:1], 0x0
	s_waitcnt lgkmcnt(0)
	v_cmp_neq_f64_e64 s0, s[8:9], 0
	v_cmp_neq_f64_e64 s1, s[10:11], 0
	s_or_b32 s0, s0, s1
	s_andn2_b32 vcc_lo, exec_lo, s0
	s_cbranch_vccnz .LBB138_15
; %bb.1:
	s_load_dwordx4 s[24:27], s[4:5], 0x0
	s_mov_b32 s0, 0
	v_lshlrev_b32_e32 v3, 4, v1
	s_mov_b32 s3, s0
	s_mov_b32 s1, s0
	;; [unrolled: 1-line block ×3, first 2 shown]
	v_mov_b32_e32 v8, s3
	v_mov_b32_e32 v7, s2
	;; [unrolled: 1-line block ×4, first 2 shown]
	v_add_lshl_u32 v4, v3, v0, 4
	v_lshlrev_b32_e32 v2, 4, v0
	ds_write_b128 v4, v[5:8]
	ds_write_b128 v4, v[5:8] offset:4096
	s_waitcnt lgkmcnt(0)
	v_cmp_gt_i32_e32 vcc_lo, s27, v1
	v_cmp_gt_i32_e64 s0, s27, v0
	s_and_b32 s0, vcc_lo, s0
	s_and_saveexec_b32 s1, s0
	s_cbranch_execz .LBB138_3
; %bb.2:
	v_mad_u64_u32 v[5:6], null, s14, v1, 0
	s_mul_i32 s0, s17, s7
	s_mul_hi_u32 s3, s16, s7
	s_mul_i32 s2, s16, s7
	s_add_i32 s3, s3, s0
	s_lshl_b64 s[2:3], s[2:3], 4
	v_mad_u64_u32 v[6:7], null, s15, v1, v[6:7]
	s_add_u32 s0, s12, s2
	s_addc_u32 s2, s13, s3
	v_lshlrev_b64 v[5:6], 4, v[5:6]
	v_add_co_u32 v5, s0, s0, v5
	v_add_co_ci_u32_e64 v6, null, s2, v6, s0
	v_add_co_u32 v5, s0, v5, v2
	v_add_co_ci_u32_e64 v6, null, 0, v6, s0
	global_load_dwordx4 v[5:8], v[5:6], off
	s_waitcnt vmcnt(0)
	ds_write2_b64 v4, v[5:6], v[7:8] offset1:1
.LBB138_3:
	s_or_b32 exec_lo, exec_lo, s1
	s_add_i32 s0, s26, -1
	s_ashr_i32 s1, s0, 31
	s_lshr_b32 s1, s1, 28
	s_add_i32 s0, s0, s1
	s_and_b32 s1, s0, -16
	s_ashr_i32 s0, s0, 4
	s_sub_i32 s1, s26, s1
	s_cmp_ge_i32 s6, s0
	s_cselect_b32 s0, s1, 16
	s_lshl_b32 s2, s6, 4
	v_cmp_gt_i32_e64 s0, s0, v0
	s_ashr_i32 s3, s2, 31
	s_and_b32 s0, vcc_lo, s0
	s_and_saveexec_b32 s1, s0
	s_cbranch_execz .LBB138_5
; %bb.4:
	v_mad_u64_u32 v[5:6], null, s20, v1, 0
	s_mul_i32 s6, s23, s7
	s_mul_hi_u32 s13, s22, s7
	s_mul_i32 s12, s22, s7
	s_add_i32 s13, s13, s6
	v_add_nc_u32_e32 v9, 0x1000, v4
	s_lshl_b64 s[12:13], s[12:13], 4
	v_mad_u64_u32 v[6:7], null, s21, v1, v[6:7]
	s_add_u32 s6, s18, s12
	s_addc_u32 s14, s19, s13
	s_lshl_b64 s[12:13], s[2:3], 4
	s_add_u32 s6, s6, s12
	s_addc_u32 s12, s14, s13
	v_lshlrev_b64 v[5:6], 4, v[5:6]
	v_add_co_u32 v5, vcc_lo, s6, v5
	v_add_co_ci_u32_e64 v6, null, s12, v6, vcc_lo
	v_add_co_u32 v5, vcc_lo, v5, v2
	v_add_co_ci_u32_e64 v6, null, 0, v6, vcc_lo
	global_load_dwordx4 v[5:8], v[5:6], off
	s_waitcnt vmcnt(0)
	ds_write2_b64 v9, v[5:6], v[7:8] offset1:1
.LBB138_5:
	s_or_b32 exec_lo, exec_lo, s1
	v_cmp_eq_u32_e32 vcc_lo, v1, v0
	s_cmpk_eq_i32 s25, 0x84
	s_cselect_b32 s1, -1, 0
	s_and_b32 s6, vcc_lo, s1
	s_and_saveexec_b32 s1, s6
	s_cbranch_execz .LBB138_7
; %bb.6:
	v_mov_b32_e32 v5, 0
	v_mov_b32_e32 v6, 0x3ff00000
	;; [unrolled: 1-line block ×4, first 2 shown]
	ds_write_b128 v4, v[5:8]
.LBB138_7:
	s_or_b32 exec_lo, exec_lo, s1
	s_cmpk_lg_i32 s24, 0x79
	s_cbranch_scc0 .LBB138_9
; %bb.8:
	v_cmp_lt_u32_e32 vcc_lo, v0, v1
	s_and_b32 s1, vcc_lo, exec_lo
	s_cbranch_execz .LBB138_10
	s_branch .LBB138_11
.LBB138_9:
	s_mov_b32 s1, 0
.LBB138_10:
	v_cmp_gt_u32_e32 vcc_lo, v0, v1
	s_andn2_b32 s1, s1, exec_lo
	s_and_b32 s6, vcc_lo, exec_lo
	s_or_b32 s1, s1, s6
.LBB138_11:
	s_and_saveexec_b32 s6, s1
	s_cbranch_execz .LBB138_13
; %bb.12:
	v_mov_b32_e32 v5, 0
	v_mov_b32_e32 v6, v5
	;; [unrolled: 1-line block ×4, first 2 shown]
	ds_write_b128 v4, v[5:8]
.LBB138_13:
	s_or_b32 exec_lo, exec_lo, s6
	s_waitcnt lgkmcnt(0)
	s_barrier
	buffer_gl0_inv
	s_and_saveexec_b32 s1, s0
	s_cbranch_execz .LBB138_15
; %bb.14:
	v_lshlrev_b32_e32 v0, 4, v3
	ds_read_b128 v[3:6], v0
	ds_read_b128 v[7:10], v2 offset:4096
	ds_read_b128 v[11:14], v2 offset:4352
	;; [unrolled: 1-line block ×5, first 2 shown]
	s_waitcnt lgkmcnt(4)
	v_mul_f64 v[27:28], v[3:4], v[9:10]
	v_mul_f64 v[9:10], v[5:6], v[9:10]
	s_waitcnt lgkmcnt(2)
	v_mul_f64 v[35:36], v[15:16], v[13:14]
	s_waitcnt lgkmcnt(0)
	v_mul_f64 v[37:38], v[23:24], v[21:22]
	v_mul_f64 v[13:14], v[17:18], v[13:14]
	;; [unrolled: 1-line block ×3, first 2 shown]
	v_fma_f64 v[5:6], v[5:6], v[7:8], v[27:28]
	ds_read_b128 v[27:30], v2 offset:4864
	ds_read_b128 v[31:34], v0 offset:48
	v_fma_f64 v[17:18], v[17:18], v[11:12], v[35:36]
	v_fma_f64 v[35:36], v[3:4], v[7:8], -v[9:10]
	v_fma_f64 v[25:26], v[25:26], v[19:20], v[37:38]
	v_fma_f64 v[37:38], v[15:16], v[11:12], -v[13:14]
	s_waitcnt lgkmcnt(0)
	v_mul_f64 v[41:42], v[31:32], v[29:30]
	v_add_f64 v[39:40], v[5:6], 0
	ds_read_b128 v[3:6], v2 offset:5120
	ds_read_b128 v[7:10], v0 offset:64
	v_mul_f64 v[29:30], v[33:34], v[29:30]
	v_add_f64 v[35:36], v[35:36], 0
	s_waitcnt lgkmcnt(0)
	v_mul_f64 v[43:44], v[7:8], v[5:6]
	v_add_f64 v[39:40], v[39:40], v[17:18]
	v_fma_f64 v[33:34], v[33:34], v[27:28], v[41:42]
	v_fma_f64 v[41:42], v[23:24], v[19:20], -v[21:22]
	v_add_f64 v[35:36], v[35:36], v[37:38]
	ds_read_b128 v[11:14], v2 offset:5376
	ds_read_b128 v[15:18], v0 offset:80
	v_mul_f64 v[5:6], v[9:10], v[5:6]
	v_fma_f64 v[9:10], v[9:10], v[3:4], v[43:44]
	v_add_f64 v[37:38], v[39:40], v[25:26]
	v_fma_f64 v[43:44], v[31:32], v[27:28], -v[29:30]
	s_waitcnt lgkmcnt(0)
	v_mul_f64 v[39:40], v[15:16], v[13:14]
	v_add_f64 v[35:36], v[35:36], v[41:42]
	ds_read_b128 v[19:22], v2 offset:5632
	ds_read_b128 v[23:26], v0 offset:96
	v_mul_f64 v[13:14], v[17:18], v[13:14]
	v_add_f64 v[37:38], v[37:38], v[33:34]
	ds_read_b128 v[27:30], v2 offset:5888
	ds_read_b128 v[31:34], v0 offset:112
	s_waitcnt lgkmcnt(2)
	v_mul_f64 v[41:42], v[23:24], v[21:22]
	v_fma_f64 v[17:18], v[17:18], v[11:12], v[39:40]
	v_fma_f64 v[39:40], v[7:8], v[3:4], -v[5:6]
	v_add_f64 v[35:36], v[35:36], v[43:44]
	v_mul_f64 v[21:22], v[25:26], v[21:22]
	s_waitcnt lgkmcnt(0)
	v_mul_f64 v[43:44], v[31:32], v[29:30]
	v_add_f64 v[37:38], v[37:38], v[9:10]
	ds_read_b128 v[3:6], v2 offset:6144
	ds_read_b128 v[7:10], v0 offset:128
	v_fma_f64 v[25:26], v[25:26], v[19:20], v[41:42]
	v_fma_f64 v[41:42], v[15:16], v[11:12], -v[13:14]
	v_mul_f64 v[29:30], v[33:34], v[29:30]
	v_add_f64 v[35:36], v[35:36], v[39:40]
	s_waitcnt lgkmcnt(0)
	v_mul_f64 v[39:40], v[7:8], v[5:6]
	v_add_f64 v[37:38], v[37:38], v[17:18]
	v_fma_f64 v[33:34], v[33:34], v[27:28], v[43:44]
	v_fma_f64 v[43:44], v[23:24], v[19:20], -v[21:22]
	ds_read_b128 v[11:14], v2 offset:6400
	ds_read_b128 v[15:18], v0 offset:144
	v_mul_f64 v[5:6], v[9:10], v[5:6]
	v_add_f64 v[35:36], v[35:36], v[41:42]
	v_fma_f64 v[9:10], v[9:10], v[3:4], v[39:40]
	v_add_f64 v[37:38], v[37:38], v[25:26]
	s_waitcnt lgkmcnt(0)
	v_mul_f64 v[41:42], v[15:16], v[13:14]
	v_fma_f64 v[39:40], v[31:32], v[27:28], -v[29:30]
	ds_read_b128 v[19:22], v2 offset:6656
	ds_read_b128 v[23:26], v0 offset:160
	v_mul_f64 v[13:14], v[17:18], v[13:14]
	v_add_f64 v[35:36], v[35:36], v[43:44]
	v_add_f64 v[37:38], v[37:38], v[33:34]
	s_waitcnt lgkmcnt(0)
	v_mul_f64 v[43:44], v[23:24], v[21:22]
	v_fma_f64 v[17:18], v[17:18], v[11:12], v[41:42]
	v_fma_f64 v[41:42], v[7:8], v[3:4], -v[5:6]
	ds_read_b128 v[27:30], v2 offset:6912
	ds_read_b128 v[31:34], v0 offset:176
	v_add_f64 v[35:36], v[35:36], v[39:40]
	v_mul_f64 v[21:22], v[25:26], v[21:22]
	v_add_f64 v[37:38], v[37:38], v[9:10]
	v_fma_f64 v[25:26], v[25:26], v[19:20], v[43:44]
	s_waitcnt lgkmcnt(0)
	v_mul_f64 v[39:40], v[31:32], v[29:30]
	v_fma_f64 v[43:44], v[15:16], v[11:12], -v[13:14]
	ds_read_b128 v[3:6], v2 offset:7168
	ds_read_b128 v[7:10], v0 offset:192
	v_add_f64 v[35:36], v[35:36], v[41:42]
	v_mul_f64 v[29:30], v[33:34], v[29:30]
	v_add_f64 v[37:38], v[37:38], v[17:18]
	ds_read_b128 v[11:14], v2 offset:7424
	ds_read_b128 v[15:18], v0 offset:208
	s_waitcnt lgkmcnt(2)
	v_mul_f64 v[41:42], v[7:8], v[5:6]
	v_fma_f64 v[33:34], v[33:34], v[27:28], v[39:40]
	v_fma_f64 v[39:40], v[23:24], v[19:20], -v[21:22]
	v_add_f64 v[35:36], v[35:36], v[43:44]
	v_mul_f64 v[5:6], v[9:10], v[5:6]
	s_waitcnt lgkmcnt(0)
	v_mul_f64 v[43:44], v[15:16], v[13:14]
	v_add_f64 v[37:38], v[37:38], v[25:26]
	ds_read_b128 v[19:22], v2 offset:7680
	ds_read_b128 v[23:26], v0 offset:224
	v_fma_f64 v[9:10], v[9:10], v[3:4], v[41:42]
	v_fma_f64 v[41:42], v[31:32], v[27:28], -v[29:30]
	v_mul_f64 v[13:14], v[17:18], v[13:14]
	v_add_f64 v[35:36], v[35:36], v[39:40]
	v_fma_f64 v[3:4], v[7:8], v[3:4], -v[5:6]
	s_waitcnt lgkmcnt(0)
	v_mul_f64 v[39:40], v[23:24], v[21:22]
	v_add_f64 v[37:38], v[37:38], v[33:34]
	v_fma_f64 v[17:18], v[17:18], v[11:12], v[43:44]
	ds_read_b128 v[27:30], v2 offset:7936
	ds_read_b128 v[31:34], v0 offset:240
	v_mul_f64 v[21:22], v[25:26], v[21:22]
	v_fma_f64 v[11:12], v[15:16], v[11:12], -v[13:14]
	v_add_f64 v[5:6], v[35:36], v[41:42]
	s_clause 0x1
	s_load_dwordx4 s[12:15], s[4:5], 0x50
	s_load_dwordx2 s[0:1], s[4:5], 0x60
	v_fma_f64 v[25:26], v[25:26], v[19:20], v[39:40]
	v_add_f64 v[7:8], v[37:38], v[9:10]
	s_waitcnt lgkmcnt(0)
	v_mul_f64 v[9:10], v[31:32], v[29:30]
	v_fma_f64 v[13:14], v[23:24], v[19:20], -v[21:22]
	s_mul_i32 s1, s1, s7
	v_add_f64 v[3:4], v[5:6], v[3:4]
	s_mul_hi_u32 s4, s0, s7
	s_mul_i32 s0, s0, s7
	s_add_i32 s1, s4, s1
	s_lshl_b64 s[0:1], s[0:1], 4
	s_add_u32 s4, s12, s0
	s_addc_u32 s5, s13, s1
	s_lshl_b64 s[0:1], s[2:3], 4
	s_add_u32 s0, s4, s0
	s_addc_u32 s1, s5, s1
	v_add_f64 v[5:6], v[7:8], v[17:18]
	v_mul_f64 v[7:8], v[33:34], v[29:30]
	v_fma_f64 v[9:10], v[33:34], v[27:28], v[9:10]
	v_add_f64 v[3:4], v[3:4], v[11:12]
	v_add_f64 v[5:6], v[5:6], v[25:26]
	v_fma_f64 v[7:8], v[31:32], v[27:28], -v[7:8]
	v_add_f64 v[3:4], v[3:4], v[13:14]
	v_add_f64 v[5:6], v[5:6], v[9:10]
	v_mad_u64_u32 v[9:10], null, s14, v1, 0
	v_add_f64 v[3:4], v[3:4], v[7:8]
	v_mov_b32_e32 v0, v10
	v_mad_u64_u32 v[0:1], null, s15, v1, v[0:1]
	v_mov_b32_e32 v10, v0
	v_mul_f64 v[7:8], s[8:9], v[5:6]
	v_mul_f64 v[11:12], s[10:11], v[5:6]
	v_lshlrev_b64 v[0:1], 4, v[9:10]
	v_add_co_u32 v0, vcc_lo, s0, v0
	v_add_co_ci_u32_e64 v1, null, s1, v1, vcc_lo
	v_add_co_u32 v0, vcc_lo, v0, v2
	v_add_co_ci_u32_e64 v1, null, 0, v1, vcc_lo
	v_fma_f64 v[5:6], s[10:11], v[3:4], v[7:8]
	v_fma_f64 v[3:4], s[8:9], v[3:4], -v[11:12]
	global_store_dwordx4 v[0:1], v[3:6], off
.LBB138_15:
	s_endpgm
	.section	.rodata,"a",@progbits
	.p2align	6, 0x0
	.amdhsa_kernel _ZL23rocblas_trmm_rNx_kernelILi16E19rocblas_complex_numIdEPKS1_S2_S1_Ev13rocblas_fill_17rocblas_diagonal_iiT1_lPT2_llS8_llPT3_lli
		.amdhsa_group_segment_fixed_size 8192
		.amdhsa_private_segment_fixed_size 0
		.amdhsa_kernarg_size 108
		.amdhsa_user_sgpr_count 6
		.amdhsa_user_sgpr_private_segment_buffer 1
		.amdhsa_user_sgpr_dispatch_ptr 0
		.amdhsa_user_sgpr_queue_ptr 0
		.amdhsa_user_sgpr_kernarg_segment_ptr 1
		.amdhsa_user_sgpr_dispatch_id 0
		.amdhsa_user_sgpr_flat_scratch_init 0
		.amdhsa_user_sgpr_private_segment_size 0
		.amdhsa_wavefront_size32 1
		.amdhsa_uses_dynamic_stack 0
		.amdhsa_system_sgpr_private_segment_wavefront_offset 0
		.amdhsa_system_sgpr_workgroup_id_x 1
		.amdhsa_system_sgpr_workgroup_id_y 0
		.amdhsa_system_sgpr_workgroup_id_z 1
		.amdhsa_system_sgpr_workgroup_info 0
		.amdhsa_system_vgpr_workitem_id 1
		.amdhsa_next_free_vgpr 45
		.amdhsa_next_free_sgpr 28
		.amdhsa_reserve_vcc 1
		.amdhsa_reserve_flat_scratch 0
		.amdhsa_float_round_mode_32 0
		.amdhsa_float_round_mode_16_64 0
		.amdhsa_float_denorm_mode_32 3
		.amdhsa_float_denorm_mode_16_64 3
		.amdhsa_dx10_clamp 1
		.amdhsa_ieee_mode 1
		.amdhsa_fp16_overflow 0
		.amdhsa_workgroup_processor_mode 1
		.amdhsa_memory_ordered 1
		.amdhsa_forward_progress 1
		.amdhsa_shared_vgpr_count 0
		.amdhsa_exception_fp_ieee_invalid_op 0
		.amdhsa_exception_fp_denorm_src 0
		.amdhsa_exception_fp_ieee_div_zero 0
		.amdhsa_exception_fp_ieee_overflow 0
		.amdhsa_exception_fp_ieee_underflow 0
		.amdhsa_exception_fp_ieee_inexact 0
		.amdhsa_exception_int_div_zero 0
	.end_amdhsa_kernel
	.section	.text._ZL23rocblas_trmm_rNx_kernelILi16E19rocblas_complex_numIdEPKS1_S2_S1_Ev13rocblas_fill_17rocblas_diagonal_iiT1_lPT2_llS8_llPT3_lli,"axG",@progbits,_ZL23rocblas_trmm_rNx_kernelILi16E19rocblas_complex_numIdEPKS1_S2_S1_Ev13rocblas_fill_17rocblas_diagonal_iiT1_lPT2_llS8_llPT3_lli,comdat
.Lfunc_end138:
	.size	_ZL23rocblas_trmm_rNx_kernelILi16E19rocblas_complex_numIdEPKS1_S2_S1_Ev13rocblas_fill_17rocblas_diagonal_iiT1_lPT2_llS8_llPT3_lli, .Lfunc_end138-_ZL23rocblas_trmm_rNx_kernelILi16E19rocblas_complex_numIdEPKS1_S2_S1_Ev13rocblas_fill_17rocblas_diagonal_iiT1_lPT2_llS8_llPT3_lli
                                        ; -- End function
	.set _ZL23rocblas_trmm_rNx_kernelILi16E19rocblas_complex_numIdEPKS1_S2_S1_Ev13rocblas_fill_17rocblas_diagonal_iiT1_lPT2_llS8_llPT3_lli.num_vgpr, 45
	.set _ZL23rocblas_trmm_rNx_kernelILi16E19rocblas_complex_numIdEPKS1_S2_S1_Ev13rocblas_fill_17rocblas_diagonal_iiT1_lPT2_llS8_llPT3_lli.num_agpr, 0
	.set _ZL23rocblas_trmm_rNx_kernelILi16E19rocblas_complex_numIdEPKS1_S2_S1_Ev13rocblas_fill_17rocblas_diagonal_iiT1_lPT2_llS8_llPT3_lli.numbered_sgpr, 28
	.set _ZL23rocblas_trmm_rNx_kernelILi16E19rocblas_complex_numIdEPKS1_S2_S1_Ev13rocblas_fill_17rocblas_diagonal_iiT1_lPT2_llS8_llPT3_lli.num_named_barrier, 0
	.set _ZL23rocblas_trmm_rNx_kernelILi16E19rocblas_complex_numIdEPKS1_S2_S1_Ev13rocblas_fill_17rocblas_diagonal_iiT1_lPT2_llS8_llPT3_lli.private_seg_size, 0
	.set _ZL23rocblas_trmm_rNx_kernelILi16E19rocblas_complex_numIdEPKS1_S2_S1_Ev13rocblas_fill_17rocblas_diagonal_iiT1_lPT2_llS8_llPT3_lli.uses_vcc, 1
	.set _ZL23rocblas_trmm_rNx_kernelILi16E19rocblas_complex_numIdEPKS1_S2_S1_Ev13rocblas_fill_17rocblas_diagonal_iiT1_lPT2_llS8_llPT3_lli.uses_flat_scratch, 0
	.set _ZL23rocblas_trmm_rNx_kernelILi16E19rocblas_complex_numIdEPKS1_S2_S1_Ev13rocblas_fill_17rocblas_diagonal_iiT1_lPT2_llS8_llPT3_lli.has_dyn_sized_stack, 0
	.set _ZL23rocblas_trmm_rNx_kernelILi16E19rocblas_complex_numIdEPKS1_S2_S1_Ev13rocblas_fill_17rocblas_diagonal_iiT1_lPT2_llS8_llPT3_lli.has_recursion, 0
	.set _ZL23rocblas_trmm_rNx_kernelILi16E19rocblas_complex_numIdEPKS1_S2_S1_Ev13rocblas_fill_17rocblas_diagonal_iiT1_lPT2_llS8_llPT3_lli.has_indirect_call, 0
	.section	.AMDGPU.csdata,"",@progbits
; Kernel info:
; codeLenInByte = 1900
; TotalNumSgprs: 30
; NumVgprs: 45
; ScratchSize: 0
; MemoryBound: 0
; FloatMode: 240
; IeeeMode: 1
; LDSByteSize: 8192 bytes/workgroup (compile time only)
; SGPRBlocks: 0
; VGPRBlocks: 5
; NumSGPRsForWavesPerEU: 30
; NumVGPRsForWavesPerEU: 45
; Occupancy: 16
; WaveLimiterHint : 0
; COMPUTE_PGM_RSRC2:SCRATCH_EN: 0
; COMPUTE_PGM_RSRC2:USER_SGPR: 6
; COMPUTE_PGM_RSRC2:TRAP_HANDLER: 0
; COMPUTE_PGM_RSRC2:TGID_X_EN: 1
; COMPUTE_PGM_RSRC2:TGID_Y_EN: 0
; COMPUTE_PGM_RSRC2:TGID_Z_EN: 1
; COMPUTE_PGM_RSRC2:TIDIG_COMP_CNT: 1
	.section	.text._ZL23rocblas_trmm_rNx_kernelILi16E19rocblas_complex_numIdES1_KS1_S1_Ev13rocblas_fill_17rocblas_diagonal_iiT1_lPT2_llS7_llPT3_lli,"axG",@progbits,_ZL23rocblas_trmm_rNx_kernelILi16E19rocblas_complex_numIdES1_KS1_S1_Ev13rocblas_fill_17rocblas_diagonal_iiT1_lPT2_llS7_llPT3_lli,comdat
	.globl	_ZL23rocblas_trmm_rNx_kernelILi16E19rocblas_complex_numIdES1_KS1_S1_Ev13rocblas_fill_17rocblas_diagonal_iiT1_lPT2_llS7_llPT3_lli ; -- Begin function _ZL23rocblas_trmm_rNx_kernelILi16E19rocblas_complex_numIdES1_KS1_S1_Ev13rocblas_fill_17rocblas_diagonal_iiT1_lPT2_llS7_llPT3_lli
	.p2align	8
	.type	_ZL23rocblas_trmm_rNx_kernelILi16E19rocblas_complex_numIdES1_KS1_S1_Ev13rocblas_fill_17rocblas_diagonal_iiT1_lPT2_llS7_llPT3_lli,@function
_ZL23rocblas_trmm_rNx_kernelILi16E19rocblas_complex_numIdES1_KS1_S1_Ev13rocblas_fill_17rocblas_diagonal_iiT1_lPT2_llS7_llPT3_lli: ; @_ZL23rocblas_trmm_rNx_kernelILi16E19rocblas_complex_numIdES1_KS1_S1_Ev13rocblas_fill_17rocblas_diagonal_iiT1_lPT2_llS7_llPT3_lli
; %bb.0:
	s_load_dwordx4 s[24:27], s[4:5], 0x10
	s_waitcnt lgkmcnt(0)
	v_cmp_neq_f64_e64 s0, s[24:25], 0
	v_cmp_neq_f64_e64 s1, s[26:27], 0
	s_or_b32 s0, s0, s1
	s_andn2_b32 vcc_lo, exec_lo, s0
	s_cbranch_vccnz .LBB139_15
; %bb.1:
	s_clause 0x1
	s_load_dwordx4 s[28:31], s[4:5], 0x0
	s_load_dwordx16 s[8:23], s[4:5], 0x28
	s_mov_b32 s0, 0
	v_lshlrev_b32_e32 v3, 4, v1
	s_mov_b32 s3, s0
	s_mov_b32 s1, s0
	;; [unrolled: 1-line block ×3, first 2 shown]
	v_mov_b32_e32 v8, s3
	v_mov_b32_e32 v7, s2
	v_mov_b32_e32 v6, s1
	v_mov_b32_e32 v5, s0
	v_add_lshl_u32 v4, v3, v0, 4
	v_lshlrev_b32_e32 v2, 4, v0
	ds_write_b128 v4, v[5:8]
	ds_write_b128 v4, v[5:8] offset:4096
	s_waitcnt lgkmcnt(0)
	v_cmp_gt_i32_e32 vcc_lo, s31, v1
	v_cmp_gt_i32_e64 s0, s31, v0
	s_and_b32 s0, vcc_lo, s0
	s_and_saveexec_b32 s1, s0
	s_cbranch_execz .LBB139_3
; %bb.2:
	v_mad_u64_u32 v[5:6], null, s10, v1, 0
	s_mul_i32 s0, s13, s7
	s_mul_hi_u32 s3, s12, s7
	s_mul_i32 s2, s12, s7
	s_add_i32 s3, s3, s0
	s_lshl_b64 s[2:3], s[2:3], 4
	v_mad_u64_u32 v[6:7], null, s11, v1, v[6:7]
	s_add_u32 s0, s8, s2
	s_addc_u32 s2, s9, s3
	v_lshlrev_b64 v[5:6], 4, v[5:6]
	v_add_co_u32 v5, s0, s0, v5
	v_add_co_ci_u32_e64 v6, null, s2, v6, s0
	v_add_co_u32 v5, s0, v5, v2
	v_add_co_ci_u32_e64 v6, null, 0, v6, s0
	global_load_dwordx4 v[5:8], v[5:6], off
	s_waitcnt vmcnt(0)
	ds_write2_b64 v4, v[5:6], v[7:8] offset1:1
.LBB139_3:
	s_or_b32 exec_lo, exec_lo, s1
	s_add_i32 s0, s30, -1
	s_ashr_i32 s1, s0, 31
	s_lshr_b32 s1, s1, 28
	s_add_i32 s0, s0, s1
	s_and_b32 s1, s0, -16
	s_ashr_i32 s0, s0, 4
	s_sub_i32 s1, s30, s1
	s_cmp_ge_i32 s6, s0
	s_cselect_b32 s0, s1, 16
	s_lshl_b32 s2, s6, 4
	v_cmp_gt_i32_e64 s0, s0, v0
	s_ashr_i32 s3, s2, 31
	s_and_b32 s0, vcc_lo, s0
	s_and_saveexec_b32 s1, s0
	s_cbranch_execz .LBB139_5
; %bb.4:
	v_mad_u64_u32 v[5:6], null, s16, v1, 0
	s_mul_i32 s6, s19, s7
	s_mul_hi_u32 s9, s18, s7
	s_mul_i32 s8, s18, s7
	s_add_i32 s9, s9, s6
	v_add_nc_u32_e32 v9, 0x1000, v4
	s_lshl_b64 s[8:9], s[8:9], 4
	v_mad_u64_u32 v[6:7], null, s17, v1, v[6:7]
	s_add_u32 s6, s14, s8
	s_addc_u32 s10, s15, s9
	s_lshl_b64 s[8:9], s[2:3], 4
	s_add_u32 s6, s6, s8
	s_addc_u32 s8, s10, s9
	v_lshlrev_b64 v[5:6], 4, v[5:6]
	v_add_co_u32 v5, vcc_lo, s6, v5
	v_add_co_ci_u32_e64 v6, null, s8, v6, vcc_lo
	v_add_co_u32 v5, vcc_lo, v5, v2
	v_add_co_ci_u32_e64 v6, null, 0, v6, vcc_lo
	global_load_dwordx4 v[5:8], v[5:6], off
	s_waitcnt vmcnt(0)
	ds_write2_b64 v9, v[5:6], v[7:8] offset1:1
.LBB139_5:
	s_or_b32 exec_lo, exec_lo, s1
	v_cmp_eq_u32_e32 vcc_lo, v1, v0
	s_cmpk_eq_i32 s29, 0x84
	s_cselect_b32 s1, -1, 0
	s_and_b32 s6, vcc_lo, s1
	s_and_saveexec_b32 s1, s6
	s_cbranch_execz .LBB139_7
; %bb.6:
	v_mov_b32_e32 v5, 0
	v_mov_b32_e32 v6, 0x3ff00000
	;; [unrolled: 1-line block ×4, first 2 shown]
	ds_write_b128 v4, v[5:8]
.LBB139_7:
	s_or_b32 exec_lo, exec_lo, s1
	s_cmpk_lg_i32 s28, 0x79
	s_cbranch_scc0 .LBB139_9
; %bb.8:
	v_cmp_lt_u32_e32 vcc_lo, v0, v1
	s_and_b32 s1, vcc_lo, exec_lo
	s_cbranch_execz .LBB139_10
	s_branch .LBB139_11
.LBB139_9:
	s_mov_b32 s1, 0
.LBB139_10:
	v_cmp_gt_u32_e32 vcc_lo, v0, v1
	s_andn2_b32 s1, s1, exec_lo
	s_and_b32 s6, vcc_lo, exec_lo
	s_or_b32 s1, s1, s6
.LBB139_11:
	s_and_saveexec_b32 s6, s1
	s_cbranch_execz .LBB139_13
; %bb.12:
	v_mov_b32_e32 v5, 0
	v_mov_b32_e32 v6, v5
	;; [unrolled: 1-line block ×4, first 2 shown]
	ds_write_b128 v4, v[5:8]
.LBB139_13:
	s_or_b32 exec_lo, exec_lo, s6
	s_waitcnt lgkmcnt(0)
	s_barrier
	buffer_gl0_inv
	s_and_saveexec_b32 s1, s0
	s_cbranch_execz .LBB139_15
; %bb.14:
	v_lshlrev_b32_e32 v0, 4, v3
	s_load_dwordx2 s[0:1], s[4:5], 0x68
	ds_read_b128 v[3:6], v0
	ds_read_b128 v[7:10], v2 offset:4096
	ds_read_b128 v[11:14], v2 offset:4352
	;; [unrolled: 1-line block ×5, first 2 shown]
	s_waitcnt lgkmcnt(0)
	s_mul_i32 s1, s1, s7
	s_mul_hi_u32 s4, s0, s7
	v_mul_f64 v[27:28], v[3:4], v[9:10]
	v_mul_f64 v[9:10], v[5:6], v[9:10]
	;; [unrolled: 1-line block ×6, first 2 shown]
	s_mul_i32 s0, s0, s7
	s_add_i32 s1, s4, s1
	s_lshl_b64 s[0:1], s[0:1], 4
	s_add_u32 s4, s20, s0
	s_addc_u32 s5, s21, s1
	s_lshl_b64 s[0:1], s[2:3], 4
	s_add_u32 s0, s4, s0
	s_addc_u32 s1, s5, s1
	v_fma_f64 v[5:6], v[5:6], v[7:8], v[27:28]
	ds_read_b128 v[27:30], v2 offset:4864
	ds_read_b128 v[31:34], v0 offset:48
	v_fma_f64 v[17:18], v[17:18], v[11:12], v[35:36]
	v_fma_f64 v[35:36], v[3:4], v[7:8], -v[9:10]
	v_fma_f64 v[25:26], v[25:26], v[19:20], v[37:38]
	v_fma_f64 v[37:38], v[15:16], v[11:12], -v[13:14]
	s_waitcnt lgkmcnt(0)
	v_mul_f64 v[41:42], v[31:32], v[29:30]
	v_add_f64 v[39:40], v[5:6], 0
	ds_read_b128 v[3:6], v2 offset:5120
	ds_read_b128 v[7:10], v0 offset:64
	v_mul_f64 v[29:30], v[33:34], v[29:30]
	v_add_f64 v[35:36], v[35:36], 0
	s_waitcnt lgkmcnt(0)
	v_mul_f64 v[43:44], v[7:8], v[5:6]
	v_add_f64 v[39:40], v[39:40], v[17:18]
	v_fma_f64 v[33:34], v[33:34], v[27:28], v[41:42]
	v_fma_f64 v[41:42], v[23:24], v[19:20], -v[21:22]
	v_add_f64 v[35:36], v[35:36], v[37:38]
	ds_read_b128 v[11:14], v2 offset:5376
	ds_read_b128 v[15:18], v0 offset:80
	v_mul_f64 v[5:6], v[9:10], v[5:6]
	v_fma_f64 v[9:10], v[9:10], v[3:4], v[43:44]
	v_add_f64 v[37:38], v[39:40], v[25:26]
	v_fma_f64 v[43:44], v[31:32], v[27:28], -v[29:30]
	s_waitcnt lgkmcnt(0)
	v_mul_f64 v[39:40], v[15:16], v[13:14]
	v_add_f64 v[35:36], v[35:36], v[41:42]
	ds_read_b128 v[19:22], v2 offset:5632
	ds_read_b128 v[23:26], v0 offset:96
	v_mul_f64 v[13:14], v[17:18], v[13:14]
	v_add_f64 v[37:38], v[37:38], v[33:34]
	ds_read_b128 v[27:30], v2 offset:5888
	ds_read_b128 v[31:34], v0 offset:112
	s_waitcnt lgkmcnt(2)
	v_mul_f64 v[41:42], v[23:24], v[21:22]
	v_fma_f64 v[17:18], v[17:18], v[11:12], v[39:40]
	v_fma_f64 v[39:40], v[7:8], v[3:4], -v[5:6]
	v_add_f64 v[35:36], v[35:36], v[43:44]
	v_mul_f64 v[21:22], v[25:26], v[21:22]
	s_waitcnt lgkmcnt(0)
	v_mul_f64 v[43:44], v[31:32], v[29:30]
	v_add_f64 v[37:38], v[37:38], v[9:10]
	ds_read_b128 v[3:6], v2 offset:6144
	ds_read_b128 v[7:10], v0 offset:128
	v_fma_f64 v[25:26], v[25:26], v[19:20], v[41:42]
	v_fma_f64 v[41:42], v[15:16], v[11:12], -v[13:14]
	v_mul_f64 v[29:30], v[33:34], v[29:30]
	v_add_f64 v[35:36], v[35:36], v[39:40]
	s_waitcnt lgkmcnt(0)
	v_mul_f64 v[39:40], v[7:8], v[5:6]
	v_add_f64 v[37:38], v[37:38], v[17:18]
	v_fma_f64 v[33:34], v[33:34], v[27:28], v[43:44]
	v_fma_f64 v[43:44], v[23:24], v[19:20], -v[21:22]
	ds_read_b128 v[11:14], v2 offset:6400
	ds_read_b128 v[15:18], v0 offset:144
	v_mul_f64 v[5:6], v[9:10], v[5:6]
	v_add_f64 v[35:36], v[35:36], v[41:42]
	v_fma_f64 v[9:10], v[9:10], v[3:4], v[39:40]
	v_add_f64 v[37:38], v[37:38], v[25:26]
	s_waitcnt lgkmcnt(0)
	v_mul_f64 v[41:42], v[15:16], v[13:14]
	v_fma_f64 v[39:40], v[31:32], v[27:28], -v[29:30]
	ds_read_b128 v[19:22], v2 offset:6656
	ds_read_b128 v[23:26], v0 offset:160
	v_mul_f64 v[13:14], v[17:18], v[13:14]
	v_add_f64 v[35:36], v[35:36], v[43:44]
	v_add_f64 v[37:38], v[37:38], v[33:34]
	s_waitcnt lgkmcnt(0)
	v_mul_f64 v[43:44], v[23:24], v[21:22]
	v_fma_f64 v[17:18], v[17:18], v[11:12], v[41:42]
	v_fma_f64 v[41:42], v[7:8], v[3:4], -v[5:6]
	ds_read_b128 v[27:30], v2 offset:6912
	ds_read_b128 v[31:34], v0 offset:176
	v_add_f64 v[35:36], v[35:36], v[39:40]
	v_mul_f64 v[21:22], v[25:26], v[21:22]
	v_add_f64 v[37:38], v[37:38], v[9:10]
	v_fma_f64 v[25:26], v[25:26], v[19:20], v[43:44]
	s_waitcnt lgkmcnt(0)
	v_mul_f64 v[39:40], v[31:32], v[29:30]
	v_fma_f64 v[43:44], v[15:16], v[11:12], -v[13:14]
	ds_read_b128 v[3:6], v2 offset:7168
	ds_read_b128 v[7:10], v0 offset:192
	v_add_f64 v[35:36], v[35:36], v[41:42]
	v_mul_f64 v[29:30], v[33:34], v[29:30]
	v_add_f64 v[37:38], v[37:38], v[17:18]
	ds_read_b128 v[11:14], v2 offset:7424
	ds_read_b128 v[15:18], v0 offset:208
	s_waitcnt lgkmcnt(2)
	v_mul_f64 v[41:42], v[7:8], v[5:6]
	v_fma_f64 v[33:34], v[33:34], v[27:28], v[39:40]
	v_fma_f64 v[39:40], v[23:24], v[19:20], -v[21:22]
	v_add_f64 v[35:36], v[35:36], v[43:44]
	v_mul_f64 v[5:6], v[9:10], v[5:6]
	s_waitcnt lgkmcnt(0)
	v_mul_f64 v[43:44], v[15:16], v[13:14]
	v_add_f64 v[37:38], v[37:38], v[25:26]
	ds_read_b128 v[19:22], v2 offset:7680
	ds_read_b128 v[23:26], v0 offset:224
	v_fma_f64 v[9:10], v[9:10], v[3:4], v[41:42]
	v_fma_f64 v[41:42], v[31:32], v[27:28], -v[29:30]
	v_mul_f64 v[13:14], v[17:18], v[13:14]
	v_add_f64 v[35:36], v[35:36], v[39:40]
	v_fma_f64 v[3:4], v[7:8], v[3:4], -v[5:6]
	s_waitcnt lgkmcnt(0)
	v_mul_f64 v[39:40], v[23:24], v[21:22]
	v_add_f64 v[37:38], v[37:38], v[33:34]
	v_fma_f64 v[17:18], v[17:18], v[11:12], v[43:44]
	ds_read_b128 v[27:30], v2 offset:7936
	ds_read_b128 v[31:34], v0 offset:240
	v_mul_f64 v[21:22], v[25:26], v[21:22]
	v_fma_f64 v[11:12], v[15:16], v[11:12], -v[13:14]
	v_add_f64 v[5:6], v[35:36], v[41:42]
	v_fma_f64 v[25:26], v[25:26], v[19:20], v[39:40]
	v_add_f64 v[7:8], v[37:38], v[9:10]
	s_waitcnt lgkmcnt(0)
	v_mul_f64 v[9:10], v[31:32], v[29:30]
	v_fma_f64 v[13:14], v[23:24], v[19:20], -v[21:22]
	v_add_f64 v[3:4], v[5:6], v[3:4]
	v_add_f64 v[5:6], v[7:8], v[17:18]
	v_mul_f64 v[7:8], v[33:34], v[29:30]
	v_fma_f64 v[9:10], v[33:34], v[27:28], v[9:10]
	v_add_f64 v[3:4], v[3:4], v[11:12]
	v_add_f64 v[5:6], v[5:6], v[25:26]
	v_fma_f64 v[7:8], v[31:32], v[27:28], -v[7:8]
	v_add_f64 v[3:4], v[3:4], v[13:14]
	v_add_f64 v[5:6], v[5:6], v[9:10]
	v_mad_u64_u32 v[9:10], null, s22, v1, 0
	v_add_f64 v[3:4], v[3:4], v[7:8]
	v_mov_b32_e32 v0, v10
	v_mad_u64_u32 v[0:1], null, s23, v1, v[0:1]
	v_mov_b32_e32 v10, v0
	v_mul_f64 v[7:8], s[24:25], v[5:6]
	v_mul_f64 v[11:12], s[26:27], v[5:6]
	v_lshlrev_b64 v[0:1], 4, v[9:10]
	v_add_co_u32 v0, vcc_lo, s0, v0
	v_add_co_ci_u32_e64 v1, null, s1, v1, vcc_lo
	v_add_co_u32 v0, vcc_lo, v0, v2
	v_add_co_ci_u32_e64 v1, null, 0, v1, vcc_lo
	v_fma_f64 v[5:6], s[26:27], v[3:4], v[7:8]
	v_fma_f64 v[3:4], s[24:25], v[3:4], -v[11:12]
	global_store_dwordx4 v[0:1], v[3:6], off
.LBB139_15:
	s_endpgm
	.section	.rodata,"a",@progbits
	.p2align	6, 0x0
	.amdhsa_kernel _ZL23rocblas_trmm_rNx_kernelILi16E19rocblas_complex_numIdES1_KS1_S1_Ev13rocblas_fill_17rocblas_diagonal_iiT1_lPT2_llS7_llPT3_lli
		.amdhsa_group_segment_fixed_size 8192
		.amdhsa_private_segment_fixed_size 0
		.amdhsa_kernarg_size 116
		.amdhsa_user_sgpr_count 6
		.amdhsa_user_sgpr_private_segment_buffer 1
		.amdhsa_user_sgpr_dispatch_ptr 0
		.amdhsa_user_sgpr_queue_ptr 0
		.amdhsa_user_sgpr_kernarg_segment_ptr 1
		.amdhsa_user_sgpr_dispatch_id 0
		.amdhsa_user_sgpr_flat_scratch_init 0
		.amdhsa_user_sgpr_private_segment_size 0
		.amdhsa_wavefront_size32 1
		.amdhsa_uses_dynamic_stack 0
		.amdhsa_system_sgpr_private_segment_wavefront_offset 0
		.amdhsa_system_sgpr_workgroup_id_x 1
		.amdhsa_system_sgpr_workgroup_id_y 0
		.amdhsa_system_sgpr_workgroup_id_z 1
		.amdhsa_system_sgpr_workgroup_info 0
		.amdhsa_system_vgpr_workitem_id 1
		.amdhsa_next_free_vgpr 45
		.amdhsa_next_free_sgpr 32
		.amdhsa_reserve_vcc 1
		.amdhsa_reserve_flat_scratch 0
		.amdhsa_float_round_mode_32 0
		.amdhsa_float_round_mode_16_64 0
		.amdhsa_float_denorm_mode_32 3
		.amdhsa_float_denorm_mode_16_64 3
		.amdhsa_dx10_clamp 1
		.amdhsa_ieee_mode 1
		.amdhsa_fp16_overflow 0
		.amdhsa_workgroup_processor_mode 1
		.amdhsa_memory_ordered 1
		.amdhsa_forward_progress 1
		.amdhsa_shared_vgpr_count 0
		.amdhsa_exception_fp_ieee_invalid_op 0
		.amdhsa_exception_fp_denorm_src 0
		.amdhsa_exception_fp_ieee_div_zero 0
		.amdhsa_exception_fp_ieee_overflow 0
		.amdhsa_exception_fp_ieee_underflow 0
		.amdhsa_exception_fp_ieee_inexact 0
		.amdhsa_exception_int_div_zero 0
	.end_amdhsa_kernel
	.section	.text._ZL23rocblas_trmm_rNx_kernelILi16E19rocblas_complex_numIdES1_KS1_S1_Ev13rocblas_fill_17rocblas_diagonal_iiT1_lPT2_llS7_llPT3_lli,"axG",@progbits,_ZL23rocblas_trmm_rNx_kernelILi16E19rocblas_complex_numIdES1_KS1_S1_Ev13rocblas_fill_17rocblas_diagonal_iiT1_lPT2_llS7_llPT3_lli,comdat
.Lfunc_end139:
	.size	_ZL23rocblas_trmm_rNx_kernelILi16E19rocblas_complex_numIdES1_KS1_S1_Ev13rocblas_fill_17rocblas_diagonal_iiT1_lPT2_llS7_llPT3_lli, .Lfunc_end139-_ZL23rocblas_trmm_rNx_kernelILi16E19rocblas_complex_numIdES1_KS1_S1_Ev13rocblas_fill_17rocblas_diagonal_iiT1_lPT2_llS7_llPT3_lli
                                        ; -- End function
	.set _ZL23rocblas_trmm_rNx_kernelILi16E19rocblas_complex_numIdES1_KS1_S1_Ev13rocblas_fill_17rocblas_diagonal_iiT1_lPT2_llS7_llPT3_lli.num_vgpr, 45
	.set _ZL23rocblas_trmm_rNx_kernelILi16E19rocblas_complex_numIdES1_KS1_S1_Ev13rocblas_fill_17rocblas_diagonal_iiT1_lPT2_llS7_llPT3_lli.num_agpr, 0
	.set _ZL23rocblas_trmm_rNx_kernelILi16E19rocblas_complex_numIdES1_KS1_S1_Ev13rocblas_fill_17rocblas_diagonal_iiT1_lPT2_llS7_llPT3_lli.numbered_sgpr, 32
	.set _ZL23rocblas_trmm_rNx_kernelILi16E19rocblas_complex_numIdES1_KS1_S1_Ev13rocblas_fill_17rocblas_diagonal_iiT1_lPT2_llS7_llPT3_lli.num_named_barrier, 0
	.set _ZL23rocblas_trmm_rNx_kernelILi16E19rocblas_complex_numIdES1_KS1_S1_Ev13rocblas_fill_17rocblas_diagonal_iiT1_lPT2_llS7_llPT3_lli.private_seg_size, 0
	.set _ZL23rocblas_trmm_rNx_kernelILi16E19rocblas_complex_numIdES1_KS1_S1_Ev13rocblas_fill_17rocblas_diagonal_iiT1_lPT2_llS7_llPT3_lli.uses_vcc, 1
	.set _ZL23rocblas_trmm_rNx_kernelILi16E19rocblas_complex_numIdES1_KS1_S1_Ev13rocblas_fill_17rocblas_diagonal_iiT1_lPT2_llS7_llPT3_lli.uses_flat_scratch, 0
	.set _ZL23rocblas_trmm_rNx_kernelILi16E19rocblas_complex_numIdES1_KS1_S1_Ev13rocblas_fill_17rocblas_diagonal_iiT1_lPT2_llS7_llPT3_lli.has_dyn_sized_stack, 0
	.set _ZL23rocblas_trmm_rNx_kernelILi16E19rocblas_complex_numIdES1_KS1_S1_Ev13rocblas_fill_17rocblas_diagonal_iiT1_lPT2_llS7_llPT3_lli.has_recursion, 0
	.set _ZL23rocblas_trmm_rNx_kernelILi16E19rocblas_complex_numIdES1_KS1_S1_Ev13rocblas_fill_17rocblas_diagonal_iiT1_lPT2_llS7_llPT3_lli.has_indirect_call, 0
	.section	.AMDGPU.csdata,"",@progbits
; Kernel info:
; codeLenInByte = 1852
; TotalNumSgprs: 34
; NumVgprs: 45
; ScratchSize: 0
; MemoryBound: 0
; FloatMode: 240
; IeeeMode: 1
; LDSByteSize: 8192 bytes/workgroup (compile time only)
; SGPRBlocks: 0
; VGPRBlocks: 5
; NumSGPRsForWavesPerEU: 34
; NumVGPRsForWavesPerEU: 45
; Occupancy: 16
; WaveLimiterHint : 0
; COMPUTE_PGM_RSRC2:SCRATCH_EN: 0
; COMPUTE_PGM_RSRC2:USER_SGPR: 6
; COMPUTE_PGM_RSRC2:TRAP_HANDLER: 0
; COMPUTE_PGM_RSRC2:TGID_X_EN: 1
; COMPUTE_PGM_RSRC2:TGID_Y_EN: 0
; COMPUTE_PGM_RSRC2:TGID_Z_EN: 1
; COMPUTE_PGM_RSRC2:TIDIG_COMP_CNT: 1
	.section	.text._ZL23rocblas_trmm_rTx_kernelILi16ELb0E19rocblas_complex_numIdEPKS1_S2_S1_Ev13rocblas_fill_17rocblas_diagonal_iiT2_lPT3_llS8_llPT4_lli,"axG",@progbits,_ZL23rocblas_trmm_rTx_kernelILi16ELb0E19rocblas_complex_numIdEPKS1_S2_S1_Ev13rocblas_fill_17rocblas_diagonal_iiT2_lPT3_llS8_llPT4_lli,comdat
	.globl	_ZL23rocblas_trmm_rTx_kernelILi16ELb0E19rocblas_complex_numIdEPKS1_S2_S1_Ev13rocblas_fill_17rocblas_diagonal_iiT2_lPT3_llS8_llPT4_lli ; -- Begin function _ZL23rocblas_trmm_rTx_kernelILi16ELb0E19rocblas_complex_numIdEPKS1_S2_S1_Ev13rocblas_fill_17rocblas_diagonal_iiT2_lPT3_llS8_llPT4_lli
	.p2align	8
	.type	_ZL23rocblas_trmm_rTx_kernelILi16ELb0E19rocblas_complex_numIdEPKS1_S2_S1_Ev13rocblas_fill_17rocblas_diagonal_iiT2_lPT3_llS8_llPT4_lli,@function
_ZL23rocblas_trmm_rTx_kernelILi16ELb0E19rocblas_complex_numIdEPKS1_S2_S1_Ev13rocblas_fill_17rocblas_diagonal_iiT2_lPT3_llS8_llPT4_lli: ; @_ZL23rocblas_trmm_rTx_kernelILi16ELb0E19rocblas_complex_numIdEPKS1_S2_S1_Ev13rocblas_fill_17rocblas_diagonal_iiT2_lPT3_llS8_llPT4_lli
; %bb.0:
	s_load_dwordx16 s[8:23], s[4:5], 0x10
	s_waitcnt lgkmcnt(0)
	s_mul_i32 s1, s11, s7
	s_mul_hi_u32 s2, s10, s7
	s_mul_i32 s0, s10, s7
	s_add_i32 s1, s2, s1
	s_lshl_b64 s[0:1], s[0:1], 4
	s_add_u32 s0, s8, s0
	s_addc_u32 s1, s9, s1
	s_load_dwordx4 s[8:11], s[0:1], 0x0
	s_waitcnt lgkmcnt(0)
	v_cmp_neq_f64_e64 s0, s[8:9], 0
	v_cmp_neq_f64_e64 s1, s[10:11], 0
	s_or_b32 s0, s0, s1
	s_andn2_b32 vcc_lo, exec_lo, s0
	s_cbranch_vccnz .LBB140_15
; %bb.1:
	s_load_dwordx4 s[24:27], s[4:5], 0x0
	s_mov_b32 s0, 0
	v_lshlrev_b32_e32 v3, 4, v1
	s_mov_b32 s3, s0
	s_mov_b32 s1, s0
	;; [unrolled: 1-line block ×3, first 2 shown]
	v_mov_b32_e32 v8, s3
	v_mov_b32_e32 v7, s2
	;; [unrolled: 1-line block ×4, first 2 shown]
	v_add_lshl_u32 v4, v3, v0, 4
	v_lshlrev_b32_e32 v2, 4, v0
	ds_write_b128 v4, v[5:8]
	ds_write_b128 v4, v[5:8] offset:4096
	s_waitcnt lgkmcnt(0)
	v_cmp_gt_i32_e32 vcc_lo, s27, v1
	v_cmp_gt_i32_e64 s0, s27, v0
	s_and_b32 s0, vcc_lo, s0
	s_and_saveexec_b32 s1, s0
	s_cbranch_execz .LBB140_3
; %bb.2:
	v_mad_u64_u32 v[5:6], null, s14, v1, 0
	s_mul_i32 s0, s17, s7
	s_mul_hi_u32 s3, s16, s7
	s_mul_i32 s2, s16, s7
	s_add_i32 s3, s3, s0
	s_lshl_b64 s[2:3], s[2:3], 4
	v_mad_u64_u32 v[6:7], null, s15, v1, v[6:7]
	s_add_u32 s0, s12, s2
	s_addc_u32 s2, s13, s3
	v_lshlrev_b64 v[5:6], 4, v[5:6]
	v_add_co_u32 v5, s0, s0, v5
	v_add_co_ci_u32_e64 v6, null, s2, v6, s0
	v_add_co_u32 v5, s0, v5, v2
	v_add_co_ci_u32_e64 v6, null, 0, v6, s0
	global_load_dwordx4 v[5:8], v[5:6], off
	s_waitcnt vmcnt(0)
	ds_write2_b64 v4, v[5:6], v[7:8] offset1:1
.LBB140_3:
	s_or_b32 exec_lo, exec_lo, s1
	s_add_i32 s0, s26, -1
	s_ashr_i32 s1, s0, 31
	s_lshr_b32 s1, s1, 28
	s_add_i32 s0, s0, s1
	s_and_b32 s1, s0, -16
	s_ashr_i32 s0, s0, 4
	s_sub_i32 s1, s26, s1
	s_cmp_ge_i32 s6, s0
	s_cselect_b32 s0, s1, 16
	s_lshl_b32 s2, s6, 4
	v_cmp_gt_i32_e64 s0, s0, v0
	s_ashr_i32 s3, s2, 31
	s_and_b32 s0, vcc_lo, s0
	s_and_saveexec_b32 s1, s0
	s_cbranch_execz .LBB140_5
; %bb.4:
	v_mad_u64_u32 v[5:6], null, s20, v1, 0
	s_mul_i32 s6, s23, s7
	s_mul_hi_u32 s13, s22, s7
	s_mul_i32 s12, s22, s7
	s_add_i32 s13, s13, s6
	v_add_nc_u32_e32 v9, 0x1000, v4
	s_lshl_b64 s[12:13], s[12:13], 4
	v_mad_u64_u32 v[6:7], null, s21, v1, v[6:7]
	s_add_u32 s6, s18, s12
	s_addc_u32 s14, s19, s13
	s_lshl_b64 s[12:13], s[2:3], 4
	s_add_u32 s6, s6, s12
	s_addc_u32 s12, s14, s13
	v_lshlrev_b64 v[5:6], 4, v[5:6]
	v_add_co_u32 v5, vcc_lo, s6, v5
	v_add_co_ci_u32_e64 v6, null, s12, v6, vcc_lo
	v_add_co_u32 v5, vcc_lo, v5, v2
	v_add_co_ci_u32_e64 v6, null, 0, v6, vcc_lo
	global_load_dwordx4 v[5:8], v[5:6], off
	s_waitcnt vmcnt(0)
	ds_write2_b64 v9, v[5:6], v[7:8] offset1:1
.LBB140_5:
	s_or_b32 exec_lo, exec_lo, s1
	v_cmp_eq_u32_e32 vcc_lo, v1, v0
	s_cmpk_eq_i32 s25, 0x84
	s_cselect_b32 s1, -1, 0
	s_and_b32 s6, vcc_lo, s1
	s_and_saveexec_b32 s1, s6
	s_cbranch_execz .LBB140_7
; %bb.6:
	v_mov_b32_e32 v5, 0
	v_mov_b32_e32 v6, 0x3ff00000
	;; [unrolled: 1-line block ×4, first 2 shown]
	ds_write_b128 v4, v[5:8]
.LBB140_7:
	s_or_b32 exec_lo, exec_lo, s1
	s_cmpk_lg_i32 s24, 0x79
	s_cbranch_scc0 .LBB140_9
; %bb.8:
	v_cmp_lt_u32_e32 vcc_lo, v0, v1
	s_and_b32 s1, vcc_lo, exec_lo
	s_cbranch_execz .LBB140_10
	s_branch .LBB140_11
.LBB140_9:
	s_mov_b32 s1, 0
.LBB140_10:
	v_cmp_gt_u32_e32 vcc_lo, v0, v1
	s_andn2_b32 s1, s1, exec_lo
	s_and_b32 s6, vcc_lo, exec_lo
	s_or_b32 s1, s1, s6
.LBB140_11:
	s_and_saveexec_b32 s6, s1
	s_cbranch_execz .LBB140_13
; %bb.12:
	v_mov_b32_e32 v5, 0
	v_mov_b32_e32 v6, v5
	;; [unrolled: 1-line block ×4, first 2 shown]
	ds_write_b128 v4, v[5:8]
.LBB140_13:
	s_or_b32 exec_lo, exec_lo, s6
	s_waitcnt lgkmcnt(0)
	s_barrier
	buffer_gl0_inv
	s_and_saveexec_b32 s1, s0
	s_cbranch_execz .LBB140_15
; %bb.14:
	ds_read_b128 v[4:7], v2 offset:4096
	ds_read_b128 v[8:11], v3
	ds_read_b128 v[12:15], v3 offset:256
	ds_read_b128 v[16:19], v2 offset:4352
	;; [unrolled: 1-line block ×4, first 2 shown]
	s_waitcnt lgkmcnt(4)
	v_mul_f64 v[28:29], v[8:9], v[6:7]
	v_mul_f64 v[6:7], v[10:11], v[6:7]
	s_waitcnt lgkmcnt(2)
	v_mul_f64 v[36:37], v[12:13], v[18:19]
	s_waitcnt lgkmcnt(0)
	v_mul_f64 v[38:39], v[20:21], v[26:27]
	v_mul_f64 v[18:19], v[14:15], v[18:19]
	;; [unrolled: 1-line block ×3, first 2 shown]
	v_fma_f64 v[10:11], v[10:11], v[4:5], v[28:29]
	ds_read_b128 v[28:31], v3 offset:768
	ds_read_b128 v[32:35], v2 offset:4864
	v_fma_f64 v[14:15], v[14:15], v[16:17], v[36:37]
	v_fma_f64 v[36:37], v[8:9], v[4:5], -v[6:7]
	v_fma_f64 v[22:23], v[22:23], v[24:25], v[38:39]
	v_fma_f64 v[38:39], v[12:13], v[16:17], -v[18:19]
	s_waitcnt lgkmcnt(0)
	v_mul_f64 v[42:43], v[28:29], v[34:35]
	v_add_f64 v[40:41], v[10:11], 0
	ds_read_b128 v[4:7], v3 offset:1024
	ds_read_b128 v[8:11], v2 offset:5120
	v_mul_f64 v[34:35], v[30:31], v[34:35]
	v_add_f64 v[36:37], v[36:37], 0
	s_waitcnt lgkmcnt(0)
	v_mul_f64 v[44:45], v[4:5], v[10:11]
	v_add_f64 v[40:41], v[40:41], v[14:15]
	v_fma_f64 v[30:31], v[30:31], v[32:33], v[42:43]
	v_fma_f64 v[42:43], v[20:21], v[24:25], -v[26:27]
	v_add_f64 v[36:37], v[36:37], v[38:39]
	ds_read_b128 v[12:15], v3 offset:1280
	ds_read_b128 v[16:19], v2 offset:5376
	v_mul_f64 v[10:11], v[6:7], v[10:11]
	v_fma_f64 v[6:7], v[6:7], v[8:9], v[44:45]
	v_add_f64 v[38:39], v[40:41], v[22:23]
	v_fma_f64 v[44:45], v[28:29], v[32:33], -v[34:35]
	s_waitcnt lgkmcnt(0)
	v_mul_f64 v[40:41], v[12:13], v[18:19]
	v_add_f64 v[36:37], v[36:37], v[42:43]
	ds_read_b128 v[20:23], v3 offset:1536
	ds_read_b128 v[24:27], v2 offset:5632
	v_mul_f64 v[18:19], v[14:15], v[18:19]
	v_add_f64 v[38:39], v[38:39], v[30:31]
	ds_read_b128 v[28:31], v3 offset:1792
	ds_read_b128 v[32:35], v2 offset:5888
	s_waitcnt lgkmcnt(2)
	v_mul_f64 v[42:43], v[20:21], v[26:27]
	v_fma_f64 v[14:15], v[14:15], v[16:17], v[40:41]
	v_fma_f64 v[40:41], v[4:5], v[8:9], -v[10:11]
	v_add_f64 v[36:37], v[36:37], v[44:45]
	v_mul_f64 v[26:27], v[22:23], v[26:27]
	s_waitcnt lgkmcnt(0)
	v_mul_f64 v[44:45], v[28:29], v[34:35]
	v_add_f64 v[38:39], v[38:39], v[6:7]
	ds_read_b128 v[4:7], v3 offset:2048
	ds_read_b128 v[8:11], v2 offset:6144
	v_fma_f64 v[22:23], v[22:23], v[24:25], v[42:43]
	v_fma_f64 v[42:43], v[12:13], v[16:17], -v[18:19]
	v_mul_f64 v[34:35], v[30:31], v[34:35]
	v_add_f64 v[36:37], v[36:37], v[40:41]
	s_waitcnt lgkmcnt(0)
	v_mul_f64 v[40:41], v[4:5], v[10:11]
	v_add_f64 v[38:39], v[38:39], v[14:15]
	v_fma_f64 v[30:31], v[30:31], v[32:33], v[44:45]
	v_fma_f64 v[44:45], v[20:21], v[24:25], -v[26:27]
	ds_read_b128 v[12:15], v3 offset:2304
	ds_read_b128 v[16:19], v2 offset:6400
	v_mul_f64 v[10:11], v[6:7], v[10:11]
	v_add_f64 v[36:37], v[36:37], v[42:43]
	v_fma_f64 v[6:7], v[6:7], v[8:9], v[40:41]
	v_add_f64 v[38:39], v[38:39], v[22:23]
	s_waitcnt lgkmcnt(0)
	v_mul_f64 v[42:43], v[12:13], v[18:19]
	v_fma_f64 v[40:41], v[28:29], v[32:33], -v[34:35]
	ds_read_b128 v[20:23], v3 offset:2560
	ds_read_b128 v[24:27], v2 offset:6656
	v_mul_f64 v[18:19], v[14:15], v[18:19]
	v_add_f64 v[36:37], v[36:37], v[44:45]
	v_add_f64 v[38:39], v[38:39], v[30:31]
	s_waitcnt lgkmcnt(0)
	v_mul_f64 v[44:45], v[20:21], v[26:27]
	v_fma_f64 v[14:15], v[14:15], v[16:17], v[42:43]
	v_fma_f64 v[42:43], v[4:5], v[8:9], -v[10:11]
	ds_read_b128 v[28:31], v3 offset:2816
	ds_read_b128 v[32:35], v2 offset:6912
	v_add_f64 v[36:37], v[36:37], v[40:41]
	v_mul_f64 v[26:27], v[22:23], v[26:27]
	v_add_f64 v[38:39], v[38:39], v[6:7]
	v_fma_f64 v[22:23], v[22:23], v[24:25], v[44:45]
	s_waitcnt lgkmcnt(0)
	v_mul_f64 v[40:41], v[28:29], v[34:35]
	v_fma_f64 v[44:45], v[12:13], v[16:17], -v[18:19]
	ds_read_b128 v[4:7], v3 offset:3072
	ds_read_b128 v[8:11], v2 offset:7168
	v_add_f64 v[36:37], v[36:37], v[42:43]
	v_mul_f64 v[34:35], v[30:31], v[34:35]
	v_add_f64 v[38:39], v[38:39], v[14:15]
	ds_read_b128 v[12:15], v3 offset:3328
	ds_read_b128 v[16:19], v2 offset:7424
	s_waitcnt lgkmcnt(2)
	v_mul_f64 v[42:43], v[4:5], v[10:11]
	v_fma_f64 v[30:31], v[30:31], v[32:33], v[40:41]
	v_fma_f64 v[40:41], v[20:21], v[24:25], -v[26:27]
	v_add_f64 v[36:37], v[36:37], v[44:45]
	v_mul_f64 v[10:11], v[6:7], v[10:11]
	s_waitcnt lgkmcnt(0)
	v_mul_f64 v[44:45], v[12:13], v[18:19]
	v_add_f64 v[38:39], v[38:39], v[22:23]
	ds_read_b128 v[20:23], v3 offset:3584
	ds_read_b128 v[24:27], v2 offset:7680
	v_fma_f64 v[6:7], v[6:7], v[8:9], v[42:43]
	v_fma_f64 v[42:43], v[28:29], v[32:33], -v[34:35]
	v_mul_f64 v[18:19], v[14:15], v[18:19]
	v_add_f64 v[36:37], v[36:37], v[40:41]
	s_waitcnt lgkmcnt(0)
	v_mul_f64 v[40:41], v[20:21], v[26:27]
	v_add_f64 v[38:39], v[38:39], v[30:31]
	ds_read_b128 v[28:31], v3 offset:3840
	ds_read_b128 v[32:35], v2 offset:7936
	v_fma_f64 v[14:15], v[14:15], v[16:17], v[44:45]
	v_fma_f64 v[3:4], v[4:5], v[8:9], -v[10:11]
	v_mul_f64 v[26:27], v[22:23], v[26:27]
	v_add_f64 v[8:9], v[36:37], v[42:43]
	v_fma_f64 v[12:13], v[12:13], v[16:17], -v[18:19]
	s_clause 0x1
	s_load_dwordx4 s[12:15], s[4:5], 0x50
	s_load_dwordx2 s[0:1], s[4:5], 0x60
	s_waitcnt lgkmcnt(0)
	v_mul_f64 v[10:11], v[28:29], v[34:35]
	v_add_f64 v[5:6], v[38:39], v[6:7]
	v_fma_f64 v[22:23], v[22:23], v[24:25], v[40:41]
	v_add_f64 v[3:4], v[8:9], v[3:4]
	v_mul_f64 v[7:8], v[30:31], v[34:35]
	s_mul_i32 s1, s1, s7
	s_mul_hi_u32 s4, s0, s7
	s_mul_i32 s0, s0, s7
	s_add_i32 s1, s4, s1
	s_lshl_b64 s[0:1], s[0:1], 4
	s_add_u32 s4, s12, s0
	s_addc_u32 s5, s13, s1
	s_lshl_b64 s[0:1], s[2:3], 4
	s_add_u32 s0, s4, s0
	s_addc_u32 s1, s5, s1
	v_fma_f64 v[9:10], v[30:31], v[32:33], v[10:11]
	v_add_f64 v[5:6], v[5:6], v[14:15]
	v_fma_f64 v[14:15], v[20:21], v[24:25], -v[26:27]
	v_add_f64 v[3:4], v[3:4], v[12:13]
	v_fma_f64 v[7:8], v[28:29], v[32:33], -v[7:8]
	v_add_f64 v[5:6], v[5:6], v[22:23]
	v_add_f64 v[3:4], v[3:4], v[14:15]
	;; [unrolled: 1-line block ×3, first 2 shown]
	v_mad_u64_u32 v[9:10], null, s14, v1, 0
	v_add_f64 v[3:4], v[3:4], v[7:8]
	v_mov_b32_e32 v0, v10
	v_mad_u64_u32 v[0:1], null, s15, v1, v[0:1]
	v_mov_b32_e32 v10, v0
	v_mul_f64 v[7:8], s[8:9], v[5:6]
	v_mul_f64 v[11:12], s[10:11], v[5:6]
	v_lshlrev_b64 v[0:1], 4, v[9:10]
	v_add_co_u32 v0, vcc_lo, s0, v0
	v_add_co_ci_u32_e64 v1, null, s1, v1, vcc_lo
	v_add_co_u32 v0, vcc_lo, v0, v2
	v_add_co_ci_u32_e64 v1, null, 0, v1, vcc_lo
	v_fma_f64 v[5:6], s[10:11], v[3:4], v[7:8]
	v_fma_f64 v[3:4], s[8:9], v[3:4], -v[11:12]
	global_store_dwordx4 v[0:1], v[3:6], off
.LBB140_15:
	s_endpgm
	.section	.rodata,"a",@progbits
	.p2align	6, 0x0
	.amdhsa_kernel _ZL23rocblas_trmm_rTx_kernelILi16ELb0E19rocblas_complex_numIdEPKS1_S2_S1_Ev13rocblas_fill_17rocblas_diagonal_iiT2_lPT3_llS8_llPT4_lli
		.amdhsa_group_segment_fixed_size 8192
		.amdhsa_private_segment_fixed_size 0
		.amdhsa_kernarg_size 108
		.amdhsa_user_sgpr_count 6
		.amdhsa_user_sgpr_private_segment_buffer 1
		.amdhsa_user_sgpr_dispatch_ptr 0
		.amdhsa_user_sgpr_queue_ptr 0
		.amdhsa_user_sgpr_kernarg_segment_ptr 1
		.amdhsa_user_sgpr_dispatch_id 0
		.amdhsa_user_sgpr_flat_scratch_init 0
		.amdhsa_user_sgpr_private_segment_size 0
		.amdhsa_wavefront_size32 1
		.amdhsa_uses_dynamic_stack 0
		.amdhsa_system_sgpr_private_segment_wavefront_offset 0
		.amdhsa_system_sgpr_workgroup_id_x 1
		.amdhsa_system_sgpr_workgroup_id_y 0
		.amdhsa_system_sgpr_workgroup_id_z 1
		.amdhsa_system_sgpr_workgroup_info 0
		.amdhsa_system_vgpr_workitem_id 1
		.amdhsa_next_free_vgpr 46
		.amdhsa_next_free_sgpr 28
		.amdhsa_reserve_vcc 1
		.amdhsa_reserve_flat_scratch 0
		.amdhsa_float_round_mode_32 0
		.amdhsa_float_round_mode_16_64 0
		.amdhsa_float_denorm_mode_32 3
		.amdhsa_float_denorm_mode_16_64 3
		.amdhsa_dx10_clamp 1
		.amdhsa_ieee_mode 1
		.amdhsa_fp16_overflow 0
		.amdhsa_workgroup_processor_mode 1
		.amdhsa_memory_ordered 1
		.amdhsa_forward_progress 1
		.amdhsa_shared_vgpr_count 0
		.amdhsa_exception_fp_ieee_invalid_op 0
		.amdhsa_exception_fp_denorm_src 0
		.amdhsa_exception_fp_ieee_div_zero 0
		.amdhsa_exception_fp_ieee_overflow 0
		.amdhsa_exception_fp_ieee_underflow 0
		.amdhsa_exception_fp_ieee_inexact 0
		.amdhsa_exception_int_div_zero 0
	.end_amdhsa_kernel
	.section	.text._ZL23rocblas_trmm_rTx_kernelILi16ELb0E19rocblas_complex_numIdEPKS1_S2_S1_Ev13rocblas_fill_17rocblas_diagonal_iiT2_lPT3_llS8_llPT4_lli,"axG",@progbits,_ZL23rocblas_trmm_rTx_kernelILi16ELb0E19rocblas_complex_numIdEPKS1_S2_S1_Ev13rocblas_fill_17rocblas_diagonal_iiT2_lPT3_llS8_llPT4_lli,comdat
.Lfunc_end140:
	.size	_ZL23rocblas_trmm_rTx_kernelILi16ELb0E19rocblas_complex_numIdEPKS1_S2_S1_Ev13rocblas_fill_17rocblas_diagonal_iiT2_lPT3_llS8_llPT4_lli, .Lfunc_end140-_ZL23rocblas_trmm_rTx_kernelILi16ELb0E19rocblas_complex_numIdEPKS1_S2_S1_Ev13rocblas_fill_17rocblas_diagonal_iiT2_lPT3_llS8_llPT4_lli
                                        ; -- End function
	.set _ZL23rocblas_trmm_rTx_kernelILi16ELb0E19rocblas_complex_numIdEPKS1_S2_S1_Ev13rocblas_fill_17rocblas_diagonal_iiT2_lPT3_llS8_llPT4_lli.num_vgpr, 46
	.set _ZL23rocblas_trmm_rTx_kernelILi16ELb0E19rocblas_complex_numIdEPKS1_S2_S1_Ev13rocblas_fill_17rocblas_diagonal_iiT2_lPT3_llS8_llPT4_lli.num_agpr, 0
	.set _ZL23rocblas_trmm_rTx_kernelILi16ELb0E19rocblas_complex_numIdEPKS1_S2_S1_Ev13rocblas_fill_17rocblas_diagonal_iiT2_lPT3_llS8_llPT4_lli.numbered_sgpr, 28
	.set _ZL23rocblas_trmm_rTx_kernelILi16ELb0E19rocblas_complex_numIdEPKS1_S2_S1_Ev13rocblas_fill_17rocblas_diagonal_iiT2_lPT3_llS8_llPT4_lli.num_named_barrier, 0
	.set _ZL23rocblas_trmm_rTx_kernelILi16ELb0E19rocblas_complex_numIdEPKS1_S2_S1_Ev13rocblas_fill_17rocblas_diagonal_iiT2_lPT3_llS8_llPT4_lli.private_seg_size, 0
	.set _ZL23rocblas_trmm_rTx_kernelILi16ELb0E19rocblas_complex_numIdEPKS1_S2_S1_Ev13rocblas_fill_17rocblas_diagonal_iiT2_lPT3_llS8_llPT4_lli.uses_vcc, 1
	.set _ZL23rocblas_trmm_rTx_kernelILi16ELb0E19rocblas_complex_numIdEPKS1_S2_S1_Ev13rocblas_fill_17rocblas_diagonal_iiT2_lPT3_llS8_llPT4_lli.uses_flat_scratch, 0
	.set _ZL23rocblas_trmm_rTx_kernelILi16ELb0E19rocblas_complex_numIdEPKS1_S2_S1_Ev13rocblas_fill_17rocblas_diagonal_iiT2_lPT3_llS8_llPT4_lli.has_dyn_sized_stack, 0
	.set _ZL23rocblas_trmm_rTx_kernelILi16ELb0E19rocblas_complex_numIdEPKS1_S2_S1_Ev13rocblas_fill_17rocblas_diagonal_iiT2_lPT3_llS8_llPT4_lli.has_recursion, 0
	.set _ZL23rocblas_trmm_rTx_kernelILi16ELb0E19rocblas_complex_numIdEPKS1_S2_S1_Ev13rocblas_fill_17rocblas_diagonal_iiT2_lPT3_llS8_llPT4_lli.has_indirect_call, 0
	.section	.AMDGPU.csdata,"",@progbits
; Kernel info:
; codeLenInByte = 1896
; TotalNumSgprs: 30
; NumVgprs: 46
; ScratchSize: 0
; MemoryBound: 0
; FloatMode: 240
; IeeeMode: 1
; LDSByteSize: 8192 bytes/workgroup (compile time only)
; SGPRBlocks: 0
; VGPRBlocks: 5
; NumSGPRsForWavesPerEU: 30
; NumVGPRsForWavesPerEU: 46
; Occupancy: 16
; WaveLimiterHint : 0
; COMPUTE_PGM_RSRC2:SCRATCH_EN: 0
; COMPUTE_PGM_RSRC2:USER_SGPR: 6
; COMPUTE_PGM_RSRC2:TRAP_HANDLER: 0
; COMPUTE_PGM_RSRC2:TGID_X_EN: 1
; COMPUTE_PGM_RSRC2:TGID_Y_EN: 0
; COMPUTE_PGM_RSRC2:TGID_Z_EN: 1
; COMPUTE_PGM_RSRC2:TIDIG_COMP_CNT: 1
	.section	.text._ZL23rocblas_trmm_rTx_kernelILi16ELb0E19rocblas_complex_numIdES1_KS1_S1_Ev13rocblas_fill_17rocblas_diagonal_iiT2_lPT3_llS7_llPT4_lli,"axG",@progbits,_ZL23rocblas_trmm_rTx_kernelILi16ELb0E19rocblas_complex_numIdES1_KS1_S1_Ev13rocblas_fill_17rocblas_diagonal_iiT2_lPT3_llS7_llPT4_lli,comdat
	.globl	_ZL23rocblas_trmm_rTx_kernelILi16ELb0E19rocblas_complex_numIdES1_KS1_S1_Ev13rocblas_fill_17rocblas_diagonal_iiT2_lPT3_llS7_llPT4_lli ; -- Begin function _ZL23rocblas_trmm_rTx_kernelILi16ELb0E19rocblas_complex_numIdES1_KS1_S1_Ev13rocblas_fill_17rocblas_diagonal_iiT2_lPT3_llS7_llPT4_lli
	.p2align	8
	.type	_ZL23rocblas_trmm_rTx_kernelILi16ELb0E19rocblas_complex_numIdES1_KS1_S1_Ev13rocblas_fill_17rocblas_diagonal_iiT2_lPT3_llS7_llPT4_lli,@function
_ZL23rocblas_trmm_rTx_kernelILi16ELb0E19rocblas_complex_numIdES1_KS1_S1_Ev13rocblas_fill_17rocblas_diagonal_iiT2_lPT3_llS7_llPT4_lli: ; @_ZL23rocblas_trmm_rTx_kernelILi16ELb0E19rocblas_complex_numIdES1_KS1_S1_Ev13rocblas_fill_17rocblas_diagonal_iiT2_lPT3_llS7_llPT4_lli
; %bb.0:
	s_load_dwordx4 s[24:27], s[4:5], 0x10
	s_waitcnt lgkmcnt(0)
	v_cmp_neq_f64_e64 s0, s[24:25], 0
	v_cmp_neq_f64_e64 s1, s[26:27], 0
	s_or_b32 s0, s0, s1
	s_andn2_b32 vcc_lo, exec_lo, s0
	s_cbranch_vccnz .LBB141_15
; %bb.1:
	s_clause 0x1
	s_load_dwordx4 s[28:31], s[4:5], 0x0
	s_load_dwordx16 s[8:23], s[4:5], 0x28
	s_mov_b32 s0, 0
	v_lshlrev_b32_e32 v3, 4, v1
	s_mov_b32 s3, s0
	s_mov_b32 s1, s0
	;; [unrolled: 1-line block ×3, first 2 shown]
	v_mov_b32_e32 v8, s3
	v_mov_b32_e32 v7, s2
	;; [unrolled: 1-line block ×4, first 2 shown]
	v_add_lshl_u32 v4, v3, v0, 4
	v_lshlrev_b32_e32 v2, 4, v0
	ds_write_b128 v4, v[5:8]
	ds_write_b128 v4, v[5:8] offset:4096
	s_waitcnt lgkmcnt(0)
	v_cmp_gt_i32_e32 vcc_lo, s31, v1
	v_cmp_gt_i32_e64 s0, s31, v0
	s_and_b32 s0, vcc_lo, s0
	s_and_saveexec_b32 s1, s0
	s_cbranch_execz .LBB141_3
; %bb.2:
	v_mad_u64_u32 v[5:6], null, s10, v1, 0
	s_mul_i32 s0, s13, s7
	s_mul_hi_u32 s3, s12, s7
	s_mul_i32 s2, s12, s7
	s_add_i32 s3, s3, s0
	s_lshl_b64 s[2:3], s[2:3], 4
	v_mad_u64_u32 v[6:7], null, s11, v1, v[6:7]
	s_add_u32 s0, s8, s2
	s_addc_u32 s2, s9, s3
	v_lshlrev_b64 v[5:6], 4, v[5:6]
	v_add_co_u32 v5, s0, s0, v5
	v_add_co_ci_u32_e64 v6, null, s2, v6, s0
	v_add_co_u32 v5, s0, v5, v2
	v_add_co_ci_u32_e64 v6, null, 0, v6, s0
	global_load_dwordx4 v[5:8], v[5:6], off
	s_waitcnt vmcnt(0)
	ds_write2_b64 v4, v[5:6], v[7:8] offset1:1
.LBB141_3:
	s_or_b32 exec_lo, exec_lo, s1
	s_add_i32 s0, s30, -1
	s_ashr_i32 s1, s0, 31
	s_lshr_b32 s1, s1, 28
	s_add_i32 s0, s0, s1
	s_and_b32 s1, s0, -16
	s_ashr_i32 s0, s0, 4
	s_sub_i32 s1, s30, s1
	s_cmp_ge_i32 s6, s0
	s_cselect_b32 s0, s1, 16
	s_lshl_b32 s2, s6, 4
	v_cmp_gt_i32_e64 s0, s0, v0
	s_ashr_i32 s3, s2, 31
	s_and_b32 s0, vcc_lo, s0
	s_and_saveexec_b32 s1, s0
	s_cbranch_execz .LBB141_5
; %bb.4:
	v_mad_u64_u32 v[5:6], null, s16, v1, 0
	s_mul_i32 s6, s19, s7
	s_mul_hi_u32 s9, s18, s7
	s_mul_i32 s8, s18, s7
	s_add_i32 s9, s9, s6
	v_add_nc_u32_e32 v9, 0x1000, v4
	s_lshl_b64 s[8:9], s[8:9], 4
	v_mad_u64_u32 v[6:7], null, s17, v1, v[6:7]
	s_add_u32 s6, s14, s8
	s_addc_u32 s10, s15, s9
	s_lshl_b64 s[8:9], s[2:3], 4
	s_add_u32 s6, s6, s8
	s_addc_u32 s8, s10, s9
	v_lshlrev_b64 v[5:6], 4, v[5:6]
	v_add_co_u32 v5, vcc_lo, s6, v5
	v_add_co_ci_u32_e64 v6, null, s8, v6, vcc_lo
	v_add_co_u32 v5, vcc_lo, v5, v2
	v_add_co_ci_u32_e64 v6, null, 0, v6, vcc_lo
	global_load_dwordx4 v[5:8], v[5:6], off
	s_waitcnt vmcnt(0)
	ds_write2_b64 v9, v[5:6], v[7:8] offset1:1
.LBB141_5:
	s_or_b32 exec_lo, exec_lo, s1
	v_cmp_eq_u32_e32 vcc_lo, v1, v0
	s_cmpk_eq_i32 s29, 0x84
	s_cselect_b32 s1, -1, 0
	s_and_b32 s6, vcc_lo, s1
	s_and_saveexec_b32 s1, s6
	s_cbranch_execz .LBB141_7
; %bb.6:
	v_mov_b32_e32 v5, 0
	v_mov_b32_e32 v6, 0x3ff00000
	v_mov_b32_e32 v7, v5
	v_mov_b32_e32 v8, v5
	ds_write_b128 v4, v[5:8]
.LBB141_7:
	s_or_b32 exec_lo, exec_lo, s1
	s_cmpk_lg_i32 s28, 0x79
	s_cbranch_scc0 .LBB141_9
; %bb.8:
	v_cmp_lt_u32_e32 vcc_lo, v0, v1
	s_and_b32 s1, vcc_lo, exec_lo
	s_cbranch_execz .LBB141_10
	s_branch .LBB141_11
.LBB141_9:
	s_mov_b32 s1, 0
.LBB141_10:
	v_cmp_gt_u32_e32 vcc_lo, v0, v1
	s_andn2_b32 s1, s1, exec_lo
	s_and_b32 s6, vcc_lo, exec_lo
	s_or_b32 s1, s1, s6
.LBB141_11:
	s_and_saveexec_b32 s6, s1
	s_cbranch_execz .LBB141_13
; %bb.12:
	v_mov_b32_e32 v5, 0
	v_mov_b32_e32 v6, v5
	;; [unrolled: 1-line block ×4, first 2 shown]
	ds_write_b128 v4, v[5:8]
.LBB141_13:
	s_or_b32 exec_lo, exec_lo, s6
	s_waitcnt lgkmcnt(0)
	s_barrier
	buffer_gl0_inv
	s_and_saveexec_b32 s1, s0
	s_cbranch_execz .LBB141_15
; %bb.14:
	ds_read_b128 v[4:7], v2 offset:4096
	ds_read_b128 v[8:11], v3
	ds_read_b128 v[12:15], v3 offset:256
	ds_read_b128 v[16:19], v2 offset:4352
	;; [unrolled: 1-line block ×4, first 2 shown]
	s_load_dwordx2 s[0:1], s[4:5], 0x68
	s_waitcnt lgkmcnt(0)
	v_mul_f64 v[28:29], v[8:9], v[6:7]
	v_mul_f64 v[6:7], v[10:11], v[6:7]
	v_mul_f64 v[36:37], v[12:13], v[18:19]
	v_mul_f64 v[38:39], v[20:21], v[26:27]
	v_mul_f64 v[18:19], v[14:15], v[18:19]
	v_mul_f64 v[26:27], v[22:23], v[26:27]
	s_mul_i32 s1, s1, s7
	s_mul_hi_u32 s4, s0, s7
	s_mul_i32 s0, s0, s7
	s_add_i32 s1, s4, s1
	s_lshl_b64 s[0:1], s[0:1], 4
	s_add_u32 s4, s20, s0
	s_addc_u32 s5, s21, s1
	s_lshl_b64 s[0:1], s[2:3], 4
	s_add_u32 s0, s4, s0
	s_addc_u32 s1, s5, s1
	v_fma_f64 v[10:11], v[10:11], v[4:5], v[28:29]
	ds_read_b128 v[28:31], v3 offset:768
	ds_read_b128 v[32:35], v2 offset:4864
	v_fma_f64 v[14:15], v[14:15], v[16:17], v[36:37]
	v_fma_f64 v[36:37], v[8:9], v[4:5], -v[6:7]
	v_fma_f64 v[22:23], v[22:23], v[24:25], v[38:39]
	v_fma_f64 v[38:39], v[12:13], v[16:17], -v[18:19]
	s_waitcnt lgkmcnt(0)
	v_mul_f64 v[42:43], v[28:29], v[34:35]
	v_add_f64 v[40:41], v[10:11], 0
	ds_read_b128 v[4:7], v3 offset:1024
	ds_read_b128 v[8:11], v2 offset:5120
	v_mul_f64 v[34:35], v[30:31], v[34:35]
	v_add_f64 v[36:37], v[36:37], 0
	s_waitcnt lgkmcnt(0)
	v_mul_f64 v[44:45], v[4:5], v[10:11]
	v_add_f64 v[40:41], v[40:41], v[14:15]
	v_fma_f64 v[30:31], v[30:31], v[32:33], v[42:43]
	v_fma_f64 v[42:43], v[20:21], v[24:25], -v[26:27]
	v_add_f64 v[36:37], v[36:37], v[38:39]
	ds_read_b128 v[12:15], v3 offset:1280
	ds_read_b128 v[16:19], v2 offset:5376
	v_mul_f64 v[10:11], v[6:7], v[10:11]
	v_fma_f64 v[6:7], v[6:7], v[8:9], v[44:45]
	v_add_f64 v[38:39], v[40:41], v[22:23]
	v_fma_f64 v[44:45], v[28:29], v[32:33], -v[34:35]
	s_waitcnt lgkmcnt(0)
	v_mul_f64 v[40:41], v[12:13], v[18:19]
	v_add_f64 v[36:37], v[36:37], v[42:43]
	ds_read_b128 v[20:23], v3 offset:1536
	ds_read_b128 v[24:27], v2 offset:5632
	v_mul_f64 v[18:19], v[14:15], v[18:19]
	v_add_f64 v[38:39], v[38:39], v[30:31]
	ds_read_b128 v[28:31], v3 offset:1792
	ds_read_b128 v[32:35], v2 offset:5888
	s_waitcnt lgkmcnt(2)
	v_mul_f64 v[42:43], v[20:21], v[26:27]
	v_fma_f64 v[14:15], v[14:15], v[16:17], v[40:41]
	v_fma_f64 v[40:41], v[4:5], v[8:9], -v[10:11]
	v_add_f64 v[36:37], v[36:37], v[44:45]
	v_mul_f64 v[26:27], v[22:23], v[26:27]
	s_waitcnt lgkmcnt(0)
	v_mul_f64 v[44:45], v[28:29], v[34:35]
	v_add_f64 v[38:39], v[38:39], v[6:7]
	ds_read_b128 v[4:7], v3 offset:2048
	ds_read_b128 v[8:11], v2 offset:6144
	v_fma_f64 v[22:23], v[22:23], v[24:25], v[42:43]
	v_fma_f64 v[42:43], v[12:13], v[16:17], -v[18:19]
	v_mul_f64 v[34:35], v[30:31], v[34:35]
	v_add_f64 v[36:37], v[36:37], v[40:41]
	s_waitcnt lgkmcnt(0)
	v_mul_f64 v[40:41], v[4:5], v[10:11]
	v_add_f64 v[38:39], v[38:39], v[14:15]
	v_fma_f64 v[30:31], v[30:31], v[32:33], v[44:45]
	v_fma_f64 v[44:45], v[20:21], v[24:25], -v[26:27]
	ds_read_b128 v[12:15], v3 offset:2304
	ds_read_b128 v[16:19], v2 offset:6400
	v_mul_f64 v[10:11], v[6:7], v[10:11]
	v_add_f64 v[36:37], v[36:37], v[42:43]
	v_fma_f64 v[6:7], v[6:7], v[8:9], v[40:41]
	v_add_f64 v[38:39], v[38:39], v[22:23]
	s_waitcnt lgkmcnt(0)
	v_mul_f64 v[42:43], v[12:13], v[18:19]
	v_fma_f64 v[40:41], v[28:29], v[32:33], -v[34:35]
	ds_read_b128 v[20:23], v3 offset:2560
	ds_read_b128 v[24:27], v2 offset:6656
	v_mul_f64 v[18:19], v[14:15], v[18:19]
	v_add_f64 v[36:37], v[36:37], v[44:45]
	v_add_f64 v[38:39], v[38:39], v[30:31]
	s_waitcnt lgkmcnt(0)
	v_mul_f64 v[44:45], v[20:21], v[26:27]
	v_fma_f64 v[14:15], v[14:15], v[16:17], v[42:43]
	v_fma_f64 v[42:43], v[4:5], v[8:9], -v[10:11]
	ds_read_b128 v[28:31], v3 offset:2816
	ds_read_b128 v[32:35], v2 offset:6912
	v_add_f64 v[36:37], v[36:37], v[40:41]
	v_mul_f64 v[26:27], v[22:23], v[26:27]
	v_add_f64 v[38:39], v[38:39], v[6:7]
	v_fma_f64 v[22:23], v[22:23], v[24:25], v[44:45]
	s_waitcnt lgkmcnt(0)
	v_mul_f64 v[40:41], v[28:29], v[34:35]
	v_fma_f64 v[44:45], v[12:13], v[16:17], -v[18:19]
	ds_read_b128 v[4:7], v3 offset:3072
	ds_read_b128 v[8:11], v2 offset:7168
	v_add_f64 v[36:37], v[36:37], v[42:43]
	v_mul_f64 v[34:35], v[30:31], v[34:35]
	v_add_f64 v[38:39], v[38:39], v[14:15]
	ds_read_b128 v[12:15], v3 offset:3328
	ds_read_b128 v[16:19], v2 offset:7424
	s_waitcnt lgkmcnt(2)
	v_mul_f64 v[42:43], v[4:5], v[10:11]
	v_fma_f64 v[30:31], v[30:31], v[32:33], v[40:41]
	v_fma_f64 v[40:41], v[20:21], v[24:25], -v[26:27]
	v_add_f64 v[36:37], v[36:37], v[44:45]
	v_mul_f64 v[10:11], v[6:7], v[10:11]
	s_waitcnt lgkmcnt(0)
	v_mul_f64 v[44:45], v[12:13], v[18:19]
	v_add_f64 v[38:39], v[38:39], v[22:23]
	ds_read_b128 v[20:23], v3 offset:3584
	ds_read_b128 v[24:27], v2 offset:7680
	v_fma_f64 v[6:7], v[6:7], v[8:9], v[42:43]
	v_fma_f64 v[42:43], v[28:29], v[32:33], -v[34:35]
	v_mul_f64 v[18:19], v[14:15], v[18:19]
	v_add_f64 v[36:37], v[36:37], v[40:41]
	s_waitcnt lgkmcnt(0)
	v_mul_f64 v[40:41], v[20:21], v[26:27]
	v_add_f64 v[38:39], v[38:39], v[30:31]
	ds_read_b128 v[28:31], v3 offset:3840
	ds_read_b128 v[32:35], v2 offset:7936
	v_fma_f64 v[14:15], v[14:15], v[16:17], v[44:45]
	v_fma_f64 v[3:4], v[4:5], v[8:9], -v[10:11]
	v_mul_f64 v[26:27], v[22:23], v[26:27]
	v_add_f64 v[8:9], v[36:37], v[42:43]
	v_fma_f64 v[12:13], v[12:13], v[16:17], -v[18:19]
	s_waitcnt lgkmcnt(0)
	v_mul_f64 v[10:11], v[28:29], v[34:35]
	v_add_f64 v[5:6], v[38:39], v[6:7]
	v_fma_f64 v[22:23], v[22:23], v[24:25], v[40:41]
	v_add_f64 v[3:4], v[8:9], v[3:4]
	v_mul_f64 v[7:8], v[30:31], v[34:35]
	v_fma_f64 v[9:10], v[30:31], v[32:33], v[10:11]
	v_add_f64 v[5:6], v[5:6], v[14:15]
	v_fma_f64 v[14:15], v[20:21], v[24:25], -v[26:27]
	v_add_f64 v[3:4], v[3:4], v[12:13]
	v_fma_f64 v[7:8], v[28:29], v[32:33], -v[7:8]
	v_add_f64 v[5:6], v[5:6], v[22:23]
	v_add_f64 v[3:4], v[3:4], v[14:15]
	v_add_f64 v[5:6], v[5:6], v[9:10]
	v_mad_u64_u32 v[9:10], null, s22, v1, 0
	v_add_f64 v[3:4], v[3:4], v[7:8]
	v_mov_b32_e32 v0, v10
	v_mad_u64_u32 v[0:1], null, s23, v1, v[0:1]
	v_mov_b32_e32 v10, v0
	v_mul_f64 v[7:8], s[24:25], v[5:6]
	v_mul_f64 v[11:12], s[26:27], v[5:6]
	v_lshlrev_b64 v[0:1], 4, v[9:10]
	v_add_co_u32 v0, vcc_lo, s0, v0
	v_add_co_ci_u32_e64 v1, null, s1, v1, vcc_lo
	v_add_co_u32 v0, vcc_lo, v0, v2
	v_add_co_ci_u32_e64 v1, null, 0, v1, vcc_lo
	v_fma_f64 v[5:6], s[26:27], v[3:4], v[7:8]
	v_fma_f64 v[3:4], s[24:25], v[3:4], -v[11:12]
	global_store_dwordx4 v[0:1], v[3:6], off
.LBB141_15:
	s_endpgm
	.section	.rodata,"a",@progbits
	.p2align	6, 0x0
	.amdhsa_kernel _ZL23rocblas_trmm_rTx_kernelILi16ELb0E19rocblas_complex_numIdES1_KS1_S1_Ev13rocblas_fill_17rocblas_diagonal_iiT2_lPT3_llS7_llPT4_lli
		.amdhsa_group_segment_fixed_size 8192
		.amdhsa_private_segment_fixed_size 0
		.amdhsa_kernarg_size 116
		.amdhsa_user_sgpr_count 6
		.amdhsa_user_sgpr_private_segment_buffer 1
		.amdhsa_user_sgpr_dispatch_ptr 0
		.amdhsa_user_sgpr_queue_ptr 0
		.amdhsa_user_sgpr_kernarg_segment_ptr 1
		.amdhsa_user_sgpr_dispatch_id 0
		.amdhsa_user_sgpr_flat_scratch_init 0
		.amdhsa_user_sgpr_private_segment_size 0
		.amdhsa_wavefront_size32 1
		.amdhsa_uses_dynamic_stack 0
		.amdhsa_system_sgpr_private_segment_wavefront_offset 0
		.amdhsa_system_sgpr_workgroup_id_x 1
		.amdhsa_system_sgpr_workgroup_id_y 0
		.amdhsa_system_sgpr_workgroup_id_z 1
		.amdhsa_system_sgpr_workgroup_info 0
		.amdhsa_system_vgpr_workitem_id 1
		.amdhsa_next_free_vgpr 46
		.amdhsa_next_free_sgpr 32
		.amdhsa_reserve_vcc 1
		.amdhsa_reserve_flat_scratch 0
		.amdhsa_float_round_mode_32 0
		.amdhsa_float_round_mode_16_64 0
		.amdhsa_float_denorm_mode_32 3
		.amdhsa_float_denorm_mode_16_64 3
		.amdhsa_dx10_clamp 1
		.amdhsa_ieee_mode 1
		.amdhsa_fp16_overflow 0
		.amdhsa_workgroup_processor_mode 1
		.amdhsa_memory_ordered 1
		.amdhsa_forward_progress 1
		.amdhsa_shared_vgpr_count 0
		.amdhsa_exception_fp_ieee_invalid_op 0
		.amdhsa_exception_fp_denorm_src 0
		.amdhsa_exception_fp_ieee_div_zero 0
		.amdhsa_exception_fp_ieee_overflow 0
		.amdhsa_exception_fp_ieee_underflow 0
		.amdhsa_exception_fp_ieee_inexact 0
		.amdhsa_exception_int_div_zero 0
	.end_amdhsa_kernel
	.section	.text._ZL23rocblas_trmm_rTx_kernelILi16ELb0E19rocblas_complex_numIdES1_KS1_S1_Ev13rocblas_fill_17rocblas_diagonal_iiT2_lPT3_llS7_llPT4_lli,"axG",@progbits,_ZL23rocblas_trmm_rTx_kernelILi16ELb0E19rocblas_complex_numIdES1_KS1_S1_Ev13rocblas_fill_17rocblas_diagonal_iiT2_lPT3_llS7_llPT4_lli,comdat
.Lfunc_end141:
	.size	_ZL23rocblas_trmm_rTx_kernelILi16ELb0E19rocblas_complex_numIdES1_KS1_S1_Ev13rocblas_fill_17rocblas_diagonal_iiT2_lPT3_llS7_llPT4_lli, .Lfunc_end141-_ZL23rocblas_trmm_rTx_kernelILi16ELb0E19rocblas_complex_numIdES1_KS1_S1_Ev13rocblas_fill_17rocblas_diagonal_iiT2_lPT3_llS7_llPT4_lli
                                        ; -- End function
	.set _ZL23rocblas_trmm_rTx_kernelILi16ELb0E19rocblas_complex_numIdES1_KS1_S1_Ev13rocblas_fill_17rocblas_diagonal_iiT2_lPT3_llS7_llPT4_lli.num_vgpr, 46
	.set _ZL23rocblas_trmm_rTx_kernelILi16ELb0E19rocblas_complex_numIdES1_KS1_S1_Ev13rocblas_fill_17rocblas_diagonal_iiT2_lPT3_llS7_llPT4_lli.num_agpr, 0
	.set _ZL23rocblas_trmm_rTx_kernelILi16ELb0E19rocblas_complex_numIdES1_KS1_S1_Ev13rocblas_fill_17rocblas_diagonal_iiT2_lPT3_llS7_llPT4_lli.numbered_sgpr, 32
	.set _ZL23rocblas_trmm_rTx_kernelILi16ELb0E19rocblas_complex_numIdES1_KS1_S1_Ev13rocblas_fill_17rocblas_diagonal_iiT2_lPT3_llS7_llPT4_lli.num_named_barrier, 0
	.set _ZL23rocblas_trmm_rTx_kernelILi16ELb0E19rocblas_complex_numIdES1_KS1_S1_Ev13rocblas_fill_17rocblas_diagonal_iiT2_lPT3_llS7_llPT4_lli.private_seg_size, 0
	.set _ZL23rocblas_trmm_rTx_kernelILi16ELb0E19rocblas_complex_numIdES1_KS1_S1_Ev13rocblas_fill_17rocblas_diagonal_iiT2_lPT3_llS7_llPT4_lli.uses_vcc, 1
	.set _ZL23rocblas_trmm_rTx_kernelILi16ELb0E19rocblas_complex_numIdES1_KS1_S1_Ev13rocblas_fill_17rocblas_diagonal_iiT2_lPT3_llS7_llPT4_lli.uses_flat_scratch, 0
	.set _ZL23rocblas_trmm_rTx_kernelILi16ELb0E19rocblas_complex_numIdES1_KS1_S1_Ev13rocblas_fill_17rocblas_diagonal_iiT2_lPT3_llS7_llPT4_lli.has_dyn_sized_stack, 0
	.set _ZL23rocblas_trmm_rTx_kernelILi16ELb0E19rocblas_complex_numIdES1_KS1_S1_Ev13rocblas_fill_17rocblas_diagonal_iiT2_lPT3_llS7_llPT4_lli.has_recursion, 0
	.set _ZL23rocblas_trmm_rTx_kernelILi16ELb0E19rocblas_complex_numIdES1_KS1_S1_Ev13rocblas_fill_17rocblas_diagonal_iiT2_lPT3_llS7_llPT4_lli.has_indirect_call, 0
	.section	.AMDGPU.csdata,"",@progbits
; Kernel info:
; codeLenInByte = 1848
; TotalNumSgprs: 34
; NumVgprs: 46
; ScratchSize: 0
; MemoryBound: 0
; FloatMode: 240
; IeeeMode: 1
; LDSByteSize: 8192 bytes/workgroup (compile time only)
; SGPRBlocks: 0
; VGPRBlocks: 5
; NumSGPRsForWavesPerEU: 34
; NumVGPRsForWavesPerEU: 46
; Occupancy: 16
; WaveLimiterHint : 0
; COMPUTE_PGM_RSRC2:SCRATCH_EN: 0
; COMPUTE_PGM_RSRC2:USER_SGPR: 6
; COMPUTE_PGM_RSRC2:TRAP_HANDLER: 0
; COMPUTE_PGM_RSRC2:TGID_X_EN: 1
; COMPUTE_PGM_RSRC2:TGID_Y_EN: 0
; COMPUTE_PGM_RSRC2:TGID_Z_EN: 1
; COMPUTE_PGM_RSRC2:TIDIG_COMP_CNT: 1
	.section	.text._ZL23rocblas_trmm_rTx_kernelILi16ELb1E19rocblas_complex_numIdEPKS1_S2_S1_Ev13rocblas_fill_17rocblas_diagonal_iiT2_lPT3_llS8_llPT4_lli,"axG",@progbits,_ZL23rocblas_trmm_rTx_kernelILi16ELb1E19rocblas_complex_numIdEPKS1_S2_S1_Ev13rocblas_fill_17rocblas_diagonal_iiT2_lPT3_llS8_llPT4_lli,comdat
	.globl	_ZL23rocblas_trmm_rTx_kernelILi16ELb1E19rocblas_complex_numIdEPKS1_S2_S1_Ev13rocblas_fill_17rocblas_diagonal_iiT2_lPT3_llS8_llPT4_lli ; -- Begin function _ZL23rocblas_trmm_rTx_kernelILi16ELb1E19rocblas_complex_numIdEPKS1_S2_S1_Ev13rocblas_fill_17rocblas_diagonal_iiT2_lPT3_llS8_llPT4_lli
	.p2align	8
	.type	_ZL23rocblas_trmm_rTx_kernelILi16ELb1E19rocblas_complex_numIdEPKS1_S2_S1_Ev13rocblas_fill_17rocblas_diagonal_iiT2_lPT3_llS8_llPT4_lli,@function
_ZL23rocblas_trmm_rTx_kernelILi16ELb1E19rocblas_complex_numIdEPKS1_S2_S1_Ev13rocblas_fill_17rocblas_diagonal_iiT2_lPT3_llS8_llPT4_lli: ; @_ZL23rocblas_trmm_rTx_kernelILi16ELb1E19rocblas_complex_numIdEPKS1_S2_S1_Ev13rocblas_fill_17rocblas_diagonal_iiT2_lPT3_llS8_llPT4_lli
; %bb.0:
	s_load_dwordx16 s[8:23], s[4:5], 0x10
	s_waitcnt lgkmcnt(0)
	s_mul_i32 s1, s11, s7
	s_mul_hi_u32 s2, s10, s7
	s_mul_i32 s0, s10, s7
	s_add_i32 s1, s2, s1
	s_lshl_b64 s[0:1], s[0:1], 4
	s_add_u32 s0, s8, s0
	s_addc_u32 s1, s9, s1
	s_load_dwordx4 s[8:11], s[0:1], 0x0
	s_waitcnt lgkmcnt(0)
	v_cmp_neq_f64_e64 s0, s[8:9], 0
	v_cmp_neq_f64_e64 s1, s[10:11], 0
	s_or_b32 s0, s0, s1
	s_andn2_b32 vcc_lo, exec_lo, s0
	s_cbranch_vccnz .LBB142_15
; %bb.1:
	s_load_dwordx4 s[24:27], s[4:5], 0x0
	s_mov_b32 s0, 0
	v_lshlrev_b32_e32 v3, 4, v1
	s_mov_b32 s3, s0
	s_mov_b32 s1, s0
	;; [unrolled: 1-line block ×3, first 2 shown]
	v_mov_b32_e32 v8, s3
	v_mov_b32_e32 v7, s2
	v_mov_b32_e32 v6, s1
	v_mov_b32_e32 v5, s0
	v_add_lshl_u32 v4, v3, v0, 4
	v_lshlrev_b32_e32 v2, 4, v0
	ds_write_b128 v4, v[5:8]
	ds_write_b128 v4, v[5:8] offset:4096
	s_waitcnt lgkmcnt(0)
	v_cmp_gt_i32_e32 vcc_lo, s27, v1
	v_cmp_gt_i32_e64 s0, s27, v0
	s_and_b32 s0, vcc_lo, s0
	s_and_saveexec_b32 s1, s0
	s_cbranch_execz .LBB142_3
; %bb.2:
	v_mad_u64_u32 v[5:6], null, s14, v1, 0
	s_mul_i32 s0, s17, s7
	s_mul_hi_u32 s3, s16, s7
	s_mul_i32 s2, s16, s7
	s_add_i32 s3, s3, s0
	s_lshl_b64 s[2:3], s[2:3], 4
	v_mad_u64_u32 v[6:7], null, s15, v1, v[6:7]
	s_add_u32 s0, s12, s2
	s_addc_u32 s2, s13, s3
	v_lshlrev_b64 v[5:6], 4, v[5:6]
	v_add_co_u32 v5, s0, s0, v5
	v_add_co_ci_u32_e64 v6, null, s2, v6, s0
	v_add_co_u32 v5, s0, v5, v2
	v_add_co_ci_u32_e64 v6, null, 0, v6, s0
	global_load_dwordx4 v[5:8], v[5:6], off
	s_waitcnt vmcnt(0)
	v_xor_b32_e32 v8, 0x80000000, v8
	ds_write_b128 v4, v[5:8]
.LBB142_3:
	s_or_b32 exec_lo, exec_lo, s1
	s_add_i32 s0, s26, -1
	s_ashr_i32 s1, s0, 31
	s_lshr_b32 s1, s1, 28
	s_add_i32 s0, s0, s1
	s_and_b32 s1, s0, -16
	s_ashr_i32 s0, s0, 4
	s_sub_i32 s1, s26, s1
	s_cmp_ge_i32 s6, s0
	s_cselect_b32 s0, s1, 16
	s_lshl_b32 s2, s6, 4
	v_cmp_gt_i32_e64 s0, s0, v0
	s_ashr_i32 s3, s2, 31
	s_and_b32 s0, vcc_lo, s0
	s_and_saveexec_b32 s1, s0
	s_cbranch_execz .LBB142_5
; %bb.4:
	v_mad_u64_u32 v[5:6], null, s20, v1, 0
	s_mul_i32 s6, s23, s7
	s_mul_hi_u32 s13, s22, s7
	s_mul_i32 s12, s22, s7
	s_add_i32 s13, s13, s6
	v_add_nc_u32_e32 v9, 0x1000, v4
	s_lshl_b64 s[12:13], s[12:13], 4
	v_mad_u64_u32 v[6:7], null, s21, v1, v[6:7]
	s_add_u32 s6, s18, s12
	s_addc_u32 s14, s19, s13
	s_lshl_b64 s[12:13], s[2:3], 4
	s_add_u32 s6, s6, s12
	s_addc_u32 s12, s14, s13
	v_lshlrev_b64 v[5:6], 4, v[5:6]
	v_add_co_u32 v5, vcc_lo, s6, v5
	v_add_co_ci_u32_e64 v6, null, s12, v6, vcc_lo
	v_add_co_u32 v5, vcc_lo, v5, v2
	v_add_co_ci_u32_e64 v6, null, 0, v6, vcc_lo
	global_load_dwordx4 v[5:8], v[5:6], off
	s_waitcnt vmcnt(0)
	ds_write2_b64 v9, v[5:6], v[7:8] offset1:1
.LBB142_5:
	s_or_b32 exec_lo, exec_lo, s1
	v_cmp_eq_u32_e32 vcc_lo, v1, v0
	s_cmpk_eq_i32 s25, 0x84
	s_cselect_b32 s1, -1, 0
	s_and_b32 s6, vcc_lo, s1
	s_and_saveexec_b32 s1, s6
	s_cbranch_execz .LBB142_7
; %bb.6:
	v_mov_b32_e32 v5, 0
	v_mov_b32_e32 v6, 0x3ff00000
	;; [unrolled: 1-line block ×4, first 2 shown]
	ds_write_b128 v4, v[5:8]
.LBB142_7:
	s_or_b32 exec_lo, exec_lo, s1
	s_cmpk_lg_i32 s24, 0x79
	s_cbranch_scc0 .LBB142_9
; %bb.8:
	v_cmp_lt_u32_e32 vcc_lo, v0, v1
	s_and_b32 s1, vcc_lo, exec_lo
	s_cbranch_execz .LBB142_10
	s_branch .LBB142_11
.LBB142_9:
	s_mov_b32 s1, 0
.LBB142_10:
	v_cmp_gt_u32_e32 vcc_lo, v0, v1
	s_andn2_b32 s1, s1, exec_lo
	s_and_b32 s6, vcc_lo, exec_lo
	s_or_b32 s1, s1, s6
.LBB142_11:
	s_and_saveexec_b32 s6, s1
	s_cbranch_execz .LBB142_13
; %bb.12:
	v_mov_b32_e32 v5, 0
	v_mov_b32_e32 v6, v5
	;; [unrolled: 1-line block ×4, first 2 shown]
	ds_write_b128 v4, v[5:8]
.LBB142_13:
	s_or_b32 exec_lo, exec_lo, s6
	s_waitcnt lgkmcnt(0)
	s_barrier
	buffer_gl0_inv
	s_and_saveexec_b32 s1, s0
	s_cbranch_execz .LBB142_15
; %bb.14:
	ds_read_b128 v[4:7], v2 offset:4096
	ds_read_b128 v[8:11], v3
	ds_read_b128 v[12:15], v3 offset:256
	ds_read_b128 v[16:19], v2 offset:4352
	;; [unrolled: 1-line block ×4, first 2 shown]
	s_waitcnt lgkmcnt(4)
	v_mul_f64 v[28:29], v[8:9], v[6:7]
	v_mul_f64 v[6:7], v[10:11], v[6:7]
	s_waitcnt lgkmcnt(2)
	v_mul_f64 v[36:37], v[12:13], v[18:19]
	s_waitcnt lgkmcnt(0)
	v_mul_f64 v[38:39], v[20:21], v[26:27]
	v_mul_f64 v[18:19], v[14:15], v[18:19]
	v_mul_f64 v[26:27], v[22:23], v[26:27]
	v_fma_f64 v[10:11], v[10:11], v[4:5], v[28:29]
	ds_read_b128 v[28:31], v3 offset:768
	ds_read_b128 v[32:35], v2 offset:4864
	v_fma_f64 v[14:15], v[14:15], v[16:17], v[36:37]
	v_fma_f64 v[36:37], v[8:9], v[4:5], -v[6:7]
	v_fma_f64 v[22:23], v[22:23], v[24:25], v[38:39]
	v_fma_f64 v[38:39], v[12:13], v[16:17], -v[18:19]
	s_waitcnt lgkmcnt(0)
	v_mul_f64 v[42:43], v[28:29], v[34:35]
	v_add_f64 v[40:41], v[10:11], 0
	ds_read_b128 v[4:7], v3 offset:1024
	ds_read_b128 v[8:11], v2 offset:5120
	v_mul_f64 v[34:35], v[30:31], v[34:35]
	v_add_f64 v[36:37], v[36:37], 0
	s_waitcnt lgkmcnt(0)
	v_mul_f64 v[44:45], v[4:5], v[10:11]
	v_add_f64 v[40:41], v[40:41], v[14:15]
	v_fma_f64 v[30:31], v[30:31], v[32:33], v[42:43]
	v_fma_f64 v[42:43], v[20:21], v[24:25], -v[26:27]
	v_add_f64 v[36:37], v[36:37], v[38:39]
	ds_read_b128 v[12:15], v3 offset:1280
	ds_read_b128 v[16:19], v2 offset:5376
	v_mul_f64 v[10:11], v[6:7], v[10:11]
	v_fma_f64 v[6:7], v[6:7], v[8:9], v[44:45]
	v_add_f64 v[38:39], v[40:41], v[22:23]
	v_fma_f64 v[44:45], v[28:29], v[32:33], -v[34:35]
	s_waitcnt lgkmcnt(0)
	v_mul_f64 v[40:41], v[12:13], v[18:19]
	v_add_f64 v[36:37], v[36:37], v[42:43]
	ds_read_b128 v[20:23], v3 offset:1536
	ds_read_b128 v[24:27], v2 offset:5632
	v_mul_f64 v[18:19], v[14:15], v[18:19]
	v_add_f64 v[38:39], v[38:39], v[30:31]
	ds_read_b128 v[28:31], v3 offset:1792
	ds_read_b128 v[32:35], v2 offset:5888
	s_waitcnt lgkmcnt(2)
	v_mul_f64 v[42:43], v[20:21], v[26:27]
	v_fma_f64 v[14:15], v[14:15], v[16:17], v[40:41]
	v_fma_f64 v[40:41], v[4:5], v[8:9], -v[10:11]
	v_add_f64 v[36:37], v[36:37], v[44:45]
	v_mul_f64 v[26:27], v[22:23], v[26:27]
	s_waitcnt lgkmcnt(0)
	v_mul_f64 v[44:45], v[28:29], v[34:35]
	v_add_f64 v[38:39], v[38:39], v[6:7]
	ds_read_b128 v[4:7], v3 offset:2048
	ds_read_b128 v[8:11], v2 offset:6144
	v_fma_f64 v[22:23], v[22:23], v[24:25], v[42:43]
	v_fma_f64 v[42:43], v[12:13], v[16:17], -v[18:19]
	v_mul_f64 v[34:35], v[30:31], v[34:35]
	v_add_f64 v[36:37], v[36:37], v[40:41]
	s_waitcnt lgkmcnt(0)
	v_mul_f64 v[40:41], v[4:5], v[10:11]
	v_add_f64 v[38:39], v[38:39], v[14:15]
	v_fma_f64 v[30:31], v[30:31], v[32:33], v[44:45]
	v_fma_f64 v[44:45], v[20:21], v[24:25], -v[26:27]
	ds_read_b128 v[12:15], v3 offset:2304
	ds_read_b128 v[16:19], v2 offset:6400
	v_mul_f64 v[10:11], v[6:7], v[10:11]
	v_add_f64 v[36:37], v[36:37], v[42:43]
	v_fma_f64 v[6:7], v[6:7], v[8:9], v[40:41]
	v_add_f64 v[38:39], v[38:39], v[22:23]
	s_waitcnt lgkmcnt(0)
	v_mul_f64 v[42:43], v[12:13], v[18:19]
	v_fma_f64 v[40:41], v[28:29], v[32:33], -v[34:35]
	ds_read_b128 v[20:23], v3 offset:2560
	ds_read_b128 v[24:27], v2 offset:6656
	v_mul_f64 v[18:19], v[14:15], v[18:19]
	v_add_f64 v[36:37], v[36:37], v[44:45]
	v_add_f64 v[38:39], v[38:39], v[30:31]
	s_waitcnt lgkmcnt(0)
	v_mul_f64 v[44:45], v[20:21], v[26:27]
	v_fma_f64 v[14:15], v[14:15], v[16:17], v[42:43]
	v_fma_f64 v[42:43], v[4:5], v[8:9], -v[10:11]
	ds_read_b128 v[28:31], v3 offset:2816
	ds_read_b128 v[32:35], v2 offset:6912
	v_add_f64 v[36:37], v[36:37], v[40:41]
	v_mul_f64 v[26:27], v[22:23], v[26:27]
	v_add_f64 v[38:39], v[38:39], v[6:7]
	v_fma_f64 v[22:23], v[22:23], v[24:25], v[44:45]
	s_waitcnt lgkmcnt(0)
	v_mul_f64 v[40:41], v[28:29], v[34:35]
	v_fma_f64 v[44:45], v[12:13], v[16:17], -v[18:19]
	ds_read_b128 v[4:7], v3 offset:3072
	ds_read_b128 v[8:11], v2 offset:7168
	v_add_f64 v[36:37], v[36:37], v[42:43]
	v_mul_f64 v[34:35], v[30:31], v[34:35]
	v_add_f64 v[38:39], v[38:39], v[14:15]
	ds_read_b128 v[12:15], v3 offset:3328
	ds_read_b128 v[16:19], v2 offset:7424
	s_waitcnt lgkmcnt(2)
	v_mul_f64 v[42:43], v[4:5], v[10:11]
	v_fma_f64 v[30:31], v[30:31], v[32:33], v[40:41]
	v_fma_f64 v[40:41], v[20:21], v[24:25], -v[26:27]
	v_add_f64 v[36:37], v[36:37], v[44:45]
	v_mul_f64 v[10:11], v[6:7], v[10:11]
	s_waitcnt lgkmcnt(0)
	v_mul_f64 v[44:45], v[12:13], v[18:19]
	v_add_f64 v[38:39], v[38:39], v[22:23]
	ds_read_b128 v[20:23], v3 offset:3584
	ds_read_b128 v[24:27], v2 offset:7680
	v_fma_f64 v[6:7], v[6:7], v[8:9], v[42:43]
	v_fma_f64 v[42:43], v[28:29], v[32:33], -v[34:35]
	v_mul_f64 v[18:19], v[14:15], v[18:19]
	v_add_f64 v[36:37], v[36:37], v[40:41]
	s_waitcnt lgkmcnt(0)
	v_mul_f64 v[40:41], v[20:21], v[26:27]
	v_add_f64 v[38:39], v[38:39], v[30:31]
	ds_read_b128 v[28:31], v3 offset:3840
	ds_read_b128 v[32:35], v2 offset:7936
	v_fma_f64 v[14:15], v[14:15], v[16:17], v[44:45]
	v_fma_f64 v[3:4], v[4:5], v[8:9], -v[10:11]
	v_mul_f64 v[26:27], v[22:23], v[26:27]
	v_add_f64 v[8:9], v[36:37], v[42:43]
	v_fma_f64 v[12:13], v[12:13], v[16:17], -v[18:19]
	s_clause 0x1
	s_load_dwordx4 s[12:15], s[4:5], 0x50
	s_load_dwordx2 s[0:1], s[4:5], 0x60
	s_waitcnt lgkmcnt(0)
	v_mul_f64 v[10:11], v[28:29], v[34:35]
	v_add_f64 v[5:6], v[38:39], v[6:7]
	v_fma_f64 v[22:23], v[22:23], v[24:25], v[40:41]
	v_add_f64 v[3:4], v[8:9], v[3:4]
	v_mul_f64 v[7:8], v[30:31], v[34:35]
	s_mul_i32 s1, s1, s7
	s_mul_hi_u32 s4, s0, s7
	s_mul_i32 s0, s0, s7
	s_add_i32 s1, s4, s1
	s_lshl_b64 s[0:1], s[0:1], 4
	s_add_u32 s4, s12, s0
	s_addc_u32 s5, s13, s1
	s_lshl_b64 s[0:1], s[2:3], 4
	s_add_u32 s0, s4, s0
	s_addc_u32 s1, s5, s1
	v_fma_f64 v[9:10], v[30:31], v[32:33], v[10:11]
	v_add_f64 v[5:6], v[5:6], v[14:15]
	v_fma_f64 v[14:15], v[20:21], v[24:25], -v[26:27]
	v_add_f64 v[3:4], v[3:4], v[12:13]
	v_fma_f64 v[7:8], v[28:29], v[32:33], -v[7:8]
	v_add_f64 v[5:6], v[5:6], v[22:23]
	v_add_f64 v[3:4], v[3:4], v[14:15]
	;; [unrolled: 1-line block ×3, first 2 shown]
	v_mad_u64_u32 v[9:10], null, s14, v1, 0
	v_add_f64 v[3:4], v[3:4], v[7:8]
	v_mov_b32_e32 v0, v10
	v_mad_u64_u32 v[0:1], null, s15, v1, v[0:1]
	v_mov_b32_e32 v10, v0
	v_mul_f64 v[7:8], s[8:9], v[5:6]
	v_mul_f64 v[11:12], s[10:11], v[5:6]
	v_lshlrev_b64 v[0:1], 4, v[9:10]
	v_add_co_u32 v0, vcc_lo, s0, v0
	v_add_co_ci_u32_e64 v1, null, s1, v1, vcc_lo
	v_add_co_u32 v0, vcc_lo, v0, v2
	v_add_co_ci_u32_e64 v1, null, 0, v1, vcc_lo
	v_fma_f64 v[5:6], s[10:11], v[3:4], v[7:8]
	v_fma_f64 v[3:4], s[8:9], v[3:4], -v[11:12]
	global_store_dwordx4 v[0:1], v[3:6], off
.LBB142_15:
	s_endpgm
	.section	.rodata,"a",@progbits
	.p2align	6, 0x0
	.amdhsa_kernel _ZL23rocblas_trmm_rTx_kernelILi16ELb1E19rocblas_complex_numIdEPKS1_S2_S1_Ev13rocblas_fill_17rocblas_diagonal_iiT2_lPT3_llS8_llPT4_lli
		.amdhsa_group_segment_fixed_size 8192
		.amdhsa_private_segment_fixed_size 0
		.amdhsa_kernarg_size 108
		.amdhsa_user_sgpr_count 6
		.amdhsa_user_sgpr_private_segment_buffer 1
		.amdhsa_user_sgpr_dispatch_ptr 0
		.amdhsa_user_sgpr_queue_ptr 0
		.amdhsa_user_sgpr_kernarg_segment_ptr 1
		.amdhsa_user_sgpr_dispatch_id 0
		.amdhsa_user_sgpr_flat_scratch_init 0
		.amdhsa_user_sgpr_private_segment_size 0
		.amdhsa_wavefront_size32 1
		.amdhsa_uses_dynamic_stack 0
		.amdhsa_system_sgpr_private_segment_wavefront_offset 0
		.amdhsa_system_sgpr_workgroup_id_x 1
		.amdhsa_system_sgpr_workgroup_id_y 0
		.amdhsa_system_sgpr_workgroup_id_z 1
		.amdhsa_system_sgpr_workgroup_info 0
		.amdhsa_system_vgpr_workitem_id 1
		.amdhsa_next_free_vgpr 46
		.amdhsa_next_free_sgpr 28
		.amdhsa_reserve_vcc 1
		.amdhsa_reserve_flat_scratch 0
		.amdhsa_float_round_mode_32 0
		.amdhsa_float_round_mode_16_64 0
		.amdhsa_float_denorm_mode_32 3
		.amdhsa_float_denorm_mode_16_64 3
		.amdhsa_dx10_clamp 1
		.amdhsa_ieee_mode 1
		.amdhsa_fp16_overflow 0
		.amdhsa_workgroup_processor_mode 1
		.amdhsa_memory_ordered 1
		.amdhsa_forward_progress 1
		.amdhsa_shared_vgpr_count 0
		.amdhsa_exception_fp_ieee_invalid_op 0
		.amdhsa_exception_fp_denorm_src 0
		.amdhsa_exception_fp_ieee_div_zero 0
		.amdhsa_exception_fp_ieee_overflow 0
		.amdhsa_exception_fp_ieee_underflow 0
		.amdhsa_exception_fp_ieee_inexact 0
		.amdhsa_exception_int_div_zero 0
	.end_amdhsa_kernel
	.section	.text._ZL23rocblas_trmm_rTx_kernelILi16ELb1E19rocblas_complex_numIdEPKS1_S2_S1_Ev13rocblas_fill_17rocblas_diagonal_iiT2_lPT3_llS8_llPT4_lli,"axG",@progbits,_ZL23rocblas_trmm_rTx_kernelILi16ELb1E19rocblas_complex_numIdEPKS1_S2_S1_Ev13rocblas_fill_17rocblas_diagonal_iiT2_lPT3_llS8_llPT4_lli,comdat
.Lfunc_end142:
	.size	_ZL23rocblas_trmm_rTx_kernelILi16ELb1E19rocblas_complex_numIdEPKS1_S2_S1_Ev13rocblas_fill_17rocblas_diagonal_iiT2_lPT3_llS8_llPT4_lli, .Lfunc_end142-_ZL23rocblas_trmm_rTx_kernelILi16ELb1E19rocblas_complex_numIdEPKS1_S2_S1_Ev13rocblas_fill_17rocblas_diagonal_iiT2_lPT3_llS8_llPT4_lli
                                        ; -- End function
	.set _ZL23rocblas_trmm_rTx_kernelILi16ELb1E19rocblas_complex_numIdEPKS1_S2_S1_Ev13rocblas_fill_17rocblas_diagonal_iiT2_lPT3_llS8_llPT4_lli.num_vgpr, 46
	.set _ZL23rocblas_trmm_rTx_kernelILi16ELb1E19rocblas_complex_numIdEPKS1_S2_S1_Ev13rocblas_fill_17rocblas_diagonal_iiT2_lPT3_llS8_llPT4_lli.num_agpr, 0
	.set _ZL23rocblas_trmm_rTx_kernelILi16ELb1E19rocblas_complex_numIdEPKS1_S2_S1_Ev13rocblas_fill_17rocblas_diagonal_iiT2_lPT3_llS8_llPT4_lli.numbered_sgpr, 28
	.set _ZL23rocblas_trmm_rTx_kernelILi16ELb1E19rocblas_complex_numIdEPKS1_S2_S1_Ev13rocblas_fill_17rocblas_diagonal_iiT2_lPT3_llS8_llPT4_lli.num_named_barrier, 0
	.set _ZL23rocblas_trmm_rTx_kernelILi16ELb1E19rocblas_complex_numIdEPKS1_S2_S1_Ev13rocblas_fill_17rocblas_diagonal_iiT2_lPT3_llS8_llPT4_lli.private_seg_size, 0
	.set _ZL23rocblas_trmm_rTx_kernelILi16ELb1E19rocblas_complex_numIdEPKS1_S2_S1_Ev13rocblas_fill_17rocblas_diagonal_iiT2_lPT3_llS8_llPT4_lli.uses_vcc, 1
	.set _ZL23rocblas_trmm_rTx_kernelILi16ELb1E19rocblas_complex_numIdEPKS1_S2_S1_Ev13rocblas_fill_17rocblas_diagonal_iiT2_lPT3_llS8_llPT4_lli.uses_flat_scratch, 0
	.set _ZL23rocblas_trmm_rTx_kernelILi16ELb1E19rocblas_complex_numIdEPKS1_S2_S1_Ev13rocblas_fill_17rocblas_diagonal_iiT2_lPT3_llS8_llPT4_lli.has_dyn_sized_stack, 0
	.set _ZL23rocblas_trmm_rTx_kernelILi16ELb1E19rocblas_complex_numIdEPKS1_S2_S1_Ev13rocblas_fill_17rocblas_diagonal_iiT2_lPT3_llS8_llPT4_lli.has_recursion, 0
	.set _ZL23rocblas_trmm_rTx_kernelILi16ELb1E19rocblas_complex_numIdEPKS1_S2_S1_Ev13rocblas_fill_17rocblas_diagonal_iiT2_lPT3_llS8_llPT4_lli.has_indirect_call, 0
	.section	.AMDGPU.csdata,"",@progbits
; Kernel info:
; codeLenInByte = 1904
; TotalNumSgprs: 30
; NumVgprs: 46
; ScratchSize: 0
; MemoryBound: 0
; FloatMode: 240
; IeeeMode: 1
; LDSByteSize: 8192 bytes/workgroup (compile time only)
; SGPRBlocks: 0
; VGPRBlocks: 5
; NumSGPRsForWavesPerEU: 30
; NumVGPRsForWavesPerEU: 46
; Occupancy: 16
; WaveLimiterHint : 0
; COMPUTE_PGM_RSRC2:SCRATCH_EN: 0
; COMPUTE_PGM_RSRC2:USER_SGPR: 6
; COMPUTE_PGM_RSRC2:TRAP_HANDLER: 0
; COMPUTE_PGM_RSRC2:TGID_X_EN: 1
; COMPUTE_PGM_RSRC2:TGID_Y_EN: 0
; COMPUTE_PGM_RSRC2:TGID_Z_EN: 1
; COMPUTE_PGM_RSRC2:TIDIG_COMP_CNT: 1
	.section	.text._ZL23rocblas_trmm_rTx_kernelILi16ELb1E19rocblas_complex_numIdES1_KS1_S1_Ev13rocblas_fill_17rocblas_diagonal_iiT2_lPT3_llS7_llPT4_lli,"axG",@progbits,_ZL23rocblas_trmm_rTx_kernelILi16ELb1E19rocblas_complex_numIdES1_KS1_S1_Ev13rocblas_fill_17rocblas_diagonal_iiT2_lPT3_llS7_llPT4_lli,comdat
	.globl	_ZL23rocblas_trmm_rTx_kernelILi16ELb1E19rocblas_complex_numIdES1_KS1_S1_Ev13rocblas_fill_17rocblas_diagonal_iiT2_lPT3_llS7_llPT4_lli ; -- Begin function _ZL23rocblas_trmm_rTx_kernelILi16ELb1E19rocblas_complex_numIdES1_KS1_S1_Ev13rocblas_fill_17rocblas_diagonal_iiT2_lPT3_llS7_llPT4_lli
	.p2align	8
	.type	_ZL23rocblas_trmm_rTx_kernelILi16ELb1E19rocblas_complex_numIdES1_KS1_S1_Ev13rocblas_fill_17rocblas_diagonal_iiT2_lPT3_llS7_llPT4_lli,@function
_ZL23rocblas_trmm_rTx_kernelILi16ELb1E19rocblas_complex_numIdES1_KS1_S1_Ev13rocblas_fill_17rocblas_diagonal_iiT2_lPT3_llS7_llPT4_lli: ; @_ZL23rocblas_trmm_rTx_kernelILi16ELb1E19rocblas_complex_numIdES1_KS1_S1_Ev13rocblas_fill_17rocblas_diagonal_iiT2_lPT3_llS7_llPT4_lli
; %bb.0:
	s_load_dwordx4 s[24:27], s[4:5], 0x10
	s_waitcnt lgkmcnt(0)
	v_cmp_neq_f64_e64 s0, s[24:25], 0
	v_cmp_neq_f64_e64 s1, s[26:27], 0
	s_or_b32 s0, s0, s1
	s_andn2_b32 vcc_lo, exec_lo, s0
	s_cbranch_vccnz .LBB143_15
; %bb.1:
	s_clause 0x1
	s_load_dwordx4 s[28:31], s[4:5], 0x0
	s_load_dwordx16 s[8:23], s[4:5], 0x28
	s_mov_b32 s0, 0
	v_lshlrev_b32_e32 v3, 4, v1
	s_mov_b32 s3, s0
	s_mov_b32 s1, s0
	;; [unrolled: 1-line block ×3, first 2 shown]
	v_mov_b32_e32 v8, s3
	v_mov_b32_e32 v7, s2
	;; [unrolled: 1-line block ×4, first 2 shown]
	v_add_lshl_u32 v4, v3, v0, 4
	v_lshlrev_b32_e32 v2, 4, v0
	ds_write_b128 v4, v[5:8]
	ds_write_b128 v4, v[5:8] offset:4096
	s_waitcnt lgkmcnt(0)
	v_cmp_gt_i32_e32 vcc_lo, s31, v1
	v_cmp_gt_i32_e64 s0, s31, v0
	s_and_b32 s0, vcc_lo, s0
	s_and_saveexec_b32 s1, s0
	s_cbranch_execz .LBB143_3
; %bb.2:
	v_mad_u64_u32 v[5:6], null, s10, v1, 0
	s_mul_i32 s0, s13, s7
	s_mul_hi_u32 s3, s12, s7
	s_mul_i32 s2, s12, s7
	s_add_i32 s3, s3, s0
	s_lshl_b64 s[2:3], s[2:3], 4
	v_mad_u64_u32 v[6:7], null, s11, v1, v[6:7]
	s_add_u32 s0, s8, s2
	s_addc_u32 s2, s9, s3
	v_lshlrev_b64 v[5:6], 4, v[5:6]
	v_add_co_u32 v5, s0, s0, v5
	v_add_co_ci_u32_e64 v6, null, s2, v6, s0
	v_add_co_u32 v5, s0, v5, v2
	v_add_co_ci_u32_e64 v6, null, 0, v6, s0
	global_load_dwordx4 v[5:8], v[5:6], off
	s_waitcnt vmcnt(0)
	v_xor_b32_e32 v8, 0x80000000, v8
	ds_write_b128 v4, v[5:8]
.LBB143_3:
	s_or_b32 exec_lo, exec_lo, s1
	s_add_i32 s0, s30, -1
	s_ashr_i32 s1, s0, 31
	s_lshr_b32 s1, s1, 28
	s_add_i32 s0, s0, s1
	s_and_b32 s1, s0, -16
	s_ashr_i32 s0, s0, 4
	s_sub_i32 s1, s30, s1
	s_cmp_ge_i32 s6, s0
	s_cselect_b32 s0, s1, 16
	s_lshl_b32 s2, s6, 4
	v_cmp_gt_i32_e64 s0, s0, v0
	s_ashr_i32 s3, s2, 31
	s_and_b32 s0, vcc_lo, s0
	s_and_saveexec_b32 s1, s0
	s_cbranch_execz .LBB143_5
; %bb.4:
	v_mad_u64_u32 v[5:6], null, s16, v1, 0
	s_mul_i32 s6, s19, s7
	s_mul_hi_u32 s9, s18, s7
	s_mul_i32 s8, s18, s7
	s_add_i32 s9, s9, s6
	v_add_nc_u32_e32 v9, 0x1000, v4
	s_lshl_b64 s[8:9], s[8:9], 4
	v_mad_u64_u32 v[6:7], null, s17, v1, v[6:7]
	s_add_u32 s6, s14, s8
	s_addc_u32 s10, s15, s9
	s_lshl_b64 s[8:9], s[2:3], 4
	s_add_u32 s6, s6, s8
	s_addc_u32 s8, s10, s9
	v_lshlrev_b64 v[5:6], 4, v[5:6]
	v_add_co_u32 v5, vcc_lo, s6, v5
	v_add_co_ci_u32_e64 v6, null, s8, v6, vcc_lo
	v_add_co_u32 v5, vcc_lo, v5, v2
	v_add_co_ci_u32_e64 v6, null, 0, v6, vcc_lo
	global_load_dwordx4 v[5:8], v[5:6], off
	s_waitcnt vmcnt(0)
	ds_write2_b64 v9, v[5:6], v[7:8] offset1:1
.LBB143_5:
	s_or_b32 exec_lo, exec_lo, s1
	v_cmp_eq_u32_e32 vcc_lo, v1, v0
	s_cmpk_eq_i32 s29, 0x84
	s_cselect_b32 s1, -1, 0
	s_and_b32 s6, vcc_lo, s1
	s_and_saveexec_b32 s1, s6
	s_cbranch_execz .LBB143_7
; %bb.6:
	v_mov_b32_e32 v5, 0
	v_mov_b32_e32 v6, 0x3ff00000
	;; [unrolled: 1-line block ×4, first 2 shown]
	ds_write_b128 v4, v[5:8]
.LBB143_7:
	s_or_b32 exec_lo, exec_lo, s1
	s_cmpk_lg_i32 s28, 0x79
	s_cbranch_scc0 .LBB143_9
; %bb.8:
	v_cmp_lt_u32_e32 vcc_lo, v0, v1
	s_and_b32 s1, vcc_lo, exec_lo
	s_cbranch_execz .LBB143_10
	s_branch .LBB143_11
.LBB143_9:
	s_mov_b32 s1, 0
.LBB143_10:
	v_cmp_gt_u32_e32 vcc_lo, v0, v1
	s_andn2_b32 s1, s1, exec_lo
	s_and_b32 s6, vcc_lo, exec_lo
	s_or_b32 s1, s1, s6
.LBB143_11:
	s_and_saveexec_b32 s6, s1
	s_cbranch_execz .LBB143_13
; %bb.12:
	v_mov_b32_e32 v5, 0
	v_mov_b32_e32 v6, v5
	;; [unrolled: 1-line block ×4, first 2 shown]
	ds_write_b128 v4, v[5:8]
.LBB143_13:
	s_or_b32 exec_lo, exec_lo, s6
	s_waitcnt lgkmcnt(0)
	s_barrier
	buffer_gl0_inv
	s_and_saveexec_b32 s1, s0
	s_cbranch_execz .LBB143_15
; %bb.14:
	ds_read_b128 v[4:7], v2 offset:4096
	ds_read_b128 v[8:11], v3
	ds_read_b128 v[12:15], v3 offset:256
	ds_read_b128 v[16:19], v2 offset:4352
	;; [unrolled: 1-line block ×4, first 2 shown]
	s_load_dwordx2 s[0:1], s[4:5], 0x68
	s_waitcnt lgkmcnt(0)
	v_mul_f64 v[28:29], v[8:9], v[6:7]
	v_mul_f64 v[6:7], v[10:11], v[6:7]
	;; [unrolled: 1-line block ×6, first 2 shown]
	s_mul_i32 s1, s1, s7
	s_mul_hi_u32 s4, s0, s7
	s_mul_i32 s0, s0, s7
	s_add_i32 s1, s4, s1
	s_lshl_b64 s[0:1], s[0:1], 4
	s_add_u32 s4, s20, s0
	s_addc_u32 s5, s21, s1
	s_lshl_b64 s[0:1], s[2:3], 4
	s_add_u32 s0, s4, s0
	s_addc_u32 s1, s5, s1
	v_fma_f64 v[10:11], v[10:11], v[4:5], v[28:29]
	ds_read_b128 v[28:31], v3 offset:768
	ds_read_b128 v[32:35], v2 offset:4864
	v_fma_f64 v[14:15], v[14:15], v[16:17], v[36:37]
	v_fma_f64 v[36:37], v[8:9], v[4:5], -v[6:7]
	v_fma_f64 v[22:23], v[22:23], v[24:25], v[38:39]
	v_fma_f64 v[38:39], v[12:13], v[16:17], -v[18:19]
	s_waitcnt lgkmcnt(0)
	v_mul_f64 v[42:43], v[28:29], v[34:35]
	v_add_f64 v[40:41], v[10:11], 0
	ds_read_b128 v[4:7], v3 offset:1024
	ds_read_b128 v[8:11], v2 offset:5120
	v_mul_f64 v[34:35], v[30:31], v[34:35]
	v_add_f64 v[36:37], v[36:37], 0
	s_waitcnt lgkmcnt(0)
	v_mul_f64 v[44:45], v[4:5], v[10:11]
	v_add_f64 v[40:41], v[40:41], v[14:15]
	v_fma_f64 v[30:31], v[30:31], v[32:33], v[42:43]
	v_fma_f64 v[42:43], v[20:21], v[24:25], -v[26:27]
	v_add_f64 v[36:37], v[36:37], v[38:39]
	ds_read_b128 v[12:15], v3 offset:1280
	ds_read_b128 v[16:19], v2 offset:5376
	v_mul_f64 v[10:11], v[6:7], v[10:11]
	v_fma_f64 v[6:7], v[6:7], v[8:9], v[44:45]
	v_add_f64 v[38:39], v[40:41], v[22:23]
	v_fma_f64 v[44:45], v[28:29], v[32:33], -v[34:35]
	s_waitcnt lgkmcnt(0)
	v_mul_f64 v[40:41], v[12:13], v[18:19]
	v_add_f64 v[36:37], v[36:37], v[42:43]
	ds_read_b128 v[20:23], v3 offset:1536
	ds_read_b128 v[24:27], v2 offset:5632
	v_mul_f64 v[18:19], v[14:15], v[18:19]
	v_add_f64 v[38:39], v[38:39], v[30:31]
	ds_read_b128 v[28:31], v3 offset:1792
	ds_read_b128 v[32:35], v2 offset:5888
	s_waitcnt lgkmcnt(2)
	v_mul_f64 v[42:43], v[20:21], v[26:27]
	v_fma_f64 v[14:15], v[14:15], v[16:17], v[40:41]
	v_fma_f64 v[40:41], v[4:5], v[8:9], -v[10:11]
	v_add_f64 v[36:37], v[36:37], v[44:45]
	v_mul_f64 v[26:27], v[22:23], v[26:27]
	s_waitcnt lgkmcnt(0)
	v_mul_f64 v[44:45], v[28:29], v[34:35]
	v_add_f64 v[38:39], v[38:39], v[6:7]
	ds_read_b128 v[4:7], v3 offset:2048
	ds_read_b128 v[8:11], v2 offset:6144
	v_fma_f64 v[22:23], v[22:23], v[24:25], v[42:43]
	v_fma_f64 v[42:43], v[12:13], v[16:17], -v[18:19]
	v_mul_f64 v[34:35], v[30:31], v[34:35]
	v_add_f64 v[36:37], v[36:37], v[40:41]
	s_waitcnt lgkmcnt(0)
	v_mul_f64 v[40:41], v[4:5], v[10:11]
	v_add_f64 v[38:39], v[38:39], v[14:15]
	v_fma_f64 v[30:31], v[30:31], v[32:33], v[44:45]
	v_fma_f64 v[44:45], v[20:21], v[24:25], -v[26:27]
	ds_read_b128 v[12:15], v3 offset:2304
	ds_read_b128 v[16:19], v2 offset:6400
	v_mul_f64 v[10:11], v[6:7], v[10:11]
	v_add_f64 v[36:37], v[36:37], v[42:43]
	v_fma_f64 v[6:7], v[6:7], v[8:9], v[40:41]
	v_add_f64 v[38:39], v[38:39], v[22:23]
	s_waitcnt lgkmcnt(0)
	v_mul_f64 v[42:43], v[12:13], v[18:19]
	v_fma_f64 v[40:41], v[28:29], v[32:33], -v[34:35]
	ds_read_b128 v[20:23], v3 offset:2560
	ds_read_b128 v[24:27], v2 offset:6656
	v_mul_f64 v[18:19], v[14:15], v[18:19]
	v_add_f64 v[36:37], v[36:37], v[44:45]
	v_add_f64 v[38:39], v[38:39], v[30:31]
	s_waitcnt lgkmcnt(0)
	v_mul_f64 v[44:45], v[20:21], v[26:27]
	v_fma_f64 v[14:15], v[14:15], v[16:17], v[42:43]
	v_fma_f64 v[42:43], v[4:5], v[8:9], -v[10:11]
	ds_read_b128 v[28:31], v3 offset:2816
	ds_read_b128 v[32:35], v2 offset:6912
	v_add_f64 v[36:37], v[36:37], v[40:41]
	v_mul_f64 v[26:27], v[22:23], v[26:27]
	v_add_f64 v[38:39], v[38:39], v[6:7]
	v_fma_f64 v[22:23], v[22:23], v[24:25], v[44:45]
	s_waitcnt lgkmcnt(0)
	v_mul_f64 v[40:41], v[28:29], v[34:35]
	v_fma_f64 v[44:45], v[12:13], v[16:17], -v[18:19]
	ds_read_b128 v[4:7], v3 offset:3072
	ds_read_b128 v[8:11], v2 offset:7168
	v_add_f64 v[36:37], v[36:37], v[42:43]
	v_mul_f64 v[34:35], v[30:31], v[34:35]
	v_add_f64 v[38:39], v[38:39], v[14:15]
	ds_read_b128 v[12:15], v3 offset:3328
	ds_read_b128 v[16:19], v2 offset:7424
	s_waitcnt lgkmcnt(2)
	v_mul_f64 v[42:43], v[4:5], v[10:11]
	v_fma_f64 v[30:31], v[30:31], v[32:33], v[40:41]
	v_fma_f64 v[40:41], v[20:21], v[24:25], -v[26:27]
	v_add_f64 v[36:37], v[36:37], v[44:45]
	v_mul_f64 v[10:11], v[6:7], v[10:11]
	s_waitcnt lgkmcnt(0)
	v_mul_f64 v[44:45], v[12:13], v[18:19]
	v_add_f64 v[38:39], v[38:39], v[22:23]
	ds_read_b128 v[20:23], v3 offset:3584
	ds_read_b128 v[24:27], v2 offset:7680
	v_fma_f64 v[6:7], v[6:7], v[8:9], v[42:43]
	v_fma_f64 v[42:43], v[28:29], v[32:33], -v[34:35]
	v_mul_f64 v[18:19], v[14:15], v[18:19]
	v_add_f64 v[36:37], v[36:37], v[40:41]
	s_waitcnt lgkmcnt(0)
	v_mul_f64 v[40:41], v[20:21], v[26:27]
	v_add_f64 v[38:39], v[38:39], v[30:31]
	ds_read_b128 v[28:31], v3 offset:3840
	ds_read_b128 v[32:35], v2 offset:7936
	v_fma_f64 v[14:15], v[14:15], v[16:17], v[44:45]
	v_fma_f64 v[3:4], v[4:5], v[8:9], -v[10:11]
	v_mul_f64 v[26:27], v[22:23], v[26:27]
	v_add_f64 v[8:9], v[36:37], v[42:43]
	v_fma_f64 v[12:13], v[12:13], v[16:17], -v[18:19]
	s_waitcnt lgkmcnt(0)
	v_mul_f64 v[10:11], v[28:29], v[34:35]
	v_add_f64 v[5:6], v[38:39], v[6:7]
	v_fma_f64 v[22:23], v[22:23], v[24:25], v[40:41]
	v_add_f64 v[3:4], v[8:9], v[3:4]
	v_mul_f64 v[7:8], v[30:31], v[34:35]
	v_fma_f64 v[9:10], v[30:31], v[32:33], v[10:11]
	v_add_f64 v[5:6], v[5:6], v[14:15]
	v_fma_f64 v[14:15], v[20:21], v[24:25], -v[26:27]
	v_add_f64 v[3:4], v[3:4], v[12:13]
	v_fma_f64 v[7:8], v[28:29], v[32:33], -v[7:8]
	v_add_f64 v[5:6], v[5:6], v[22:23]
	v_add_f64 v[3:4], v[3:4], v[14:15]
	;; [unrolled: 1-line block ×3, first 2 shown]
	v_mad_u64_u32 v[9:10], null, s22, v1, 0
	v_add_f64 v[3:4], v[3:4], v[7:8]
	v_mov_b32_e32 v0, v10
	v_mad_u64_u32 v[0:1], null, s23, v1, v[0:1]
	v_mov_b32_e32 v10, v0
	v_mul_f64 v[7:8], s[24:25], v[5:6]
	v_mul_f64 v[11:12], s[26:27], v[5:6]
	v_lshlrev_b64 v[0:1], 4, v[9:10]
	v_add_co_u32 v0, vcc_lo, s0, v0
	v_add_co_ci_u32_e64 v1, null, s1, v1, vcc_lo
	v_add_co_u32 v0, vcc_lo, v0, v2
	v_add_co_ci_u32_e64 v1, null, 0, v1, vcc_lo
	v_fma_f64 v[5:6], s[26:27], v[3:4], v[7:8]
	v_fma_f64 v[3:4], s[24:25], v[3:4], -v[11:12]
	global_store_dwordx4 v[0:1], v[3:6], off
.LBB143_15:
	s_endpgm
	.section	.rodata,"a",@progbits
	.p2align	6, 0x0
	.amdhsa_kernel _ZL23rocblas_trmm_rTx_kernelILi16ELb1E19rocblas_complex_numIdES1_KS1_S1_Ev13rocblas_fill_17rocblas_diagonal_iiT2_lPT3_llS7_llPT4_lli
		.amdhsa_group_segment_fixed_size 8192
		.amdhsa_private_segment_fixed_size 0
		.amdhsa_kernarg_size 116
		.amdhsa_user_sgpr_count 6
		.amdhsa_user_sgpr_private_segment_buffer 1
		.amdhsa_user_sgpr_dispatch_ptr 0
		.amdhsa_user_sgpr_queue_ptr 0
		.amdhsa_user_sgpr_kernarg_segment_ptr 1
		.amdhsa_user_sgpr_dispatch_id 0
		.amdhsa_user_sgpr_flat_scratch_init 0
		.amdhsa_user_sgpr_private_segment_size 0
		.amdhsa_wavefront_size32 1
		.amdhsa_uses_dynamic_stack 0
		.amdhsa_system_sgpr_private_segment_wavefront_offset 0
		.amdhsa_system_sgpr_workgroup_id_x 1
		.amdhsa_system_sgpr_workgroup_id_y 0
		.amdhsa_system_sgpr_workgroup_id_z 1
		.amdhsa_system_sgpr_workgroup_info 0
		.amdhsa_system_vgpr_workitem_id 1
		.amdhsa_next_free_vgpr 46
		.amdhsa_next_free_sgpr 32
		.amdhsa_reserve_vcc 1
		.amdhsa_reserve_flat_scratch 0
		.amdhsa_float_round_mode_32 0
		.amdhsa_float_round_mode_16_64 0
		.amdhsa_float_denorm_mode_32 3
		.amdhsa_float_denorm_mode_16_64 3
		.amdhsa_dx10_clamp 1
		.amdhsa_ieee_mode 1
		.amdhsa_fp16_overflow 0
		.amdhsa_workgroup_processor_mode 1
		.amdhsa_memory_ordered 1
		.amdhsa_forward_progress 1
		.amdhsa_shared_vgpr_count 0
		.amdhsa_exception_fp_ieee_invalid_op 0
		.amdhsa_exception_fp_denorm_src 0
		.amdhsa_exception_fp_ieee_div_zero 0
		.amdhsa_exception_fp_ieee_overflow 0
		.amdhsa_exception_fp_ieee_underflow 0
		.amdhsa_exception_fp_ieee_inexact 0
		.amdhsa_exception_int_div_zero 0
	.end_amdhsa_kernel
	.section	.text._ZL23rocblas_trmm_rTx_kernelILi16ELb1E19rocblas_complex_numIdES1_KS1_S1_Ev13rocblas_fill_17rocblas_diagonal_iiT2_lPT3_llS7_llPT4_lli,"axG",@progbits,_ZL23rocblas_trmm_rTx_kernelILi16ELb1E19rocblas_complex_numIdES1_KS1_S1_Ev13rocblas_fill_17rocblas_diagonal_iiT2_lPT3_llS7_llPT4_lli,comdat
.Lfunc_end143:
	.size	_ZL23rocblas_trmm_rTx_kernelILi16ELb1E19rocblas_complex_numIdES1_KS1_S1_Ev13rocblas_fill_17rocblas_diagonal_iiT2_lPT3_llS7_llPT4_lli, .Lfunc_end143-_ZL23rocblas_trmm_rTx_kernelILi16ELb1E19rocblas_complex_numIdES1_KS1_S1_Ev13rocblas_fill_17rocblas_diagonal_iiT2_lPT3_llS7_llPT4_lli
                                        ; -- End function
	.set _ZL23rocblas_trmm_rTx_kernelILi16ELb1E19rocblas_complex_numIdES1_KS1_S1_Ev13rocblas_fill_17rocblas_diagonal_iiT2_lPT3_llS7_llPT4_lli.num_vgpr, 46
	.set _ZL23rocblas_trmm_rTx_kernelILi16ELb1E19rocblas_complex_numIdES1_KS1_S1_Ev13rocblas_fill_17rocblas_diagonal_iiT2_lPT3_llS7_llPT4_lli.num_agpr, 0
	.set _ZL23rocblas_trmm_rTx_kernelILi16ELb1E19rocblas_complex_numIdES1_KS1_S1_Ev13rocblas_fill_17rocblas_diagonal_iiT2_lPT3_llS7_llPT4_lli.numbered_sgpr, 32
	.set _ZL23rocblas_trmm_rTx_kernelILi16ELb1E19rocblas_complex_numIdES1_KS1_S1_Ev13rocblas_fill_17rocblas_diagonal_iiT2_lPT3_llS7_llPT4_lli.num_named_barrier, 0
	.set _ZL23rocblas_trmm_rTx_kernelILi16ELb1E19rocblas_complex_numIdES1_KS1_S1_Ev13rocblas_fill_17rocblas_diagonal_iiT2_lPT3_llS7_llPT4_lli.private_seg_size, 0
	.set _ZL23rocblas_trmm_rTx_kernelILi16ELb1E19rocblas_complex_numIdES1_KS1_S1_Ev13rocblas_fill_17rocblas_diagonal_iiT2_lPT3_llS7_llPT4_lli.uses_vcc, 1
	.set _ZL23rocblas_trmm_rTx_kernelILi16ELb1E19rocblas_complex_numIdES1_KS1_S1_Ev13rocblas_fill_17rocblas_diagonal_iiT2_lPT3_llS7_llPT4_lli.uses_flat_scratch, 0
	.set _ZL23rocblas_trmm_rTx_kernelILi16ELb1E19rocblas_complex_numIdES1_KS1_S1_Ev13rocblas_fill_17rocblas_diagonal_iiT2_lPT3_llS7_llPT4_lli.has_dyn_sized_stack, 0
	.set _ZL23rocblas_trmm_rTx_kernelILi16ELb1E19rocblas_complex_numIdES1_KS1_S1_Ev13rocblas_fill_17rocblas_diagonal_iiT2_lPT3_llS7_llPT4_lli.has_recursion, 0
	.set _ZL23rocblas_trmm_rTx_kernelILi16ELb1E19rocblas_complex_numIdES1_KS1_S1_Ev13rocblas_fill_17rocblas_diagonal_iiT2_lPT3_llS7_llPT4_lli.has_indirect_call, 0
	.section	.AMDGPU.csdata,"",@progbits
; Kernel info:
; codeLenInByte = 1856
; TotalNumSgprs: 34
; NumVgprs: 46
; ScratchSize: 0
; MemoryBound: 0
; FloatMode: 240
; IeeeMode: 1
; LDSByteSize: 8192 bytes/workgroup (compile time only)
; SGPRBlocks: 0
; VGPRBlocks: 5
; NumSGPRsForWavesPerEU: 34
; NumVGPRsForWavesPerEU: 46
; Occupancy: 16
; WaveLimiterHint : 0
; COMPUTE_PGM_RSRC2:SCRATCH_EN: 0
; COMPUTE_PGM_RSRC2:USER_SGPR: 6
; COMPUTE_PGM_RSRC2:TRAP_HANDLER: 0
; COMPUTE_PGM_RSRC2:TGID_X_EN: 1
; COMPUTE_PGM_RSRC2:TGID_Y_EN: 0
; COMPUTE_PGM_RSRC2:TGID_Z_EN: 1
; COMPUTE_PGM_RSRC2:TIDIG_COMP_CNT: 1
	.section	.text._ZL23rocblas_trmm_lNx_kernelILi32EfPKfKS1_KPfEv13rocblas_fill_17rocblas_diagonal_iiT1_lPT2_llS9_llPT3_lli,"axG",@progbits,_ZL23rocblas_trmm_lNx_kernelILi32EfPKfKS1_KPfEv13rocblas_fill_17rocblas_diagonal_iiT1_lPT2_llS9_llPT3_lli,comdat
	.globl	_ZL23rocblas_trmm_lNx_kernelILi32EfPKfKS1_KPfEv13rocblas_fill_17rocblas_diagonal_iiT1_lPT2_llS9_llPT3_lli ; -- Begin function _ZL23rocblas_trmm_lNx_kernelILi32EfPKfKS1_KPfEv13rocblas_fill_17rocblas_diagonal_iiT1_lPT2_llS9_llPT3_lli
	.p2align	8
	.type	_ZL23rocblas_trmm_lNx_kernelILi32EfPKfKS1_KPfEv13rocblas_fill_17rocblas_diagonal_iiT1_lPT2_llS9_llPT3_lli,@function
_ZL23rocblas_trmm_lNx_kernelILi32EfPKfKS1_KPfEv13rocblas_fill_17rocblas_diagonal_iiT1_lPT2_llS9_llPT3_lli: ; @_ZL23rocblas_trmm_lNx_kernelILi32EfPKfKS1_KPfEv13rocblas_fill_17rocblas_diagonal_iiT1_lPT2_llS9_llPT3_lli
; %bb.0:
	s_load_dwordx16 s[8:23], s[4:5], 0x10
	s_mov_b32 s24, s7
	s_mov_b32 s25, 0
	s_waitcnt lgkmcnt(0)
	s_mul_i32 s0, s11, s7
	s_mul_hi_u32 s1, s10, s7
	s_add_i32 s1, s1, s0
	s_mul_i32 s0, s10, s7
	s_lshl_b64 s[0:1], s[0:1], 2
	s_add_u32 s0, s8, s0
	s_addc_u32 s1, s9, s1
	s_load_dword s7, s[0:1], 0x0
	s_waitcnt lgkmcnt(0)
	v_cmp_eq_f32_e64 s0, s7, 0
	s_and_b32 vcc_lo, exec_lo, s0
	s_cbranch_vccnz .LBB144_15
; %bb.1:
	s_clause 0x1
	s_load_dwordx4 s[0:3], s[4:5], 0x50
	s_load_dwordx4 s[8:11], s[4:5], 0x0
	s_lshl_b64 s[26:27], s[24:25], 3
	v_lshlrev_b32_e32 v3, 5, v1
	s_add_u32 s18, s18, s26
	s_addc_u32 s19, s19, s27
	v_mov_b32_e32 v5, 0
	v_lshlrev_b32_e32 v2, 2, v0
	v_add_lshl_u32 v4, v3, v0, 2
	s_waitcnt lgkmcnt(0)
	s_add_u32 s0, s0, s26
	s_addc_u32 s1, s1, s27
	s_load_dwordx2 s[24:25], s[18:19], 0x0
	s_load_dwordx2 s[18:19], s[0:1], 0x0
	v_cmp_gt_i32_e64 s0, s10, v1
	v_cmp_gt_i32_e32 vcc_lo, s10, v0
	ds_write2st64_b32 v4, v5, v5 offset1:16
	s_and_b32 s0, s0, vcc_lo
	s_and_saveexec_b32 s1, s0
	s_cbranch_execz .LBB144_3
; %bb.2:
	s_add_u32 s12, s12, s26
	s_addc_u32 s13, s13, s27
	v_mad_u64_u32 v[5:6], null, s14, v1, 0
	s_load_dwordx2 s[12:13], s[12:13], 0x0
	v_mad_u64_u32 v[6:7], null, s15, v1, v[6:7]
	s_lshl_b64 s[14:15], s[16:17], 2
	v_lshlrev_b64 v[5:6], 2, v[5:6]
	s_waitcnt lgkmcnt(0)
	s_add_u32 s0, s12, s14
	s_addc_u32 s10, s13, s15
	v_add_co_u32 v5, s0, s0, v5
	v_add_co_ci_u32_e64 v6, null, s10, v6, s0
	v_add_co_u32 v5, s0, v5, v2
	v_add_co_ci_u32_e64 v6, null, 0, v6, s0
	flat_load_dword v5, v[5:6]
	s_waitcnt vmcnt(0) lgkmcnt(0)
	ds_write_b32 v4, v5
.LBB144_3:
	s_or_b32 exec_lo, exec_lo, s1
	s_add_i32 s0, s11, -1
	s_ashr_i32 s1, s0, 31
	s_lshr_b32 s1, s1, 27
	s_add_i32 s0, s0, s1
	s_and_b32 s1, s0, 0xffffffe0
	s_ashr_i32 s0, s0, 5
	s_sub_i32 s1, s11, s1
	s_cmp_ge_i32 s6, s0
	s_cselect_b32 s0, s1, 32
	s_lshl_b32 s1, s6, 5
	v_cmp_gt_i32_e64 s0, s0, v1
	s_ashr_i32 s6, s1, 31
	s_and_b32 s0, vcc_lo, s0
	s_and_saveexec_b32 s10, s0
	s_cbranch_execz .LBB144_5
; %bb.4:
	v_mad_u64_u32 v[5:6], null, s20, v1, 0
	s_lshl_b64 s[12:13], s[22:23], 2
	s_mul_i32 s11, s20, s6
	s_mul_hi_u32 s14, s20, s1
	s_waitcnt lgkmcnt(0)
	s_add_u32 s16, s24, s12
	s_mul_i32 s15, s21, s1
	s_addc_u32 s17, s25, s13
	v_mad_u64_u32 v[6:7], null, s21, v1, v[6:7]
	s_add_i32 s11, s14, s11
	s_mul_i32 s12, s20, s1
	s_add_i32 s13, s11, s15
	s_lshl_b64 s[12:13], s[12:13], 2
	s_add_u32 s11, s16, s12
	v_lshlrev_b64 v[5:6], 2, v[5:6]
	s_addc_u32 s12, s17, s13
	v_add_co_u32 v5, vcc_lo, s11, v5
	v_add_co_ci_u32_e64 v6, null, s12, v6, vcc_lo
	v_add_co_u32 v5, vcc_lo, v5, v2
	v_add_co_ci_u32_e64 v6, null, 0, v6, vcc_lo
	flat_load_dword v5, v[5:6]
	v_add_nc_u32_e32 v6, 0x1000, v4
	s_waitcnt vmcnt(0) lgkmcnt(0)
	ds_write_b32 v6, v5
.LBB144_5:
	s_or_b32 exec_lo, exec_lo, s10
	v_cmp_eq_u32_e32 vcc_lo, v1, v0
	s_cmpk_eq_i32 s9, 0x84
	s_cselect_b32 s9, -1, 0
	s_and_b32 s10, vcc_lo, s9
	s_and_saveexec_b32 s9, s10
; %bb.6:
	v_mov_b32_e32 v5, 1.0
	ds_write_b32 v4, v5
; %bb.7:
	s_or_b32 exec_lo, exec_lo, s9
	s_cmpk_lg_i32 s8, 0x79
	s_cbranch_scc0 .LBB144_9
; %bb.8:
	v_cmp_lt_u32_e32 vcc_lo, v0, v1
	s_and_b32 s8, vcc_lo, exec_lo
	s_cbranch_execz .LBB144_10
	s_branch .LBB144_11
.LBB144_9:
	s_mov_b32 s8, 0
.LBB144_10:
	v_cmp_gt_u32_e32 vcc_lo, v0, v1
	s_andn2_b32 s8, s8, exec_lo
	s_and_b32 s9, vcc_lo, exec_lo
	s_or_b32 s8, s8, s9
.LBB144_11:
	s_and_saveexec_b32 s9, s8
; %bb.12:
	v_mov_b32_e32 v0, 0
	ds_write_b32 v4, v0
; %bb.13:
	s_or_b32 exec_lo, exec_lo, s9
	s_waitcnt lgkmcnt(0)
	s_barrier
	buffer_gl0_inv
	s_and_saveexec_b32 s8, s0
	s_cbranch_execz .LBB144_15
; %bb.14:
	v_lshlrev_b32_e32 v0, 2, v3
	v_add_nc_u32_e32 v17, 0x400, v2
	v_add_nc_u32_e32 v20, 0xc00, v2
	s_load_dwordx2 s[4:5], s[4:5], 0x60
	ds_read2_b32 v[11:12], v2 offset1:32
	ds_read_b128 v[3:6], v0 offset:4096
	ds_read2_b32 v[13:14], v2 offset0:64 offset1:96
	ds_read2_b32 v[15:16], v2 offset0:128 offset1:160
	ds_read_b128 v[7:10], v0 offset:4112
	s_mul_i32 s0, s2, s6
	s_mul_hi_u32 s6, s2, s1
	s_waitcnt lgkmcnt(0)
	v_fma_f32 v19, v11, v3, 0
	s_lshl_b64 s[4:5], s[4:5], 2
	s_add_u32 s4, s18, s4
	v_fmac_f32_e32 v19, v12, v4
	ds_read2_b32 v[11:12], v2 offset0:192 offset1:224
	s_addc_u32 s5, s19, s5
	s_add_i32 s6, s6, s0
	s_mul_i32 s0, s2, s1
	v_fmac_f32_e32 v19, v13, v5
	v_fmac_f32_e32 v19, v14, v6
	ds_read_b128 v[3:6], v0 offset:4128
	ds_read2_b32 v[13:14], v17 offset1:32
	v_fmac_f32_e32 v19, v15, v7
	v_fmac_f32_e32 v19, v16, v8
	ds_read2_b32 v[15:16], v17 offset0:64 offset1:96
	s_waitcnt lgkmcnt(3)
	v_fmac_f32_e32 v19, v11, v9
	v_fmac_f32_e32 v19, v12, v10
	ds_read_b128 v[7:10], v0 offset:4144
	ds_read2_b32 v[11:12], v17 offset0:128 offset1:160
	s_waitcnt lgkmcnt(3)
	v_fmac_f32_e32 v19, v13, v3
	v_fmac_f32_e32 v19, v14, v4
	ds_read2_b32 v[13:14], v17 offset0:192 offset1:224
	v_add_nc_u32_e32 v17, 0x800, v2
	s_waitcnt lgkmcnt(3)
	v_fmac_f32_e32 v19, v15, v5
	v_fmac_f32_e32 v19, v16, v6
	ds_read2_b32 v[15:16], v17 offset1:32
	ds_read_b128 v[3:6], v0 offset:4160
	s_waitcnt lgkmcnt(3)
	v_fmac_f32_e32 v19, v11, v7
	v_fmac_f32_e32 v19, v12, v8
	ds_read2_b32 v[11:12], v17 offset0:64 offset1:96
	s_waitcnt lgkmcnt(3)
	v_fmac_f32_e32 v19, v13, v9
	v_fmac_f32_e32 v19, v14, v10
	ds_read2_b32 v[13:14], v17 offset0:128 offset1:160
	ds_read_b128 v[7:10], v0 offset:4176
	s_waitcnt lgkmcnt(3)
	v_fmac_f32_e32 v19, v15, v3
	v_fmac_f32_e32 v19, v16, v4
	ds_read2_b32 v[15:16], v17 offset0:192 offset1:224
	v_mad_u64_u32 v[17:18], null, s2, v1, 0
	s_waitcnt lgkmcnt(3)
	v_fmac_f32_e32 v19, v11, v5
	v_fmac_f32_e32 v19, v12, v6
	ds_read2_b32 v[11:12], v20 offset1:32
	ds_read_b128 v[3:6], v0 offset:4192
	s_waitcnt lgkmcnt(3)
	v_fmac_f32_e32 v19, v13, v7
	v_fmac_f32_e32 v19, v14, v8
	ds_read2_b32 v[13:14], v20 offset0:64 offset1:96
	s_waitcnt lgkmcnt(3)
	v_fmac_f32_e32 v19, v15, v9
	v_fmac_f32_e32 v19, v16, v10
	ds_read2_b32 v[15:16], v20 offset0:128 offset1:160
	ds_read_b128 v[7:10], v0 offset:4208
	v_mov_b32_e32 v0, v18
	s_waitcnt lgkmcnt(3)
	v_fmac_f32_e32 v19, v11, v3
	v_mad_u64_u32 v[0:1], null, s3, v1, v[0:1]
	s_mul_i32 s3, s3, s1
	v_fmac_f32_e32 v19, v12, v4
	ds_read2_b32 v[3:4], v20 offset0:192 offset1:224
	s_add_i32 s1, s6, s3
	s_lshl_b64 s[0:1], s[0:1], 2
	s_waitcnt lgkmcnt(3)
	v_fmac_f32_e32 v19, v13, v5
	v_mov_b32_e32 v18, v0
	s_add_u32 s0, s4, s0
	s_addc_u32 s1, s5, s1
	v_fmac_f32_e32 v19, v14, v6
	v_lshlrev_b64 v[0:1], 2, v[17:18]
	s_waitcnt lgkmcnt(1)
	v_fmac_f32_e32 v19, v15, v7
	v_add_co_u32 v0, vcc_lo, s0, v0
	v_add_co_ci_u32_e64 v1, null, s1, v1, vcc_lo
	v_fmac_f32_e32 v19, v16, v8
	v_add_co_u32 v0, vcc_lo, v0, v2
	v_add_co_ci_u32_e64 v1, null, 0, v1, vcc_lo
	s_waitcnt lgkmcnt(0)
	v_fmac_f32_e32 v19, v3, v9
	v_fmac_f32_e32 v19, v4, v10
	v_mul_f32_e32 v3, s7, v19
	flat_store_dword v[0:1], v3
.LBB144_15:
	s_endpgm
	.section	.rodata,"a",@progbits
	.p2align	6, 0x0
	.amdhsa_kernel _ZL23rocblas_trmm_lNx_kernelILi32EfPKfKS1_KPfEv13rocblas_fill_17rocblas_diagonal_iiT1_lPT2_llS9_llPT3_lli
		.amdhsa_group_segment_fixed_size 8192
		.amdhsa_private_segment_fixed_size 0
		.amdhsa_kernarg_size 108
		.amdhsa_user_sgpr_count 6
		.amdhsa_user_sgpr_private_segment_buffer 1
		.amdhsa_user_sgpr_dispatch_ptr 0
		.amdhsa_user_sgpr_queue_ptr 0
		.amdhsa_user_sgpr_kernarg_segment_ptr 1
		.amdhsa_user_sgpr_dispatch_id 0
		.amdhsa_user_sgpr_flat_scratch_init 0
		.amdhsa_user_sgpr_private_segment_size 0
		.amdhsa_wavefront_size32 1
		.amdhsa_uses_dynamic_stack 0
		.amdhsa_system_sgpr_private_segment_wavefront_offset 0
		.amdhsa_system_sgpr_workgroup_id_x 1
		.amdhsa_system_sgpr_workgroup_id_y 0
		.amdhsa_system_sgpr_workgroup_id_z 1
		.amdhsa_system_sgpr_workgroup_info 0
		.amdhsa_system_vgpr_workitem_id 1
		.amdhsa_next_free_vgpr 21
		.amdhsa_next_free_sgpr 28
		.amdhsa_reserve_vcc 1
		.amdhsa_reserve_flat_scratch 0
		.amdhsa_float_round_mode_32 0
		.amdhsa_float_round_mode_16_64 0
		.amdhsa_float_denorm_mode_32 3
		.amdhsa_float_denorm_mode_16_64 3
		.amdhsa_dx10_clamp 1
		.amdhsa_ieee_mode 1
		.amdhsa_fp16_overflow 0
		.amdhsa_workgroup_processor_mode 1
		.amdhsa_memory_ordered 1
		.amdhsa_forward_progress 1
		.amdhsa_shared_vgpr_count 0
		.amdhsa_exception_fp_ieee_invalid_op 0
		.amdhsa_exception_fp_denorm_src 0
		.amdhsa_exception_fp_ieee_div_zero 0
		.amdhsa_exception_fp_ieee_overflow 0
		.amdhsa_exception_fp_ieee_underflow 0
		.amdhsa_exception_fp_ieee_inexact 0
		.amdhsa_exception_int_div_zero 0
	.end_amdhsa_kernel
	.section	.text._ZL23rocblas_trmm_lNx_kernelILi32EfPKfKS1_KPfEv13rocblas_fill_17rocblas_diagonal_iiT1_lPT2_llS9_llPT3_lli,"axG",@progbits,_ZL23rocblas_trmm_lNx_kernelILi32EfPKfKS1_KPfEv13rocblas_fill_17rocblas_diagonal_iiT1_lPT2_llS9_llPT3_lli,comdat
.Lfunc_end144:
	.size	_ZL23rocblas_trmm_lNx_kernelILi32EfPKfKS1_KPfEv13rocblas_fill_17rocblas_diagonal_iiT1_lPT2_llS9_llPT3_lli, .Lfunc_end144-_ZL23rocblas_trmm_lNx_kernelILi32EfPKfKS1_KPfEv13rocblas_fill_17rocblas_diagonal_iiT1_lPT2_llS9_llPT3_lli
                                        ; -- End function
	.set _ZL23rocblas_trmm_lNx_kernelILi32EfPKfKS1_KPfEv13rocblas_fill_17rocblas_diagonal_iiT1_lPT2_llS9_llPT3_lli.num_vgpr, 21
	.set _ZL23rocblas_trmm_lNx_kernelILi32EfPKfKS1_KPfEv13rocblas_fill_17rocblas_diagonal_iiT1_lPT2_llS9_llPT3_lli.num_agpr, 0
	.set _ZL23rocblas_trmm_lNx_kernelILi32EfPKfKS1_KPfEv13rocblas_fill_17rocblas_diagonal_iiT1_lPT2_llS9_llPT3_lli.numbered_sgpr, 28
	.set _ZL23rocblas_trmm_lNx_kernelILi32EfPKfKS1_KPfEv13rocblas_fill_17rocblas_diagonal_iiT1_lPT2_llS9_llPT3_lli.num_named_barrier, 0
	.set _ZL23rocblas_trmm_lNx_kernelILi32EfPKfKS1_KPfEv13rocblas_fill_17rocblas_diagonal_iiT1_lPT2_llS9_llPT3_lli.private_seg_size, 0
	.set _ZL23rocblas_trmm_lNx_kernelILi32EfPKfKS1_KPfEv13rocblas_fill_17rocblas_diagonal_iiT1_lPT2_llS9_llPT3_lli.uses_vcc, 1
	.set _ZL23rocblas_trmm_lNx_kernelILi32EfPKfKS1_KPfEv13rocblas_fill_17rocblas_diagonal_iiT1_lPT2_llS9_llPT3_lli.uses_flat_scratch, 0
	.set _ZL23rocblas_trmm_lNx_kernelILi32EfPKfKS1_KPfEv13rocblas_fill_17rocblas_diagonal_iiT1_lPT2_llS9_llPT3_lli.has_dyn_sized_stack, 0
	.set _ZL23rocblas_trmm_lNx_kernelILi32EfPKfKS1_KPfEv13rocblas_fill_17rocblas_diagonal_iiT1_lPT2_llS9_llPT3_lli.has_recursion, 0
	.set _ZL23rocblas_trmm_lNx_kernelILi32EfPKfKS1_KPfEv13rocblas_fill_17rocblas_diagonal_iiT1_lPT2_llS9_llPT3_lli.has_indirect_call, 0
	.section	.AMDGPU.csdata,"",@progbits
; Kernel info:
; codeLenInByte = 1176
; TotalNumSgprs: 30
; NumVgprs: 21
; ScratchSize: 0
; MemoryBound: 0
; FloatMode: 240
; IeeeMode: 1
; LDSByteSize: 8192 bytes/workgroup (compile time only)
; SGPRBlocks: 0
; VGPRBlocks: 2
; NumSGPRsForWavesPerEU: 30
; NumVGPRsForWavesPerEU: 21
; Occupancy: 16
; WaveLimiterHint : 1
; COMPUTE_PGM_RSRC2:SCRATCH_EN: 0
; COMPUTE_PGM_RSRC2:USER_SGPR: 6
; COMPUTE_PGM_RSRC2:TRAP_HANDLER: 0
; COMPUTE_PGM_RSRC2:TGID_X_EN: 1
; COMPUTE_PGM_RSRC2:TGID_Y_EN: 0
; COMPUTE_PGM_RSRC2:TGID_Z_EN: 1
; COMPUTE_PGM_RSRC2:TIDIG_COMP_CNT: 1
	.section	.text._ZL23rocblas_trmm_lNx_kernelILi32EffKPKfKPfEv13rocblas_fill_17rocblas_diagonal_iiT1_lPT2_llS9_llPT3_lli,"axG",@progbits,_ZL23rocblas_trmm_lNx_kernelILi32EffKPKfKPfEv13rocblas_fill_17rocblas_diagonal_iiT1_lPT2_llS9_llPT3_lli,comdat
	.globl	_ZL23rocblas_trmm_lNx_kernelILi32EffKPKfKPfEv13rocblas_fill_17rocblas_diagonal_iiT1_lPT2_llS9_llPT3_lli ; -- Begin function _ZL23rocblas_trmm_lNx_kernelILi32EffKPKfKPfEv13rocblas_fill_17rocblas_diagonal_iiT1_lPT2_llS9_llPT3_lli
	.p2align	8
	.type	_ZL23rocblas_trmm_lNx_kernelILi32EffKPKfKPfEv13rocblas_fill_17rocblas_diagonal_iiT1_lPT2_llS9_llPT3_lli,@function
_ZL23rocblas_trmm_lNx_kernelILi32EffKPKfKPfEv13rocblas_fill_17rocblas_diagonal_iiT1_lPT2_llS9_llPT3_lli: ; @_ZL23rocblas_trmm_lNx_kernelILi32EffKPKfKPfEv13rocblas_fill_17rocblas_diagonal_iiT1_lPT2_llS9_llPT3_lli
; %bb.0:
	s_mov_b32 s0, s7
	s_load_dword s7, s[4:5], 0x10
	s_waitcnt lgkmcnt(0)
	v_cmp_eq_f32_e64 s1, s7, 0
	s_and_b32 vcc_lo, exec_lo, s1
	s_mov_b32 s1, 0
	s_cbranch_vccnz .LBB145_15
; %bb.1:
	s_clause 0x1
	s_load_dwordx16 s[8:23], s[4:5], 0x20
	s_load_dwordx4 s[24:27], s[4:5], 0x0
	s_lshl_b64 s[28:29], s[0:1], 3
	v_lshlrev_b32_e32 v3, 5, v1
	v_mov_b32_e32 v5, 0
	v_lshlrev_b32_e32 v2, 2, v0
	v_add_lshl_u32 v4, v3, v0, 2
	s_waitcnt lgkmcnt(0)
	s_add_u32 s0, s14, s28
	s_addc_u32 s1, s15, s29
	s_add_u32 s2, s20, s28
	s_addc_u32 s3, s21, s29
	s_load_dwordx2 s[14:15], s[0:1], 0x0
	s_load_dwordx2 s[2:3], s[2:3], 0x0
	v_cmp_gt_i32_e64 s0, s26, v1
	v_cmp_gt_i32_e32 vcc_lo, s26, v0
	ds_write2st64_b32 v4, v5, v5 offset1:16
	s_and_b32 s0, s0, vcc_lo
	s_and_saveexec_b32 s1, s0
	s_cbranch_execz .LBB145_3
; %bb.2:
	s_add_u32 s8, s8, s28
	s_addc_u32 s9, s9, s29
	v_mad_u64_u32 v[5:6], null, s10, v1, 0
	s_load_dwordx2 s[8:9], s[8:9], 0x0
	v_mad_u64_u32 v[6:7], null, s11, v1, v[6:7]
	s_lshl_b64 s[10:11], s[12:13], 2
	v_lshlrev_b64 v[5:6], 2, v[5:6]
	s_waitcnt lgkmcnt(0)
	s_add_u32 s0, s8, s10
	s_addc_u32 s8, s9, s11
	v_add_co_u32 v5, s0, s0, v5
	v_add_co_ci_u32_e64 v6, null, s8, v6, s0
	v_add_co_u32 v5, s0, v5, v2
	v_add_co_ci_u32_e64 v6, null, 0, v6, s0
	flat_load_dword v5, v[5:6]
	s_waitcnt vmcnt(0) lgkmcnt(0)
	ds_write_b32 v4, v5
.LBB145_3:
	s_or_b32 exec_lo, exec_lo, s1
	s_add_i32 s0, s27, -1
	s_ashr_i32 s1, s0, 31
	s_lshr_b32 s1, s1, 27
	s_add_i32 s0, s0, s1
	s_and_b32 s1, s0, 0xffffffe0
	s_ashr_i32 s0, s0, 5
	s_sub_i32 s1, s27, s1
	s_cmp_ge_i32 s6, s0
	s_cselect_b32 s0, s1, 32
	s_lshl_b32 s1, s6, 5
	v_cmp_gt_i32_e64 s0, s0, v1
	s_ashr_i32 s6, s1, 31
	s_and_b32 s0, vcc_lo, s0
	s_and_saveexec_b32 s8, s0
	s_cbranch_execz .LBB145_5
; %bb.4:
	v_mad_u64_u32 v[5:6], null, s16, v1, 0
	s_lshl_b64 s[10:11], s[18:19], 2
	s_mul_i32 s9, s16, s6
	s_mul_hi_u32 s12, s16, s1
	s_waitcnt lgkmcnt(0)
	s_add_u32 s14, s14, s10
	s_mul_i32 s13, s17, s1
	s_addc_u32 s15, s15, s11
	v_mad_u64_u32 v[6:7], null, s17, v1, v[6:7]
	s_add_i32 s9, s12, s9
	s_mul_i32 s10, s16, s1
	s_add_i32 s11, s9, s13
	s_lshl_b64 s[10:11], s[10:11], 2
	s_add_u32 s9, s14, s10
	v_lshlrev_b64 v[5:6], 2, v[5:6]
	s_addc_u32 s10, s15, s11
	v_add_co_u32 v5, vcc_lo, s9, v5
	v_add_co_ci_u32_e64 v6, null, s10, v6, vcc_lo
	v_add_co_u32 v5, vcc_lo, v5, v2
	v_add_co_ci_u32_e64 v6, null, 0, v6, vcc_lo
	flat_load_dword v5, v[5:6]
	v_add_nc_u32_e32 v6, 0x1000, v4
	s_waitcnt vmcnt(0) lgkmcnt(0)
	ds_write_b32 v6, v5
.LBB145_5:
	s_or_b32 exec_lo, exec_lo, s8
	v_cmp_eq_u32_e32 vcc_lo, v1, v0
	s_cmpk_eq_i32 s25, 0x84
	s_cselect_b32 s8, -1, 0
	s_and_b32 s9, vcc_lo, s8
	s_and_saveexec_b32 s8, s9
; %bb.6:
	v_mov_b32_e32 v5, 1.0
	ds_write_b32 v4, v5
; %bb.7:
	s_or_b32 exec_lo, exec_lo, s8
	s_cmpk_lg_i32 s24, 0x79
	s_cbranch_scc0 .LBB145_9
; %bb.8:
	v_cmp_lt_u32_e32 vcc_lo, v0, v1
	s_and_b32 s8, vcc_lo, exec_lo
	s_cbranch_execz .LBB145_10
	s_branch .LBB145_11
.LBB145_9:
	s_mov_b32 s8, 0
.LBB145_10:
	v_cmp_gt_u32_e32 vcc_lo, v0, v1
	s_andn2_b32 s8, s8, exec_lo
	s_and_b32 s9, vcc_lo, exec_lo
	s_or_b32 s8, s8, s9
.LBB145_11:
	s_and_saveexec_b32 s9, s8
; %bb.12:
	v_mov_b32_e32 v0, 0
	ds_write_b32 v4, v0
; %bb.13:
	s_or_b32 exec_lo, exec_lo, s9
	s_waitcnt lgkmcnt(0)
	s_barrier
	buffer_gl0_inv
	s_and_saveexec_b32 s8, s0
	s_cbranch_execz .LBB145_15
; %bb.14:
	v_lshlrev_b32_e32 v0, 2, v3
	v_add_nc_u32_e32 v17, 0x400, v2
	v_add_nc_u32_e32 v20, 0xc00, v2
	s_load_dwordx2 s[4:5], s[4:5], 0x60
	ds_read2_b32 v[11:12], v2 offset1:32
	ds_read_b128 v[3:6], v0 offset:4096
	ds_read2_b32 v[13:14], v2 offset0:64 offset1:96
	ds_read2_b32 v[15:16], v2 offset0:128 offset1:160
	ds_read_b128 v[7:10], v0 offset:4112
	s_mul_i32 s0, s22, s6
	s_mul_hi_u32 s6, s22, s1
	s_mul_i32 s8, s23, s1
	s_waitcnt lgkmcnt(0)
	v_fma_f32 v19, v11, v3, 0
	s_lshl_b64 s[4:5], s[4:5], 2
	s_add_u32 s2, s2, s4
	v_fmac_f32_e32 v19, v12, v4
	ds_read2_b32 v[11:12], v2 offset0:192 offset1:224
	s_addc_u32 s3, s3, s5
	s_add_i32 s4, s6, s0
	s_mul_i32 s0, s22, s1
	v_fmac_f32_e32 v19, v13, v5
	s_add_i32 s1, s4, s8
	s_lshl_b64 s[0:1], s[0:1], 2
	s_add_u32 s0, s2, s0
	v_fmac_f32_e32 v19, v14, v6
	ds_read_b128 v[3:6], v0 offset:4128
	ds_read2_b32 v[13:14], v17 offset1:32
	s_addc_u32 s1, s3, s1
	v_fmac_f32_e32 v19, v15, v7
	v_fmac_f32_e32 v19, v16, v8
	ds_read2_b32 v[15:16], v17 offset0:64 offset1:96
	s_waitcnt lgkmcnt(3)
	v_fmac_f32_e32 v19, v11, v9
	v_fmac_f32_e32 v19, v12, v10
	ds_read_b128 v[7:10], v0 offset:4144
	ds_read2_b32 v[11:12], v17 offset0:128 offset1:160
	s_waitcnt lgkmcnt(3)
	v_fmac_f32_e32 v19, v13, v3
	v_fmac_f32_e32 v19, v14, v4
	ds_read2_b32 v[13:14], v17 offset0:192 offset1:224
	v_add_nc_u32_e32 v17, 0x800, v2
	s_waitcnt lgkmcnt(3)
	v_fmac_f32_e32 v19, v15, v5
	v_fmac_f32_e32 v19, v16, v6
	ds_read2_b32 v[15:16], v17 offset1:32
	ds_read_b128 v[3:6], v0 offset:4160
	s_waitcnt lgkmcnt(3)
	v_fmac_f32_e32 v19, v11, v7
	v_fmac_f32_e32 v19, v12, v8
	ds_read2_b32 v[11:12], v17 offset0:64 offset1:96
	s_waitcnt lgkmcnt(3)
	v_fmac_f32_e32 v19, v13, v9
	v_fmac_f32_e32 v19, v14, v10
	ds_read2_b32 v[13:14], v17 offset0:128 offset1:160
	ds_read_b128 v[7:10], v0 offset:4176
	s_waitcnt lgkmcnt(3)
	v_fmac_f32_e32 v19, v15, v3
	v_fmac_f32_e32 v19, v16, v4
	ds_read2_b32 v[15:16], v17 offset0:192 offset1:224
	v_mad_u64_u32 v[17:18], null, s22, v1, 0
	s_waitcnt lgkmcnt(3)
	v_fmac_f32_e32 v19, v11, v5
	v_fmac_f32_e32 v19, v12, v6
	ds_read2_b32 v[11:12], v20 offset1:32
	ds_read_b128 v[3:6], v0 offset:4192
	s_waitcnt lgkmcnt(3)
	v_fmac_f32_e32 v19, v13, v7
	v_fmac_f32_e32 v19, v14, v8
	ds_read2_b32 v[13:14], v20 offset0:64 offset1:96
	s_waitcnt lgkmcnt(3)
	v_fmac_f32_e32 v19, v15, v9
	v_fmac_f32_e32 v19, v16, v10
	ds_read2_b32 v[15:16], v20 offset0:128 offset1:160
	ds_read_b128 v[7:10], v0 offset:4208
	v_mov_b32_e32 v0, v18
	s_waitcnt lgkmcnt(3)
	v_fmac_f32_e32 v19, v11, v3
	v_mad_u64_u32 v[0:1], null, s23, v1, v[0:1]
	v_fmac_f32_e32 v19, v12, v4
	ds_read2_b32 v[3:4], v20 offset0:192 offset1:224
	v_mov_b32_e32 v18, v0
	s_waitcnt lgkmcnt(3)
	v_fmac_f32_e32 v19, v13, v5
	v_lshlrev_b64 v[0:1], 2, v[17:18]
	v_fmac_f32_e32 v19, v14, v6
	v_add_co_u32 v0, vcc_lo, s0, v0
	s_waitcnt lgkmcnt(1)
	v_fmac_f32_e32 v19, v15, v7
	v_add_co_ci_u32_e64 v1, null, s1, v1, vcc_lo
	v_add_co_u32 v0, vcc_lo, v0, v2
	v_fmac_f32_e32 v19, v16, v8
	v_add_co_ci_u32_e64 v1, null, 0, v1, vcc_lo
	s_waitcnt lgkmcnt(0)
	v_fmac_f32_e32 v19, v3, v9
	v_fmac_f32_e32 v19, v4, v10
	v_mul_f32_e32 v3, s7, v19
	flat_store_dword v[0:1], v3
.LBB145_15:
	s_endpgm
	.section	.rodata,"a",@progbits
	.p2align	6, 0x0
	.amdhsa_kernel _ZL23rocblas_trmm_lNx_kernelILi32EffKPKfKPfEv13rocblas_fill_17rocblas_diagonal_iiT1_lPT2_llS9_llPT3_lli
		.amdhsa_group_segment_fixed_size 8192
		.amdhsa_private_segment_fixed_size 0
		.amdhsa_kernarg_size 108
		.amdhsa_user_sgpr_count 6
		.amdhsa_user_sgpr_private_segment_buffer 1
		.amdhsa_user_sgpr_dispatch_ptr 0
		.amdhsa_user_sgpr_queue_ptr 0
		.amdhsa_user_sgpr_kernarg_segment_ptr 1
		.amdhsa_user_sgpr_dispatch_id 0
		.amdhsa_user_sgpr_flat_scratch_init 0
		.amdhsa_user_sgpr_private_segment_size 0
		.amdhsa_wavefront_size32 1
		.amdhsa_uses_dynamic_stack 0
		.amdhsa_system_sgpr_private_segment_wavefront_offset 0
		.amdhsa_system_sgpr_workgroup_id_x 1
		.amdhsa_system_sgpr_workgroup_id_y 0
		.amdhsa_system_sgpr_workgroup_id_z 1
		.amdhsa_system_sgpr_workgroup_info 0
		.amdhsa_system_vgpr_workitem_id 1
		.amdhsa_next_free_vgpr 21
		.amdhsa_next_free_sgpr 30
		.amdhsa_reserve_vcc 1
		.amdhsa_reserve_flat_scratch 0
		.amdhsa_float_round_mode_32 0
		.amdhsa_float_round_mode_16_64 0
		.amdhsa_float_denorm_mode_32 3
		.amdhsa_float_denorm_mode_16_64 3
		.amdhsa_dx10_clamp 1
		.amdhsa_ieee_mode 1
		.amdhsa_fp16_overflow 0
		.amdhsa_workgroup_processor_mode 1
		.amdhsa_memory_ordered 1
		.amdhsa_forward_progress 1
		.amdhsa_shared_vgpr_count 0
		.amdhsa_exception_fp_ieee_invalid_op 0
		.amdhsa_exception_fp_denorm_src 0
		.amdhsa_exception_fp_ieee_div_zero 0
		.amdhsa_exception_fp_ieee_overflow 0
		.amdhsa_exception_fp_ieee_underflow 0
		.amdhsa_exception_fp_ieee_inexact 0
		.amdhsa_exception_int_div_zero 0
	.end_amdhsa_kernel
	.section	.text._ZL23rocblas_trmm_lNx_kernelILi32EffKPKfKPfEv13rocblas_fill_17rocblas_diagonal_iiT1_lPT2_llS9_llPT3_lli,"axG",@progbits,_ZL23rocblas_trmm_lNx_kernelILi32EffKPKfKPfEv13rocblas_fill_17rocblas_diagonal_iiT1_lPT2_llS9_llPT3_lli,comdat
.Lfunc_end145:
	.size	_ZL23rocblas_trmm_lNx_kernelILi32EffKPKfKPfEv13rocblas_fill_17rocblas_diagonal_iiT1_lPT2_llS9_llPT3_lli, .Lfunc_end145-_ZL23rocblas_trmm_lNx_kernelILi32EffKPKfKPfEv13rocblas_fill_17rocblas_diagonal_iiT1_lPT2_llS9_llPT3_lli
                                        ; -- End function
	.set _ZL23rocblas_trmm_lNx_kernelILi32EffKPKfKPfEv13rocblas_fill_17rocblas_diagonal_iiT1_lPT2_llS9_llPT3_lli.num_vgpr, 21
	.set _ZL23rocblas_trmm_lNx_kernelILi32EffKPKfKPfEv13rocblas_fill_17rocblas_diagonal_iiT1_lPT2_llS9_llPT3_lli.num_agpr, 0
	.set _ZL23rocblas_trmm_lNx_kernelILi32EffKPKfKPfEv13rocblas_fill_17rocblas_diagonal_iiT1_lPT2_llS9_llPT3_lli.numbered_sgpr, 30
	.set _ZL23rocblas_trmm_lNx_kernelILi32EffKPKfKPfEv13rocblas_fill_17rocblas_diagonal_iiT1_lPT2_llS9_llPT3_lli.num_named_barrier, 0
	.set _ZL23rocblas_trmm_lNx_kernelILi32EffKPKfKPfEv13rocblas_fill_17rocblas_diagonal_iiT1_lPT2_llS9_llPT3_lli.private_seg_size, 0
	.set _ZL23rocblas_trmm_lNx_kernelILi32EffKPKfKPfEv13rocblas_fill_17rocblas_diagonal_iiT1_lPT2_llS9_llPT3_lli.uses_vcc, 1
	.set _ZL23rocblas_trmm_lNx_kernelILi32EffKPKfKPfEv13rocblas_fill_17rocblas_diagonal_iiT1_lPT2_llS9_llPT3_lli.uses_flat_scratch, 0
	.set _ZL23rocblas_trmm_lNx_kernelILi32EffKPKfKPfEv13rocblas_fill_17rocblas_diagonal_iiT1_lPT2_llS9_llPT3_lli.has_dyn_sized_stack, 0
	.set _ZL23rocblas_trmm_lNx_kernelILi32EffKPKfKPfEv13rocblas_fill_17rocblas_diagonal_iiT1_lPT2_llS9_llPT3_lli.has_recursion, 0
	.set _ZL23rocblas_trmm_lNx_kernelILi32EffKPKfKPfEv13rocblas_fill_17rocblas_diagonal_iiT1_lPT2_llS9_llPT3_lli.has_indirect_call, 0
	.section	.AMDGPU.csdata,"",@progbits
; Kernel info:
; codeLenInByte = 1136
; TotalNumSgprs: 32
; NumVgprs: 21
; ScratchSize: 0
; MemoryBound: 0
; FloatMode: 240
; IeeeMode: 1
; LDSByteSize: 8192 bytes/workgroup (compile time only)
; SGPRBlocks: 0
; VGPRBlocks: 2
; NumSGPRsForWavesPerEU: 32
; NumVGPRsForWavesPerEU: 21
; Occupancy: 16
; WaveLimiterHint : 1
; COMPUTE_PGM_RSRC2:SCRATCH_EN: 0
; COMPUTE_PGM_RSRC2:USER_SGPR: 6
; COMPUTE_PGM_RSRC2:TRAP_HANDLER: 0
; COMPUTE_PGM_RSRC2:TGID_X_EN: 1
; COMPUTE_PGM_RSRC2:TGID_Y_EN: 0
; COMPUTE_PGM_RSRC2:TGID_Z_EN: 1
; COMPUTE_PGM_RSRC2:TIDIG_COMP_CNT: 1
	.section	.text._ZL23rocblas_trmm_lTx_kernelILi32ELb0EfPKfKS1_KPfEv13rocblas_fill_17rocblas_diagonal_iiT2_lPT3_llS9_llPT4_lli,"axG",@progbits,_ZL23rocblas_trmm_lTx_kernelILi32ELb0EfPKfKS1_KPfEv13rocblas_fill_17rocblas_diagonal_iiT2_lPT3_llS9_llPT4_lli,comdat
	.globl	_ZL23rocblas_trmm_lTx_kernelILi32ELb0EfPKfKS1_KPfEv13rocblas_fill_17rocblas_diagonal_iiT2_lPT3_llS9_llPT4_lli ; -- Begin function _ZL23rocblas_trmm_lTx_kernelILi32ELb0EfPKfKS1_KPfEv13rocblas_fill_17rocblas_diagonal_iiT2_lPT3_llS9_llPT4_lli
	.p2align	8
	.type	_ZL23rocblas_trmm_lTx_kernelILi32ELb0EfPKfKS1_KPfEv13rocblas_fill_17rocblas_diagonal_iiT2_lPT3_llS9_llPT4_lli,@function
_ZL23rocblas_trmm_lTx_kernelILi32ELb0EfPKfKS1_KPfEv13rocblas_fill_17rocblas_diagonal_iiT2_lPT3_llS9_llPT4_lli: ; @_ZL23rocblas_trmm_lTx_kernelILi32ELb0EfPKfKS1_KPfEv13rocblas_fill_17rocblas_diagonal_iiT2_lPT3_llS9_llPT4_lli
; %bb.0:
	s_load_dwordx16 s[8:23], s[4:5], 0x10
	s_mov_b32 s24, s7
	s_mov_b32 s25, 0
	s_waitcnt lgkmcnt(0)
	s_mul_i32 s0, s11, s7
	s_mul_hi_u32 s1, s10, s7
	s_add_i32 s1, s1, s0
	s_mul_i32 s0, s10, s7
	s_lshl_b64 s[0:1], s[0:1], 2
	s_add_u32 s0, s8, s0
	s_addc_u32 s1, s9, s1
	s_load_dword s7, s[0:1], 0x0
	s_waitcnt lgkmcnt(0)
	v_cmp_eq_f32_e64 s0, s7, 0
	s_and_b32 vcc_lo, exec_lo, s0
	s_cbranch_vccnz .LBB146_15
; %bb.1:
	s_clause 0x1
	s_load_dwordx4 s[0:3], s[4:5], 0x50
	s_load_dwordx4 s[8:11], s[4:5], 0x0
	s_lshl_b64 s[26:27], s[24:25], 3
	v_lshlrev_b32_e32 v3, 5, v1
	s_add_u32 s12, s12, s26
	s_addc_u32 s13, s13, s27
	v_mov_b32_e32 v2, 0
	s_load_dwordx2 s[24:25], s[12:13], 0x0
	s_add_u32 s12, s18, s26
	s_addc_u32 s13, s19, s27
	v_add_lshl_u32 v4, v3, v0, 2
	s_waitcnt lgkmcnt(0)
	s_add_u32 s0, s0, s26
	s_addc_u32 s1, s1, s27
	s_load_dwordx2 s[18:19], s[12:13], 0x0
	s_load_dwordx2 s[12:13], s[0:1], 0x0
	v_cmp_gt_i32_e64 s0, s10, v1
	v_cmp_gt_i32_e32 vcc_lo, s10, v0
	ds_write2st64_b32 v4, v2, v2 offset1:16
	v_lshlrev_b32_e32 v2, 2, v0
	s_waitcnt lgkmcnt(0)
	s_barrier
	s_and_b32 s0, s0, vcc_lo
	buffer_gl0_inv
	s_and_saveexec_b32 s1, s0
	s_cbranch_execz .LBB146_3
; %bb.2:
	v_mad_u64_u32 v[5:6], null, s14, v1, 0
	v_mad_u64_u32 v[6:7], null, s15, v1, v[6:7]
	s_lshl_b64 s[14:15], s[16:17], 2
	s_add_u32 s0, s24, s14
	s_addc_u32 s10, s25, s15
	v_lshlrev_b64 v[5:6], 2, v[5:6]
	v_add_co_u32 v5, s0, s0, v5
	v_add_co_ci_u32_e64 v6, null, s10, v6, s0
	v_add_co_u32 v5, s0, v5, v2
	v_add_co_ci_u32_e64 v6, null, 0, v6, s0
	flat_load_dword v5, v[5:6]
	v_lshlrev_b32_e32 v6, 2, v1
	v_lshl_add_u32 v6, v0, 7, v6
	s_waitcnt vmcnt(0) lgkmcnt(0)
	ds_write_b32 v6, v5
.LBB146_3:
	s_or_b32 exec_lo, exec_lo, s1
	s_add_i32 s0, s11, -1
	s_ashr_i32 s1, s0, 31
	s_lshr_b32 s1, s1, 27
	s_add_i32 s0, s0, s1
	s_and_b32 s1, s0, 0xffffffe0
	s_ashr_i32 s0, s0, 5
	s_sub_i32 s1, s11, s1
	s_cmp_ge_i32 s6, s0
	s_cselect_b32 s0, s1, 32
	s_lshl_b32 s1, s6, 5
	v_cmp_gt_i32_e64 s0, s0, v1
	s_ashr_i32 s6, s1, 31
	s_and_b32 s0, vcc_lo, s0
	s_and_saveexec_b32 s10, s0
	s_cbranch_execz .LBB146_5
; %bb.4:
	v_mad_u64_u32 v[5:6], null, s20, v1, 0
	s_lshl_b64 s[14:15], s[22:23], 2
	s_mul_i32 s11, s20, s6
	s_mul_hi_u32 s16, s20, s1
	s_add_u32 s18, s18, s14
	s_mul_i32 s17, s21, s1
	s_addc_u32 s19, s19, s15
	v_mad_u64_u32 v[6:7], null, s21, v1, v[6:7]
	s_add_i32 s11, s16, s11
	s_mul_i32 s14, s20, s1
	s_add_i32 s15, s11, s17
	s_lshl_b64 s[14:15], s[14:15], 2
	s_add_u32 s11, s18, s14
	v_lshlrev_b64 v[5:6], 2, v[5:6]
	s_addc_u32 s14, s19, s15
	v_add_co_u32 v5, vcc_lo, s11, v5
	v_add_co_ci_u32_e64 v6, null, s14, v6, vcc_lo
	v_add_co_u32 v5, vcc_lo, v5, v2
	v_add_co_ci_u32_e64 v6, null, 0, v6, vcc_lo
	flat_load_dword v5, v[5:6]
	v_add_nc_u32_e32 v6, 0x1000, v4
	s_waitcnt vmcnt(0) lgkmcnt(0)
	ds_write_b32 v6, v5
.LBB146_5:
	s_or_b32 exec_lo, exec_lo, s10
	v_cmp_eq_u32_e32 vcc_lo, v1, v0
	s_cmpk_eq_i32 s9, 0x84
	s_cselect_b32 s9, -1, 0
	s_and_b32 s10, vcc_lo, s9
	s_and_saveexec_b32 s9, s10
; %bb.6:
	v_mov_b32_e32 v5, 1.0
	ds_write_b32 v4, v5
; %bb.7:
	s_or_b32 exec_lo, exec_lo, s9
	s_cmpk_lg_i32 s8, 0x7a
	s_waitcnt lgkmcnt(0)
	s_barrier
	buffer_gl0_inv
	s_cbranch_scc0 .LBB146_9
; %bb.8:
	v_cmp_lt_u32_e32 vcc_lo, v0, v1
	s_and_b32 s8, vcc_lo, exec_lo
	s_cbranch_execz .LBB146_10
	s_branch .LBB146_11
.LBB146_9:
	s_mov_b32 s8, 0
.LBB146_10:
	v_cmp_gt_u32_e32 vcc_lo, v0, v1
	s_andn2_b32 s8, s8, exec_lo
	s_and_b32 s9, vcc_lo, exec_lo
	s_or_b32 s8, s8, s9
.LBB146_11:
	s_and_saveexec_b32 s9, s8
; %bb.12:
	v_mov_b32_e32 v0, 0
	ds_write_b32 v4, v0
; %bb.13:
	s_or_b32 exec_lo, exec_lo, s9
	s_waitcnt lgkmcnt(0)
	s_barrier
	buffer_gl0_inv
	s_and_saveexec_b32 s8, s0
	s_cbranch_execz .LBB146_15
; %bb.14:
	v_lshlrev_b32_e32 v0, 2, v3
	v_add_nc_u32_e32 v17, 0x400, v2
	v_add_nc_u32_e32 v20, 0xc00, v2
	s_load_dwordx2 s[4:5], s[4:5], 0x60
	ds_read2_b32 v[11:12], v2 offset1:32
	ds_read_b128 v[3:6], v0 offset:4096
	ds_read2_b32 v[13:14], v2 offset0:64 offset1:96
	ds_read2_b32 v[15:16], v2 offset0:128 offset1:160
	ds_read_b128 v[7:10], v0 offset:4112
	s_mul_i32 s0, s2, s6
	s_mul_hi_u32 s6, s2, s1
	s_waitcnt lgkmcnt(0)
	v_fma_f32 v19, v11, v3, 0
	s_lshl_b64 s[4:5], s[4:5], 2
	s_add_u32 s4, s12, s4
	v_fmac_f32_e32 v19, v12, v4
	ds_read2_b32 v[11:12], v2 offset0:192 offset1:224
	s_addc_u32 s5, s13, s5
	s_add_i32 s6, s6, s0
	s_mul_i32 s0, s2, s1
	v_fmac_f32_e32 v19, v13, v5
	v_fmac_f32_e32 v19, v14, v6
	ds_read_b128 v[3:6], v0 offset:4128
	ds_read2_b32 v[13:14], v17 offset1:32
	v_fmac_f32_e32 v19, v15, v7
	v_fmac_f32_e32 v19, v16, v8
	ds_read2_b32 v[15:16], v17 offset0:64 offset1:96
	s_waitcnt lgkmcnt(3)
	v_fmac_f32_e32 v19, v11, v9
	v_fmac_f32_e32 v19, v12, v10
	ds_read_b128 v[7:10], v0 offset:4144
	ds_read2_b32 v[11:12], v17 offset0:128 offset1:160
	s_waitcnt lgkmcnt(3)
	v_fmac_f32_e32 v19, v13, v3
	v_fmac_f32_e32 v19, v14, v4
	ds_read2_b32 v[13:14], v17 offset0:192 offset1:224
	v_add_nc_u32_e32 v17, 0x800, v2
	s_waitcnt lgkmcnt(3)
	v_fmac_f32_e32 v19, v15, v5
	v_fmac_f32_e32 v19, v16, v6
	ds_read2_b32 v[15:16], v17 offset1:32
	ds_read_b128 v[3:6], v0 offset:4160
	s_waitcnt lgkmcnt(3)
	v_fmac_f32_e32 v19, v11, v7
	v_fmac_f32_e32 v19, v12, v8
	ds_read2_b32 v[11:12], v17 offset0:64 offset1:96
	s_waitcnt lgkmcnt(3)
	v_fmac_f32_e32 v19, v13, v9
	v_fmac_f32_e32 v19, v14, v10
	ds_read2_b32 v[13:14], v17 offset0:128 offset1:160
	ds_read_b128 v[7:10], v0 offset:4176
	s_waitcnt lgkmcnt(3)
	v_fmac_f32_e32 v19, v15, v3
	v_fmac_f32_e32 v19, v16, v4
	ds_read2_b32 v[15:16], v17 offset0:192 offset1:224
	v_mad_u64_u32 v[17:18], null, s2, v1, 0
	s_waitcnt lgkmcnt(3)
	v_fmac_f32_e32 v19, v11, v5
	v_fmac_f32_e32 v19, v12, v6
	ds_read2_b32 v[11:12], v20 offset1:32
	ds_read_b128 v[3:6], v0 offset:4192
	s_waitcnt lgkmcnt(3)
	v_fmac_f32_e32 v19, v13, v7
	v_fmac_f32_e32 v19, v14, v8
	ds_read2_b32 v[13:14], v20 offset0:64 offset1:96
	s_waitcnt lgkmcnt(3)
	v_fmac_f32_e32 v19, v15, v9
	v_fmac_f32_e32 v19, v16, v10
	ds_read2_b32 v[15:16], v20 offset0:128 offset1:160
	ds_read_b128 v[7:10], v0 offset:4208
	v_mov_b32_e32 v0, v18
	s_waitcnt lgkmcnt(3)
	v_fmac_f32_e32 v19, v11, v3
	v_mad_u64_u32 v[0:1], null, s3, v1, v[0:1]
	s_mul_i32 s3, s3, s1
	v_fmac_f32_e32 v19, v12, v4
	ds_read2_b32 v[3:4], v20 offset0:192 offset1:224
	s_add_i32 s1, s6, s3
	s_lshl_b64 s[0:1], s[0:1], 2
	s_waitcnt lgkmcnt(3)
	v_fmac_f32_e32 v19, v13, v5
	v_mov_b32_e32 v18, v0
	s_add_u32 s0, s4, s0
	s_addc_u32 s1, s5, s1
	v_fmac_f32_e32 v19, v14, v6
	v_lshlrev_b64 v[0:1], 2, v[17:18]
	s_waitcnt lgkmcnt(1)
	v_fmac_f32_e32 v19, v15, v7
	v_add_co_u32 v0, vcc_lo, s0, v0
	v_add_co_ci_u32_e64 v1, null, s1, v1, vcc_lo
	v_fmac_f32_e32 v19, v16, v8
	v_add_co_u32 v0, vcc_lo, v0, v2
	v_add_co_ci_u32_e64 v1, null, 0, v1, vcc_lo
	s_waitcnt lgkmcnt(0)
	v_fmac_f32_e32 v19, v3, v9
	v_fmac_f32_e32 v19, v4, v10
	v_mul_f32_e32 v3, s7, v19
	flat_store_dword v[0:1], v3
.LBB146_15:
	s_endpgm
	.section	.rodata,"a",@progbits
	.p2align	6, 0x0
	.amdhsa_kernel _ZL23rocblas_trmm_lTx_kernelILi32ELb0EfPKfKS1_KPfEv13rocblas_fill_17rocblas_diagonal_iiT2_lPT3_llS9_llPT4_lli
		.amdhsa_group_segment_fixed_size 8192
		.amdhsa_private_segment_fixed_size 0
		.amdhsa_kernarg_size 108
		.amdhsa_user_sgpr_count 6
		.amdhsa_user_sgpr_private_segment_buffer 1
		.amdhsa_user_sgpr_dispatch_ptr 0
		.amdhsa_user_sgpr_queue_ptr 0
		.amdhsa_user_sgpr_kernarg_segment_ptr 1
		.amdhsa_user_sgpr_dispatch_id 0
		.amdhsa_user_sgpr_flat_scratch_init 0
		.amdhsa_user_sgpr_private_segment_size 0
		.amdhsa_wavefront_size32 1
		.amdhsa_uses_dynamic_stack 0
		.amdhsa_system_sgpr_private_segment_wavefront_offset 0
		.amdhsa_system_sgpr_workgroup_id_x 1
		.amdhsa_system_sgpr_workgroup_id_y 0
		.amdhsa_system_sgpr_workgroup_id_z 1
		.amdhsa_system_sgpr_workgroup_info 0
		.amdhsa_system_vgpr_workitem_id 1
		.amdhsa_next_free_vgpr 21
		.amdhsa_next_free_sgpr 28
		.amdhsa_reserve_vcc 1
		.amdhsa_reserve_flat_scratch 0
		.amdhsa_float_round_mode_32 0
		.amdhsa_float_round_mode_16_64 0
		.amdhsa_float_denorm_mode_32 3
		.amdhsa_float_denorm_mode_16_64 3
		.amdhsa_dx10_clamp 1
		.amdhsa_ieee_mode 1
		.amdhsa_fp16_overflow 0
		.amdhsa_workgroup_processor_mode 1
		.amdhsa_memory_ordered 1
		.amdhsa_forward_progress 1
		.amdhsa_shared_vgpr_count 0
		.amdhsa_exception_fp_ieee_invalid_op 0
		.amdhsa_exception_fp_denorm_src 0
		.amdhsa_exception_fp_ieee_div_zero 0
		.amdhsa_exception_fp_ieee_overflow 0
		.amdhsa_exception_fp_ieee_underflow 0
		.amdhsa_exception_fp_ieee_inexact 0
		.amdhsa_exception_int_div_zero 0
	.end_amdhsa_kernel
	.section	.text._ZL23rocblas_trmm_lTx_kernelILi32ELb0EfPKfKS1_KPfEv13rocblas_fill_17rocblas_diagonal_iiT2_lPT3_llS9_llPT4_lli,"axG",@progbits,_ZL23rocblas_trmm_lTx_kernelILi32ELb0EfPKfKS1_KPfEv13rocblas_fill_17rocblas_diagonal_iiT2_lPT3_llS9_llPT4_lli,comdat
.Lfunc_end146:
	.size	_ZL23rocblas_trmm_lTx_kernelILi32ELb0EfPKfKS1_KPfEv13rocblas_fill_17rocblas_diagonal_iiT2_lPT3_llS9_llPT4_lli, .Lfunc_end146-_ZL23rocblas_trmm_lTx_kernelILi32ELb0EfPKfKS1_KPfEv13rocblas_fill_17rocblas_diagonal_iiT2_lPT3_llS9_llPT4_lli
                                        ; -- End function
	.set _ZL23rocblas_trmm_lTx_kernelILi32ELb0EfPKfKS1_KPfEv13rocblas_fill_17rocblas_diagonal_iiT2_lPT3_llS9_llPT4_lli.num_vgpr, 21
	.set _ZL23rocblas_trmm_lTx_kernelILi32ELb0EfPKfKS1_KPfEv13rocblas_fill_17rocblas_diagonal_iiT2_lPT3_llS9_llPT4_lli.num_agpr, 0
	.set _ZL23rocblas_trmm_lTx_kernelILi32ELb0EfPKfKS1_KPfEv13rocblas_fill_17rocblas_diagonal_iiT2_lPT3_llS9_llPT4_lli.numbered_sgpr, 28
	.set _ZL23rocblas_trmm_lTx_kernelILi32ELb0EfPKfKS1_KPfEv13rocblas_fill_17rocblas_diagonal_iiT2_lPT3_llS9_llPT4_lli.num_named_barrier, 0
	.set _ZL23rocblas_trmm_lTx_kernelILi32ELb0EfPKfKS1_KPfEv13rocblas_fill_17rocblas_diagonal_iiT2_lPT3_llS9_llPT4_lli.private_seg_size, 0
	.set _ZL23rocblas_trmm_lTx_kernelILi32ELb0EfPKfKS1_KPfEv13rocblas_fill_17rocblas_diagonal_iiT2_lPT3_llS9_llPT4_lli.uses_vcc, 1
	.set _ZL23rocblas_trmm_lTx_kernelILi32ELb0EfPKfKS1_KPfEv13rocblas_fill_17rocblas_diagonal_iiT2_lPT3_llS9_llPT4_lli.uses_flat_scratch, 0
	.set _ZL23rocblas_trmm_lTx_kernelILi32ELb0EfPKfKS1_KPfEv13rocblas_fill_17rocblas_diagonal_iiT2_lPT3_llS9_llPT4_lli.has_dyn_sized_stack, 0
	.set _ZL23rocblas_trmm_lTx_kernelILi32ELb0EfPKfKS1_KPfEv13rocblas_fill_17rocblas_diagonal_iiT2_lPT3_llS9_llPT4_lli.has_recursion, 0
	.set _ZL23rocblas_trmm_lTx_kernelILi32ELb0EfPKfKS1_KPfEv13rocblas_fill_17rocblas_diagonal_iiT2_lPT3_llS9_llPT4_lli.has_indirect_call, 0
	.section	.AMDGPU.csdata,"",@progbits
; Kernel info:
; codeLenInByte = 1212
; TotalNumSgprs: 30
; NumVgprs: 21
; ScratchSize: 0
; MemoryBound: 0
; FloatMode: 240
; IeeeMode: 1
; LDSByteSize: 8192 bytes/workgroup (compile time only)
; SGPRBlocks: 0
; VGPRBlocks: 2
; NumSGPRsForWavesPerEU: 30
; NumVGPRsForWavesPerEU: 21
; Occupancy: 16
; WaveLimiterHint : 1
; COMPUTE_PGM_RSRC2:SCRATCH_EN: 0
; COMPUTE_PGM_RSRC2:USER_SGPR: 6
; COMPUTE_PGM_RSRC2:TRAP_HANDLER: 0
; COMPUTE_PGM_RSRC2:TGID_X_EN: 1
; COMPUTE_PGM_RSRC2:TGID_Y_EN: 0
; COMPUTE_PGM_RSRC2:TGID_Z_EN: 1
; COMPUTE_PGM_RSRC2:TIDIG_COMP_CNT: 1
	.section	.text._ZL23rocblas_trmm_lTx_kernelILi32ELb0EffKPKfKPfEv13rocblas_fill_17rocblas_diagonal_iiT2_lPT3_llS9_llPT4_lli,"axG",@progbits,_ZL23rocblas_trmm_lTx_kernelILi32ELb0EffKPKfKPfEv13rocblas_fill_17rocblas_diagonal_iiT2_lPT3_llS9_llPT4_lli,comdat
	.globl	_ZL23rocblas_trmm_lTx_kernelILi32ELb0EffKPKfKPfEv13rocblas_fill_17rocblas_diagonal_iiT2_lPT3_llS9_llPT4_lli ; -- Begin function _ZL23rocblas_trmm_lTx_kernelILi32ELb0EffKPKfKPfEv13rocblas_fill_17rocblas_diagonal_iiT2_lPT3_llS9_llPT4_lli
	.p2align	8
	.type	_ZL23rocblas_trmm_lTx_kernelILi32ELb0EffKPKfKPfEv13rocblas_fill_17rocblas_diagonal_iiT2_lPT3_llS9_llPT4_lli,@function
_ZL23rocblas_trmm_lTx_kernelILi32ELb0EffKPKfKPfEv13rocblas_fill_17rocblas_diagonal_iiT2_lPT3_llS9_llPT4_lli: ; @_ZL23rocblas_trmm_lTx_kernelILi32ELb0EffKPKfKPfEv13rocblas_fill_17rocblas_diagonal_iiT2_lPT3_llS9_llPT4_lli
; %bb.0:
	s_mov_b32 s0, s7
	s_load_dword s7, s[4:5], 0x10
	s_waitcnt lgkmcnt(0)
	v_cmp_eq_f32_e64 s1, s7, 0
	s_and_b32 vcc_lo, exec_lo, s1
	s_mov_b32 s1, 0
	s_cbranch_vccnz .LBB147_15
; %bb.1:
	s_load_dwordx16 s[8:23], s[4:5], 0x20
	s_lshl_b64 s[0:1], s[0:1], 3
	s_load_dwordx4 s[24:27], s[4:5], 0x0
	v_lshlrev_b32_e32 v3, 5, v1
	v_mov_b32_e32 v2, 0
	v_add_lshl_u32 v4, v3, v0, 2
	s_waitcnt lgkmcnt(0)
	s_add_u32 s2, s8, s0
	s_addc_u32 s3, s9, s1
	s_add_u32 s8, s14, s0
	s_addc_u32 s9, s15, s1
	;; [unrolled: 2-line block ×3, first 2 shown]
	s_load_dwordx2 s[28:29], s[2:3], 0x0
	s_load_dwordx2 s[8:9], s[8:9], 0x0
	;; [unrolled: 1-line block ×3, first 2 shown]
	v_cmp_gt_i32_e64 s0, s26, v1
	v_cmp_gt_i32_e32 vcc_lo, s26, v0
	ds_write2st64_b32 v4, v2, v2 offset1:16
	v_lshlrev_b32_e32 v2, 2, v0
	s_waitcnt lgkmcnt(0)
	s_barrier
	s_and_b32 s0, s0, vcc_lo
	buffer_gl0_inv
	s_and_saveexec_b32 s1, s0
	s_cbranch_execz .LBB147_3
; %bb.2:
	v_mad_u64_u32 v[5:6], null, s10, v1, 0
	v_mad_u64_u32 v[6:7], null, s11, v1, v[6:7]
	s_lshl_b64 s[10:11], s[12:13], 2
	s_add_u32 s0, s28, s10
	s_addc_u32 s10, s29, s11
	v_lshlrev_b64 v[5:6], 2, v[5:6]
	v_add_co_u32 v5, s0, s0, v5
	v_add_co_ci_u32_e64 v6, null, s10, v6, s0
	v_add_co_u32 v5, s0, v5, v2
	v_add_co_ci_u32_e64 v6, null, 0, v6, s0
	flat_load_dword v5, v[5:6]
	v_lshlrev_b32_e32 v6, 2, v1
	v_lshl_add_u32 v6, v0, 7, v6
	s_waitcnt vmcnt(0) lgkmcnt(0)
	ds_write_b32 v6, v5
.LBB147_3:
	s_or_b32 exec_lo, exec_lo, s1
	s_add_i32 s0, s27, -1
	s_ashr_i32 s1, s0, 31
	s_lshr_b32 s1, s1, 27
	s_add_i32 s0, s0, s1
	s_and_b32 s1, s0, 0xffffffe0
	s_ashr_i32 s0, s0, 5
	s_sub_i32 s1, s27, s1
	s_cmp_ge_i32 s6, s0
	s_cselect_b32 s0, s1, 32
	s_lshl_b32 s1, s6, 5
	v_cmp_gt_i32_e64 s0, s0, v1
	s_ashr_i32 s6, s1, 31
	s_and_b32 s0, vcc_lo, s0
	s_and_saveexec_b32 s10, s0
	s_cbranch_execz .LBB147_5
; %bb.4:
	v_mad_u64_u32 v[5:6], null, s16, v1, 0
	s_lshl_b64 s[12:13], s[18:19], 2
	s_mul_i32 s11, s16, s6
	s_mul_hi_u32 s14, s16, s1
	s_add_u32 s12, s8, s12
	s_mul_i32 s15, s17, s1
	s_addc_u32 s13, s9, s13
	v_mad_u64_u32 v[6:7], null, s17, v1, v[6:7]
	s_add_i32 s9, s14, s11
	s_mul_i32 s8, s16, s1
	s_add_i32 s9, s9, s15
	s_lshl_b64 s[8:9], s[8:9], 2
	s_add_u32 s8, s12, s8
	v_lshlrev_b64 v[5:6], 2, v[5:6]
	s_addc_u32 s9, s13, s9
	v_add_co_u32 v5, vcc_lo, s8, v5
	v_add_co_ci_u32_e64 v6, null, s9, v6, vcc_lo
	v_add_co_u32 v5, vcc_lo, v5, v2
	v_add_co_ci_u32_e64 v6, null, 0, v6, vcc_lo
	flat_load_dword v5, v[5:6]
	v_add_nc_u32_e32 v6, 0x1000, v4
	s_waitcnt vmcnt(0) lgkmcnt(0)
	ds_write_b32 v6, v5
.LBB147_5:
	s_or_b32 exec_lo, exec_lo, s10
	v_cmp_eq_u32_e32 vcc_lo, v1, v0
	s_cmpk_eq_i32 s25, 0x84
	s_cselect_b32 s8, -1, 0
	s_and_b32 s9, vcc_lo, s8
	s_and_saveexec_b32 s8, s9
; %bb.6:
	v_mov_b32_e32 v5, 1.0
	ds_write_b32 v4, v5
; %bb.7:
	s_or_b32 exec_lo, exec_lo, s8
	s_cmpk_lg_i32 s24, 0x7a
	s_waitcnt lgkmcnt(0)
	s_barrier
	buffer_gl0_inv
	s_cbranch_scc0 .LBB147_9
; %bb.8:
	v_cmp_lt_u32_e32 vcc_lo, v0, v1
	s_and_b32 s8, vcc_lo, exec_lo
	s_cbranch_execz .LBB147_10
	s_branch .LBB147_11
.LBB147_9:
	s_mov_b32 s8, 0
.LBB147_10:
	v_cmp_gt_u32_e32 vcc_lo, v0, v1
	s_andn2_b32 s8, s8, exec_lo
	s_and_b32 s9, vcc_lo, exec_lo
	s_or_b32 s8, s8, s9
.LBB147_11:
	s_and_saveexec_b32 s9, s8
; %bb.12:
	v_mov_b32_e32 v0, 0
	ds_write_b32 v4, v0
; %bb.13:
	s_or_b32 exec_lo, exec_lo, s9
	s_waitcnt lgkmcnt(0)
	s_barrier
	buffer_gl0_inv
	s_and_saveexec_b32 s8, s0
	s_cbranch_execz .LBB147_15
; %bb.14:
	v_lshlrev_b32_e32 v0, 2, v3
	v_add_nc_u32_e32 v17, 0x400, v2
	v_add_nc_u32_e32 v20, 0xc00, v2
	s_load_dwordx2 s[4:5], s[4:5], 0x60
	ds_read2_b32 v[11:12], v2 offset1:32
	ds_read_b128 v[3:6], v0 offset:4096
	ds_read2_b32 v[13:14], v2 offset0:64 offset1:96
	ds_read2_b32 v[15:16], v2 offset0:128 offset1:160
	ds_read_b128 v[7:10], v0 offset:4112
	s_mul_i32 s0, s22, s6
	s_mul_hi_u32 s6, s22, s1
	s_mul_i32 s8, s23, s1
	s_waitcnt lgkmcnt(0)
	v_fma_f32 v19, v11, v3, 0
	s_lshl_b64 s[4:5], s[4:5], 2
	s_add_u32 s2, s2, s4
	v_fmac_f32_e32 v19, v12, v4
	ds_read2_b32 v[11:12], v2 offset0:192 offset1:224
	s_addc_u32 s3, s3, s5
	s_add_i32 s4, s6, s0
	s_mul_i32 s0, s22, s1
	v_fmac_f32_e32 v19, v13, v5
	s_add_i32 s1, s4, s8
	s_lshl_b64 s[0:1], s[0:1], 2
	s_add_u32 s0, s2, s0
	v_fmac_f32_e32 v19, v14, v6
	ds_read_b128 v[3:6], v0 offset:4128
	ds_read2_b32 v[13:14], v17 offset1:32
	s_addc_u32 s1, s3, s1
	v_fmac_f32_e32 v19, v15, v7
	v_fmac_f32_e32 v19, v16, v8
	ds_read2_b32 v[15:16], v17 offset0:64 offset1:96
	s_waitcnt lgkmcnt(3)
	v_fmac_f32_e32 v19, v11, v9
	v_fmac_f32_e32 v19, v12, v10
	ds_read_b128 v[7:10], v0 offset:4144
	ds_read2_b32 v[11:12], v17 offset0:128 offset1:160
	s_waitcnt lgkmcnt(3)
	v_fmac_f32_e32 v19, v13, v3
	v_fmac_f32_e32 v19, v14, v4
	ds_read2_b32 v[13:14], v17 offset0:192 offset1:224
	v_add_nc_u32_e32 v17, 0x800, v2
	s_waitcnt lgkmcnt(3)
	v_fmac_f32_e32 v19, v15, v5
	v_fmac_f32_e32 v19, v16, v6
	ds_read2_b32 v[15:16], v17 offset1:32
	ds_read_b128 v[3:6], v0 offset:4160
	s_waitcnt lgkmcnt(3)
	v_fmac_f32_e32 v19, v11, v7
	v_fmac_f32_e32 v19, v12, v8
	ds_read2_b32 v[11:12], v17 offset0:64 offset1:96
	s_waitcnt lgkmcnt(3)
	v_fmac_f32_e32 v19, v13, v9
	v_fmac_f32_e32 v19, v14, v10
	ds_read2_b32 v[13:14], v17 offset0:128 offset1:160
	ds_read_b128 v[7:10], v0 offset:4176
	s_waitcnt lgkmcnt(3)
	v_fmac_f32_e32 v19, v15, v3
	v_fmac_f32_e32 v19, v16, v4
	ds_read2_b32 v[15:16], v17 offset0:192 offset1:224
	v_mad_u64_u32 v[17:18], null, s22, v1, 0
	s_waitcnt lgkmcnt(3)
	v_fmac_f32_e32 v19, v11, v5
	v_fmac_f32_e32 v19, v12, v6
	ds_read2_b32 v[11:12], v20 offset1:32
	ds_read_b128 v[3:6], v0 offset:4192
	s_waitcnt lgkmcnt(3)
	v_fmac_f32_e32 v19, v13, v7
	v_fmac_f32_e32 v19, v14, v8
	ds_read2_b32 v[13:14], v20 offset0:64 offset1:96
	s_waitcnt lgkmcnt(3)
	v_fmac_f32_e32 v19, v15, v9
	v_fmac_f32_e32 v19, v16, v10
	ds_read2_b32 v[15:16], v20 offset0:128 offset1:160
	ds_read_b128 v[7:10], v0 offset:4208
	v_mov_b32_e32 v0, v18
	s_waitcnt lgkmcnt(3)
	v_fmac_f32_e32 v19, v11, v3
	v_mad_u64_u32 v[0:1], null, s23, v1, v[0:1]
	v_fmac_f32_e32 v19, v12, v4
	ds_read2_b32 v[3:4], v20 offset0:192 offset1:224
	v_mov_b32_e32 v18, v0
	s_waitcnt lgkmcnt(3)
	v_fmac_f32_e32 v19, v13, v5
	v_lshlrev_b64 v[0:1], 2, v[17:18]
	v_fmac_f32_e32 v19, v14, v6
	v_add_co_u32 v0, vcc_lo, s0, v0
	s_waitcnt lgkmcnt(1)
	v_fmac_f32_e32 v19, v15, v7
	v_add_co_ci_u32_e64 v1, null, s1, v1, vcc_lo
	v_add_co_u32 v0, vcc_lo, v0, v2
	v_fmac_f32_e32 v19, v16, v8
	v_add_co_ci_u32_e64 v1, null, 0, v1, vcc_lo
	s_waitcnt lgkmcnt(0)
	v_fmac_f32_e32 v19, v3, v9
	v_fmac_f32_e32 v19, v4, v10
	v_mul_f32_e32 v3, s7, v19
	flat_store_dword v[0:1], v3
.LBB147_15:
	s_endpgm
	.section	.rodata,"a",@progbits
	.p2align	6, 0x0
	.amdhsa_kernel _ZL23rocblas_trmm_lTx_kernelILi32ELb0EffKPKfKPfEv13rocblas_fill_17rocblas_diagonal_iiT2_lPT3_llS9_llPT4_lli
		.amdhsa_group_segment_fixed_size 8192
		.amdhsa_private_segment_fixed_size 0
		.amdhsa_kernarg_size 108
		.amdhsa_user_sgpr_count 6
		.amdhsa_user_sgpr_private_segment_buffer 1
		.amdhsa_user_sgpr_dispatch_ptr 0
		.amdhsa_user_sgpr_queue_ptr 0
		.amdhsa_user_sgpr_kernarg_segment_ptr 1
		.amdhsa_user_sgpr_dispatch_id 0
		.amdhsa_user_sgpr_flat_scratch_init 0
		.amdhsa_user_sgpr_private_segment_size 0
		.amdhsa_wavefront_size32 1
		.amdhsa_uses_dynamic_stack 0
		.amdhsa_system_sgpr_private_segment_wavefront_offset 0
		.amdhsa_system_sgpr_workgroup_id_x 1
		.amdhsa_system_sgpr_workgroup_id_y 0
		.amdhsa_system_sgpr_workgroup_id_z 1
		.amdhsa_system_sgpr_workgroup_info 0
		.amdhsa_system_vgpr_workitem_id 1
		.amdhsa_next_free_vgpr 21
		.amdhsa_next_free_sgpr 30
		.amdhsa_reserve_vcc 1
		.amdhsa_reserve_flat_scratch 0
		.amdhsa_float_round_mode_32 0
		.amdhsa_float_round_mode_16_64 0
		.amdhsa_float_denorm_mode_32 3
		.amdhsa_float_denorm_mode_16_64 3
		.amdhsa_dx10_clamp 1
		.amdhsa_ieee_mode 1
		.amdhsa_fp16_overflow 0
		.amdhsa_workgroup_processor_mode 1
		.amdhsa_memory_ordered 1
		.amdhsa_forward_progress 1
		.amdhsa_shared_vgpr_count 0
		.amdhsa_exception_fp_ieee_invalid_op 0
		.amdhsa_exception_fp_denorm_src 0
		.amdhsa_exception_fp_ieee_div_zero 0
		.amdhsa_exception_fp_ieee_overflow 0
		.amdhsa_exception_fp_ieee_underflow 0
		.amdhsa_exception_fp_ieee_inexact 0
		.amdhsa_exception_int_div_zero 0
	.end_amdhsa_kernel
	.section	.text._ZL23rocblas_trmm_lTx_kernelILi32ELb0EffKPKfKPfEv13rocblas_fill_17rocblas_diagonal_iiT2_lPT3_llS9_llPT4_lli,"axG",@progbits,_ZL23rocblas_trmm_lTx_kernelILi32ELb0EffKPKfKPfEv13rocblas_fill_17rocblas_diagonal_iiT2_lPT3_llS9_llPT4_lli,comdat
.Lfunc_end147:
	.size	_ZL23rocblas_trmm_lTx_kernelILi32ELb0EffKPKfKPfEv13rocblas_fill_17rocblas_diagonal_iiT2_lPT3_llS9_llPT4_lli, .Lfunc_end147-_ZL23rocblas_trmm_lTx_kernelILi32ELb0EffKPKfKPfEv13rocblas_fill_17rocblas_diagonal_iiT2_lPT3_llS9_llPT4_lli
                                        ; -- End function
	.set _ZL23rocblas_trmm_lTx_kernelILi32ELb0EffKPKfKPfEv13rocblas_fill_17rocblas_diagonal_iiT2_lPT3_llS9_llPT4_lli.num_vgpr, 21
	.set _ZL23rocblas_trmm_lTx_kernelILi32ELb0EffKPKfKPfEv13rocblas_fill_17rocblas_diagonal_iiT2_lPT3_llS9_llPT4_lli.num_agpr, 0
	.set _ZL23rocblas_trmm_lTx_kernelILi32ELb0EffKPKfKPfEv13rocblas_fill_17rocblas_diagonal_iiT2_lPT3_llS9_llPT4_lli.numbered_sgpr, 30
	.set _ZL23rocblas_trmm_lTx_kernelILi32ELb0EffKPKfKPfEv13rocblas_fill_17rocblas_diagonal_iiT2_lPT3_llS9_llPT4_lli.num_named_barrier, 0
	.set _ZL23rocblas_trmm_lTx_kernelILi32ELb0EffKPKfKPfEv13rocblas_fill_17rocblas_diagonal_iiT2_lPT3_llS9_llPT4_lli.private_seg_size, 0
	.set _ZL23rocblas_trmm_lTx_kernelILi32ELb0EffKPKfKPfEv13rocblas_fill_17rocblas_diagonal_iiT2_lPT3_llS9_llPT4_lli.uses_vcc, 1
	.set _ZL23rocblas_trmm_lTx_kernelILi32ELb0EffKPKfKPfEv13rocblas_fill_17rocblas_diagonal_iiT2_lPT3_llS9_llPT4_lli.uses_flat_scratch, 0
	.set _ZL23rocblas_trmm_lTx_kernelILi32ELb0EffKPKfKPfEv13rocblas_fill_17rocblas_diagonal_iiT2_lPT3_llS9_llPT4_lli.has_dyn_sized_stack, 0
	.set _ZL23rocblas_trmm_lTx_kernelILi32ELb0EffKPKfKPfEv13rocblas_fill_17rocblas_diagonal_iiT2_lPT3_llS9_llPT4_lli.has_recursion, 0
	.set _ZL23rocblas_trmm_lTx_kernelILi32ELb0EffKPKfKPfEv13rocblas_fill_17rocblas_diagonal_iiT2_lPT3_llS9_llPT4_lli.has_indirect_call, 0
	.section	.AMDGPU.csdata,"",@progbits
; Kernel info:
; codeLenInByte = 1168
; TotalNumSgprs: 32
; NumVgprs: 21
; ScratchSize: 0
; MemoryBound: 0
; FloatMode: 240
; IeeeMode: 1
; LDSByteSize: 8192 bytes/workgroup (compile time only)
; SGPRBlocks: 0
; VGPRBlocks: 2
; NumSGPRsForWavesPerEU: 32
; NumVGPRsForWavesPerEU: 21
; Occupancy: 16
; WaveLimiterHint : 1
; COMPUTE_PGM_RSRC2:SCRATCH_EN: 0
; COMPUTE_PGM_RSRC2:USER_SGPR: 6
; COMPUTE_PGM_RSRC2:TRAP_HANDLER: 0
; COMPUTE_PGM_RSRC2:TGID_X_EN: 1
; COMPUTE_PGM_RSRC2:TGID_Y_EN: 0
; COMPUTE_PGM_RSRC2:TGID_Z_EN: 1
; COMPUTE_PGM_RSRC2:TIDIG_COMP_CNT: 1
	.section	.text._ZL23rocblas_trmm_lTx_kernelILi32ELb1EfPKfKS1_KPfEv13rocblas_fill_17rocblas_diagonal_iiT2_lPT3_llS9_llPT4_lli,"axG",@progbits,_ZL23rocblas_trmm_lTx_kernelILi32ELb1EfPKfKS1_KPfEv13rocblas_fill_17rocblas_diagonal_iiT2_lPT3_llS9_llPT4_lli,comdat
	.globl	_ZL23rocblas_trmm_lTx_kernelILi32ELb1EfPKfKS1_KPfEv13rocblas_fill_17rocblas_diagonal_iiT2_lPT3_llS9_llPT4_lli ; -- Begin function _ZL23rocblas_trmm_lTx_kernelILi32ELb1EfPKfKS1_KPfEv13rocblas_fill_17rocblas_diagonal_iiT2_lPT3_llS9_llPT4_lli
	.p2align	8
	.type	_ZL23rocblas_trmm_lTx_kernelILi32ELb1EfPKfKS1_KPfEv13rocblas_fill_17rocblas_diagonal_iiT2_lPT3_llS9_llPT4_lli,@function
_ZL23rocblas_trmm_lTx_kernelILi32ELb1EfPKfKS1_KPfEv13rocblas_fill_17rocblas_diagonal_iiT2_lPT3_llS9_llPT4_lli: ; @_ZL23rocblas_trmm_lTx_kernelILi32ELb1EfPKfKS1_KPfEv13rocblas_fill_17rocblas_diagonal_iiT2_lPT3_llS9_llPT4_lli
; %bb.0:
	s_load_dwordx16 s[8:23], s[4:5], 0x10
	s_mov_b32 s24, s7
	s_mov_b32 s25, 0
	s_waitcnt lgkmcnt(0)
	s_mul_i32 s0, s11, s7
	s_mul_hi_u32 s1, s10, s7
	s_add_i32 s1, s1, s0
	s_mul_i32 s0, s10, s7
	s_lshl_b64 s[0:1], s[0:1], 2
	s_add_u32 s0, s8, s0
	s_addc_u32 s1, s9, s1
	s_load_dword s7, s[0:1], 0x0
	s_waitcnt lgkmcnt(0)
	v_cmp_eq_f32_e64 s0, s7, 0
	s_and_b32 vcc_lo, exec_lo, s0
	s_cbranch_vccnz .LBB148_15
; %bb.1:
	s_clause 0x1
	s_load_dwordx4 s[0:3], s[4:5], 0x50
	s_load_dwordx4 s[8:11], s[4:5], 0x0
	s_lshl_b64 s[26:27], s[24:25], 3
	v_lshlrev_b32_e32 v3, 5, v1
	s_add_u32 s12, s12, s26
	s_addc_u32 s13, s13, s27
	v_mov_b32_e32 v2, 0
	s_load_dwordx2 s[24:25], s[12:13], 0x0
	s_add_u32 s12, s18, s26
	s_addc_u32 s13, s19, s27
	v_add_lshl_u32 v4, v3, v0, 2
	s_waitcnt lgkmcnt(0)
	s_add_u32 s0, s0, s26
	s_addc_u32 s1, s1, s27
	s_load_dwordx2 s[18:19], s[12:13], 0x0
	s_load_dwordx2 s[12:13], s[0:1], 0x0
	v_cmp_gt_i32_e64 s0, s10, v1
	v_cmp_gt_i32_e32 vcc_lo, s10, v0
	ds_write2st64_b32 v4, v2, v2 offset1:16
	v_lshlrev_b32_e32 v2, 2, v0
	s_waitcnt lgkmcnt(0)
	s_barrier
	s_and_b32 s0, s0, vcc_lo
	buffer_gl0_inv
	s_and_saveexec_b32 s1, s0
	s_cbranch_execz .LBB148_3
; %bb.2:
	v_mad_u64_u32 v[5:6], null, s14, v1, 0
	v_mad_u64_u32 v[6:7], null, s15, v1, v[6:7]
	s_lshl_b64 s[14:15], s[16:17], 2
	s_add_u32 s0, s24, s14
	s_addc_u32 s10, s25, s15
	v_lshlrev_b64 v[5:6], 2, v[5:6]
	v_add_co_u32 v5, s0, s0, v5
	v_add_co_ci_u32_e64 v6, null, s10, v6, s0
	v_add_co_u32 v5, s0, v5, v2
	v_add_co_ci_u32_e64 v6, null, 0, v6, s0
	flat_load_dword v5, v[5:6]
	v_lshlrev_b32_e32 v6, 2, v1
	v_lshl_add_u32 v6, v0, 7, v6
	s_waitcnt vmcnt(0) lgkmcnt(0)
	ds_write_b32 v6, v5
.LBB148_3:
	s_or_b32 exec_lo, exec_lo, s1
	s_add_i32 s0, s11, -1
	s_ashr_i32 s1, s0, 31
	s_lshr_b32 s1, s1, 27
	s_add_i32 s0, s0, s1
	s_and_b32 s1, s0, 0xffffffe0
	s_ashr_i32 s0, s0, 5
	s_sub_i32 s1, s11, s1
	s_cmp_ge_i32 s6, s0
	s_cselect_b32 s0, s1, 32
	s_lshl_b32 s1, s6, 5
	v_cmp_gt_i32_e64 s0, s0, v1
	s_ashr_i32 s6, s1, 31
	s_and_b32 s0, vcc_lo, s0
	s_and_saveexec_b32 s10, s0
	s_cbranch_execz .LBB148_5
; %bb.4:
	v_mad_u64_u32 v[5:6], null, s20, v1, 0
	s_lshl_b64 s[14:15], s[22:23], 2
	s_mul_i32 s11, s20, s6
	s_mul_hi_u32 s16, s20, s1
	s_add_u32 s18, s18, s14
	s_mul_i32 s17, s21, s1
	s_addc_u32 s19, s19, s15
	v_mad_u64_u32 v[6:7], null, s21, v1, v[6:7]
	s_add_i32 s11, s16, s11
	s_mul_i32 s14, s20, s1
	s_add_i32 s15, s11, s17
	s_lshl_b64 s[14:15], s[14:15], 2
	s_add_u32 s11, s18, s14
	v_lshlrev_b64 v[5:6], 2, v[5:6]
	s_addc_u32 s14, s19, s15
	v_add_co_u32 v5, vcc_lo, s11, v5
	v_add_co_ci_u32_e64 v6, null, s14, v6, vcc_lo
	v_add_co_u32 v5, vcc_lo, v5, v2
	v_add_co_ci_u32_e64 v6, null, 0, v6, vcc_lo
	flat_load_dword v5, v[5:6]
	v_add_nc_u32_e32 v6, 0x1000, v4
	s_waitcnt vmcnt(0) lgkmcnt(0)
	ds_write_b32 v6, v5
.LBB148_5:
	s_or_b32 exec_lo, exec_lo, s10
	v_cmp_eq_u32_e32 vcc_lo, v1, v0
	s_cmpk_eq_i32 s9, 0x84
	s_cselect_b32 s9, -1, 0
	s_and_b32 s10, vcc_lo, s9
	s_and_saveexec_b32 s9, s10
; %bb.6:
	v_mov_b32_e32 v5, 1.0
	ds_write_b32 v4, v5
; %bb.7:
	s_or_b32 exec_lo, exec_lo, s9
	s_cmpk_lg_i32 s8, 0x7a
	s_waitcnt lgkmcnt(0)
	s_barrier
	buffer_gl0_inv
	s_cbranch_scc0 .LBB148_9
; %bb.8:
	v_cmp_lt_u32_e32 vcc_lo, v0, v1
	s_and_b32 s8, vcc_lo, exec_lo
	s_cbranch_execz .LBB148_10
	s_branch .LBB148_11
.LBB148_9:
	s_mov_b32 s8, 0
.LBB148_10:
	v_cmp_gt_u32_e32 vcc_lo, v0, v1
	s_andn2_b32 s8, s8, exec_lo
	s_and_b32 s9, vcc_lo, exec_lo
	s_or_b32 s8, s8, s9
.LBB148_11:
	s_and_saveexec_b32 s9, s8
; %bb.12:
	v_mov_b32_e32 v0, 0
	ds_write_b32 v4, v0
; %bb.13:
	s_or_b32 exec_lo, exec_lo, s9
	s_waitcnt lgkmcnt(0)
	s_barrier
	buffer_gl0_inv
	s_and_saveexec_b32 s8, s0
	s_cbranch_execz .LBB148_15
; %bb.14:
	v_lshlrev_b32_e32 v0, 2, v3
	v_add_nc_u32_e32 v17, 0x400, v2
	v_add_nc_u32_e32 v20, 0xc00, v2
	s_load_dwordx2 s[4:5], s[4:5], 0x60
	ds_read2_b32 v[11:12], v2 offset1:32
	ds_read_b128 v[3:6], v0 offset:4096
	ds_read2_b32 v[13:14], v2 offset0:64 offset1:96
	ds_read2_b32 v[15:16], v2 offset0:128 offset1:160
	ds_read_b128 v[7:10], v0 offset:4112
	s_mul_i32 s0, s2, s6
	s_mul_hi_u32 s6, s2, s1
	s_waitcnt lgkmcnt(0)
	v_fma_f32 v19, v11, v3, 0
	s_lshl_b64 s[4:5], s[4:5], 2
	s_add_u32 s4, s12, s4
	v_fmac_f32_e32 v19, v12, v4
	ds_read2_b32 v[11:12], v2 offset0:192 offset1:224
	s_addc_u32 s5, s13, s5
	s_add_i32 s6, s6, s0
	s_mul_i32 s0, s2, s1
	v_fmac_f32_e32 v19, v13, v5
	v_fmac_f32_e32 v19, v14, v6
	ds_read_b128 v[3:6], v0 offset:4128
	ds_read2_b32 v[13:14], v17 offset1:32
	v_fmac_f32_e32 v19, v15, v7
	v_fmac_f32_e32 v19, v16, v8
	ds_read2_b32 v[15:16], v17 offset0:64 offset1:96
	s_waitcnt lgkmcnt(3)
	v_fmac_f32_e32 v19, v11, v9
	v_fmac_f32_e32 v19, v12, v10
	ds_read_b128 v[7:10], v0 offset:4144
	ds_read2_b32 v[11:12], v17 offset0:128 offset1:160
	s_waitcnt lgkmcnt(3)
	v_fmac_f32_e32 v19, v13, v3
	v_fmac_f32_e32 v19, v14, v4
	ds_read2_b32 v[13:14], v17 offset0:192 offset1:224
	v_add_nc_u32_e32 v17, 0x800, v2
	s_waitcnt lgkmcnt(3)
	v_fmac_f32_e32 v19, v15, v5
	v_fmac_f32_e32 v19, v16, v6
	ds_read2_b32 v[15:16], v17 offset1:32
	ds_read_b128 v[3:6], v0 offset:4160
	s_waitcnt lgkmcnt(3)
	v_fmac_f32_e32 v19, v11, v7
	v_fmac_f32_e32 v19, v12, v8
	ds_read2_b32 v[11:12], v17 offset0:64 offset1:96
	s_waitcnt lgkmcnt(3)
	v_fmac_f32_e32 v19, v13, v9
	v_fmac_f32_e32 v19, v14, v10
	ds_read2_b32 v[13:14], v17 offset0:128 offset1:160
	ds_read_b128 v[7:10], v0 offset:4176
	s_waitcnt lgkmcnt(3)
	v_fmac_f32_e32 v19, v15, v3
	v_fmac_f32_e32 v19, v16, v4
	ds_read2_b32 v[15:16], v17 offset0:192 offset1:224
	v_mad_u64_u32 v[17:18], null, s2, v1, 0
	s_waitcnt lgkmcnt(3)
	v_fmac_f32_e32 v19, v11, v5
	v_fmac_f32_e32 v19, v12, v6
	ds_read2_b32 v[11:12], v20 offset1:32
	ds_read_b128 v[3:6], v0 offset:4192
	s_waitcnt lgkmcnt(3)
	v_fmac_f32_e32 v19, v13, v7
	v_fmac_f32_e32 v19, v14, v8
	ds_read2_b32 v[13:14], v20 offset0:64 offset1:96
	s_waitcnt lgkmcnt(3)
	v_fmac_f32_e32 v19, v15, v9
	v_fmac_f32_e32 v19, v16, v10
	ds_read2_b32 v[15:16], v20 offset0:128 offset1:160
	ds_read_b128 v[7:10], v0 offset:4208
	v_mov_b32_e32 v0, v18
	s_waitcnt lgkmcnt(3)
	v_fmac_f32_e32 v19, v11, v3
	v_mad_u64_u32 v[0:1], null, s3, v1, v[0:1]
	s_mul_i32 s3, s3, s1
	v_fmac_f32_e32 v19, v12, v4
	ds_read2_b32 v[3:4], v20 offset0:192 offset1:224
	s_add_i32 s1, s6, s3
	s_lshl_b64 s[0:1], s[0:1], 2
	s_waitcnt lgkmcnt(3)
	v_fmac_f32_e32 v19, v13, v5
	v_mov_b32_e32 v18, v0
	s_add_u32 s0, s4, s0
	s_addc_u32 s1, s5, s1
	v_fmac_f32_e32 v19, v14, v6
	v_lshlrev_b64 v[0:1], 2, v[17:18]
	s_waitcnt lgkmcnt(1)
	v_fmac_f32_e32 v19, v15, v7
	v_add_co_u32 v0, vcc_lo, s0, v0
	v_add_co_ci_u32_e64 v1, null, s1, v1, vcc_lo
	v_fmac_f32_e32 v19, v16, v8
	v_add_co_u32 v0, vcc_lo, v0, v2
	v_add_co_ci_u32_e64 v1, null, 0, v1, vcc_lo
	s_waitcnt lgkmcnt(0)
	v_fmac_f32_e32 v19, v3, v9
	v_fmac_f32_e32 v19, v4, v10
	v_mul_f32_e32 v3, s7, v19
	flat_store_dword v[0:1], v3
.LBB148_15:
	s_endpgm
	.section	.rodata,"a",@progbits
	.p2align	6, 0x0
	.amdhsa_kernel _ZL23rocblas_trmm_lTx_kernelILi32ELb1EfPKfKS1_KPfEv13rocblas_fill_17rocblas_diagonal_iiT2_lPT3_llS9_llPT4_lli
		.amdhsa_group_segment_fixed_size 8192
		.amdhsa_private_segment_fixed_size 0
		.amdhsa_kernarg_size 108
		.amdhsa_user_sgpr_count 6
		.amdhsa_user_sgpr_private_segment_buffer 1
		.amdhsa_user_sgpr_dispatch_ptr 0
		.amdhsa_user_sgpr_queue_ptr 0
		.amdhsa_user_sgpr_kernarg_segment_ptr 1
		.amdhsa_user_sgpr_dispatch_id 0
		.amdhsa_user_sgpr_flat_scratch_init 0
		.amdhsa_user_sgpr_private_segment_size 0
		.amdhsa_wavefront_size32 1
		.amdhsa_uses_dynamic_stack 0
		.amdhsa_system_sgpr_private_segment_wavefront_offset 0
		.amdhsa_system_sgpr_workgroup_id_x 1
		.amdhsa_system_sgpr_workgroup_id_y 0
		.amdhsa_system_sgpr_workgroup_id_z 1
		.amdhsa_system_sgpr_workgroup_info 0
		.amdhsa_system_vgpr_workitem_id 1
		.amdhsa_next_free_vgpr 21
		.amdhsa_next_free_sgpr 28
		.amdhsa_reserve_vcc 1
		.amdhsa_reserve_flat_scratch 0
		.amdhsa_float_round_mode_32 0
		.amdhsa_float_round_mode_16_64 0
		.amdhsa_float_denorm_mode_32 3
		.amdhsa_float_denorm_mode_16_64 3
		.amdhsa_dx10_clamp 1
		.amdhsa_ieee_mode 1
		.amdhsa_fp16_overflow 0
		.amdhsa_workgroup_processor_mode 1
		.amdhsa_memory_ordered 1
		.amdhsa_forward_progress 1
		.amdhsa_shared_vgpr_count 0
		.amdhsa_exception_fp_ieee_invalid_op 0
		.amdhsa_exception_fp_denorm_src 0
		.amdhsa_exception_fp_ieee_div_zero 0
		.amdhsa_exception_fp_ieee_overflow 0
		.amdhsa_exception_fp_ieee_underflow 0
		.amdhsa_exception_fp_ieee_inexact 0
		.amdhsa_exception_int_div_zero 0
	.end_amdhsa_kernel
	.section	.text._ZL23rocblas_trmm_lTx_kernelILi32ELb1EfPKfKS1_KPfEv13rocblas_fill_17rocblas_diagonal_iiT2_lPT3_llS9_llPT4_lli,"axG",@progbits,_ZL23rocblas_trmm_lTx_kernelILi32ELb1EfPKfKS1_KPfEv13rocblas_fill_17rocblas_diagonal_iiT2_lPT3_llS9_llPT4_lli,comdat
.Lfunc_end148:
	.size	_ZL23rocblas_trmm_lTx_kernelILi32ELb1EfPKfKS1_KPfEv13rocblas_fill_17rocblas_diagonal_iiT2_lPT3_llS9_llPT4_lli, .Lfunc_end148-_ZL23rocblas_trmm_lTx_kernelILi32ELb1EfPKfKS1_KPfEv13rocblas_fill_17rocblas_diagonal_iiT2_lPT3_llS9_llPT4_lli
                                        ; -- End function
	.set _ZL23rocblas_trmm_lTx_kernelILi32ELb1EfPKfKS1_KPfEv13rocblas_fill_17rocblas_diagonal_iiT2_lPT3_llS9_llPT4_lli.num_vgpr, 21
	.set _ZL23rocblas_trmm_lTx_kernelILi32ELb1EfPKfKS1_KPfEv13rocblas_fill_17rocblas_diagonal_iiT2_lPT3_llS9_llPT4_lli.num_agpr, 0
	.set _ZL23rocblas_trmm_lTx_kernelILi32ELb1EfPKfKS1_KPfEv13rocblas_fill_17rocblas_diagonal_iiT2_lPT3_llS9_llPT4_lli.numbered_sgpr, 28
	.set _ZL23rocblas_trmm_lTx_kernelILi32ELb1EfPKfKS1_KPfEv13rocblas_fill_17rocblas_diagonal_iiT2_lPT3_llS9_llPT4_lli.num_named_barrier, 0
	.set _ZL23rocblas_trmm_lTx_kernelILi32ELb1EfPKfKS1_KPfEv13rocblas_fill_17rocblas_diagonal_iiT2_lPT3_llS9_llPT4_lli.private_seg_size, 0
	.set _ZL23rocblas_trmm_lTx_kernelILi32ELb1EfPKfKS1_KPfEv13rocblas_fill_17rocblas_diagonal_iiT2_lPT3_llS9_llPT4_lli.uses_vcc, 1
	.set _ZL23rocblas_trmm_lTx_kernelILi32ELb1EfPKfKS1_KPfEv13rocblas_fill_17rocblas_diagonal_iiT2_lPT3_llS9_llPT4_lli.uses_flat_scratch, 0
	.set _ZL23rocblas_trmm_lTx_kernelILi32ELb1EfPKfKS1_KPfEv13rocblas_fill_17rocblas_diagonal_iiT2_lPT3_llS9_llPT4_lli.has_dyn_sized_stack, 0
	.set _ZL23rocblas_trmm_lTx_kernelILi32ELb1EfPKfKS1_KPfEv13rocblas_fill_17rocblas_diagonal_iiT2_lPT3_llS9_llPT4_lli.has_recursion, 0
	.set _ZL23rocblas_trmm_lTx_kernelILi32ELb1EfPKfKS1_KPfEv13rocblas_fill_17rocblas_diagonal_iiT2_lPT3_llS9_llPT4_lli.has_indirect_call, 0
	.section	.AMDGPU.csdata,"",@progbits
; Kernel info:
; codeLenInByte = 1212
; TotalNumSgprs: 30
; NumVgprs: 21
; ScratchSize: 0
; MemoryBound: 0
; FloatMode: 240
; IeeeMode: 1
; LDSByteSize: 8192 bytes/workgroup (compile time only)
; SGPRBlocks: 0
; VGPRBlocks: 2
; NumSGPRsForWavesPerEU: 30
; NumVGPRsForWavesPerEU: 21
; Occupancy: 16
; WaveLimiterHint : 1
; COMPUTE_PGM_RSRC2:SCRATCH_EN: 0
; COMPUTE_PGM_RSRC2:USER_SGPR: 6
; COMPUTE_PGM_RSRC2:TRAP_HANDLER: 0
; COMPUTE_PGM_RSRC2:TGID_X_EN: 1
; COMPUTE_PGM_RSRC2:TGID_Y_EN: 0
; COMPUTE_PGM_RSRC2:TGID_Z_EN: 1
; COMPUTE_PGM_RSRC2:TIDIG_COMP_CNT: 1
	.section	.text._ZL23rocblas_trmm_lTx_kernelILi32ELb1EffKPKfKPfEv13rocblas_fill_17rocblas_diagonal_iiT2_lPT3_llS9_llPT4_lli,"axG",@progbits,_ZL23rocblas_trmm_lTx_kernelILi32ELb1EffKPKfKPfEv13rocblas_fill_17rocblas_diagonal_iiT2_lPT3_llS9_llPT4_lli,comdat
	.globl	_ZL23rocblas_trmm_lTx_kernelILi32ELb1EffKPKfKPfEv13rocblas_fill_17rocblas_diagonal_iiT2_lPT3_llS9_llPT4_lli ; -- Begin function _ZL23rocblas_trmm_lTx_kernelILi32ELb1EffKPKfKPfEv13rocblas_fill_17rocblas_diagonal_iiT2_lPT3_llS9_llPT4_lli
	.p2align	8
	.type	_ZL23rocblas_trmm_lTx_kernelILi32ELb1EffKPKfKPfEv13rocblas_fill_17rocblas_diagonal_iiT2_lPT3_llS9_llPT4_lli,@function
_ZL23rocblas_trmm_lTx_kernelILi32ELb1EffKPKfKPfEv13rocblas_fill_17rocblas_diagonal_iiT2_lPT3_llS9_llPT4_lli: ; @_ZL23rocblas_trmm_lTx_kernelILi32ELb1EffKPKfKPfEv13rocblas_fill_17rocblas_diagonal_iiT2_lPT3_llS9_llPT4_lli
; %bb.0:
	s_mov_b32 s0, s7
	s_load_dword s7, s[4:5], 0x10
	s_waitcnt lgkmcnt(0)
	v_cmp_eq_f32_e64 s1, s7, 0
	s_and_b32 vcc_lo, exec_lo, s1
	s_mov_b32 s1, 0
	s_cbranch_vccnz .LBB149_15
; %bb.1:
	s_load_dwordx16 s[8:23], s[4:5], 0x20
	s_lshl_b64 s[0:1], s[0:1], 3
	s_load_dwordx4 s[24:27], s[4:5], 0x0
	v_lshlrev_b32_e32 v3, 5, v1
	v_mov_b32_e32 v2, 0
	v_add_lshl_u32 v4, v3, v0, 2
	s_waitcnt lgkmcnt(0)
	s_add_u32 s2, s8, s0
	s_addc_u32 s3, s9, s1
	s_add_u32 s8, s14, s0
	s_addc_u32 s9, s15, s1
	;; [unrolled: 2-line block ×3, first 2 shown]
	s_load_dwordx2 s[28:29], s[2:3], 0x0
	s_load_dwordx2 s[8:9], s[8:9], 0x0
	;; [unrolled: 1-line block ×3, first 2 shown]
	v_cmp_gt_i32_e64 s0, s26, v1
	v_cmp_gt_i32_e32 vcc_lo, s26, v0
	ds_write2st64_b32 v4, v2, v2 offset1:16
	v_lshlrev_b32_e32 v2, 2, v0
	s_waitcnt lgkmcnt(0)
	s_barrier
	s_and_b32 s0, s0, vcc_lo
	buffer_gl0_inv
	s_and_saveexec_b32 s1, s0
	s_cbranch_execz .LBB149_3
; %bb.2:
	v_mad_u64_u32 v[5:6], null, s10, v1, 0
	v_mad_u64_u32 v[6:7], null, s11, v1, v[6:7]
	s_lshl_b64 s[10:11], s[12:13], 2
	s_add_u32 s0, s28, s10
	s_addc_u32 s10, s29, s11
	v_lshlrev_b64 v[5:6], 2, v[5:6]
	v_add_co_u32 v5, s0, s0, v5
	v_add_co_ci_u32_e64 v6, null, s10, v6, s0
	v_add_co_u32 v5, s0, v5, v2
	v_add_co_ci_u32_e64 v6, null, 0, v6, s0
	flat_load_dword v5, v[5:6]
	v_lshlrev_b32_e32 v6, 2, v1
	v_lshl_add_u32 v6, v0, 7, v6
	s_waitcnt vmcnt(0) lgkmcnt(0)
	ds_write_b32 v6, v5
.LBB149_3:
	s_or_b32 exec_lo, exec_lo, s1
	s_add_i32 s0, s27, -1
	s_ashr_i32 s1, s0, 31
	s_lshr_b32 s1, s1, 27
	s_add_i32 s0, s0, s1
	s_and_b32 s1, s0, 0xffffffe0
	s_ashr_i32 s0, s0, 5
	s_sub_i32 s1, s27, s1
	s_cmp_ge_i32 s6, s0
	s_cselect_b32 s0, s1, 32
	s_lshl_b32 s1, s6, 5
	v_cmp_gt_i32_e64 s0, s0, v1
	s_ashr_i32 s6, s1, 31
	s_and_b32 s0, vcc_lo, s0
	s_and_saveexec_b32 s10, s0
	s_cbranch_execz .LBB149_5
; %bb.4:
	v_mad_u64_u32 v[5:6], null, s16, v1, 0
	s_lshl_b64 s[12:13], s[18:19], 2
	s_mul_i32 s11, s16, s6
	s_mul_hi_u32 s14, s16, s1
	s_add_u32 s12, s8, s12
	s_mul_i32 s15, s17, s1
	s_addc_u32 s13, s9, s13
	v_mad_u64_u32 v[6:7], null, s17, v1, v[6:7]
	s_add_i32 s9, s14, s11
	s_mul_i32 s8, s16, s1
	s_add_i32 s9, s9, s15
	s_lshl_b64 s[8:9], s[8:9], 2
	s_add_u32 s8, s12, s8
	v_lshlrev_b64 v[5:6], 2, v[5:6]
	s_addc_u32 s9, s13, s9
	v_add_co_u32 v5, vcc_lo, s8, v5
	v_add_co_ci_u32_e64 v6, null, s9, v6, vcc_lo
	v_add_co_u32 v5, vcc_lo, v5, v2
	v_add_co_ci_u32_e64 v6, null, 0, v6, vcc_lo
	flat_load_dword v5, v[5:6]
	v_add_nc_u32_e32 v6, 0x1000, v4
	s_waitcnt vmcnt(0) lgkmcnt(0)
	ds_write_b32 v6, v5
.LBB149_5:
	s_or_b32 exec_lo, exec_lo, s10
	v_cmp_eq_u32_e32 vcc_lo, v1, v0
	s_cmpk_eq_i32 s25, 0x84
	s_cselect_b32 s8, -1, 0
	s_and_b32 s9, vcc_lo, s8
	s_and_saveexec_b32 s8, s9
; %bb.6:
	v_mov_b32_e32 v5, 1.0
	ds_write_b32 v4, v5
; %bb.7:
	s_or_b32 exec_lo, exec_lo, s8
	s_cmpk_lg_i32 s24, 0x7a
	s_waitcnt lgkmcnt(0)
	s_barrier
	buffer_gl0_inv
	s_cbranch_scc0 .LBB149_9
; %bb.8:
	v_cmp_lt_u32_e32 vcc_lo, v0, v1
	s_and_b32 s8, vcc_lo, exec_lo
	s_cbranch_execz .LBB149_10
	s_branch .LBB149_11
.LBB149_9:
	s_mov_b32 s8, 0
.LBB149_10:
	v_cmp_gt_u32_e32 vcc_lo, v0, v1
	s_andn2_b32 s8, s8, exec_lo
	s_and_b32 s9, vcc_lo, exec_lo
	s_or_b32 s8, s8, s9
.LBB149_11:
	s_and_saveexec_b32 s9, s8
; %bb.12:
	v_mov_b32_e32 v0, 0
	ds_write_b32 v4, v0
; %bb.13:
	s_or_b32 exec_lo, exec_lo, s9
	s_waitcnt lgkmcnt(0)
	s_barrier
	buffer_gl0_inv
	s_and_saveexec_b32 s8, s0
	s_cbranch_execz .LBB149_15
; %bb.14:
	v_lshlrev_b32_e32 v0, 2, v3
	v_add_nc_u32_e32 v17, 0x400, v2
	v_add_nc_u32_e32 v20, 0xc00, v2
	s_load_dwordx2 s[4:5], s[4:5], 0x60
	ds_read2_b32 v[11:12], v2 offset1:32
	ds_read_b128 v[3:6], v0 offset:4096
	ds_read2_b32 v[13:14], v2 offset0:64 offset1:96
	ds_read2_b32 v[15:16], v2 offset0:128 offset1:160
	ds_read_b128 v[7:10], v0 offset:4112
	s_mul_i32 s0, s22, s6
	s_mul_hi_u32 s6, s22, s1
	s_mul_i32 s8, s23, s1
	s_waitcnt lgkmcnt(0)
	v_fma_f32 v19, v11, v3, 0
	s_lshl_b64 s[4:5], s[4:5], 2
	s_add_u32 s2, s2, s4
	v_fmac_f32_e32 v19, v12, v4
	ds_read2_b32 v[11:12], v2 offset0:192 offset1:224
	s_addc_u32 s3, s3, s5
	s_add_i32 s4, s6, s0
	s_mul_i32 s0, s22, s1
	v_fmac_f32_e32 v19, v13, v5
	s_add_i32 s1, s4, s8
	s_lshl_b64 s[0:1], s[0:1], 2
	s_add_u32 s0, s2, s0
	v_fmac_f32_e32 v19, v14, v6
	ds_read_b128 v[3:6], v0 offset:4128
	ds_read2_b32 v[13:14], v17 offset1:32
	s_addc_u32 s1, s3, s1
	v_fmac_f32_e32 v19, v15, v7
	v_fmac_f32_e32 v19, v16, v8
	ds_read2_b32 v[15:16], v17 offset0:64 offset1:96
	s_waitcnt lgkmcnt(3)
	v_fmac_f32_e32 v19, v11, v9
	v_fmac_f32_e32 v19, v12, v10
	ds_read_b128 v[7:10], v0 offset:4144
	ds_read2_b32 v[11:12], v17 offset0:128 offset1:160
	s_waitcnt lgkmcnt(3)
	v_fmac_f32_e32 v19, v13, v3
	v_fmac_f32_e32 v19, v14, v4
	ds_read2_b32 v[13:14], v17 offset0:192 offset1:224
	v_add_nc_u32_e32 v17, 0x800, v2
	s_waitcnt lgkmcnt(3)
	v_fmac_f32_e32 v19, v15, v5
	v_fmac_f32_e32 v19, v16, v6
	ds_read2_b32 v[15:16], v17 offset1:32
	ds_read_b128 v[3:6], v0 offset:4160
	s_waitcnt lgkmcnt(3)
	v_fmac_f32_e32 v19, v11, v7
	v_fmac_f32_e32 v19, v12, v8
	ds_read2_b32 v[11:12], v17 offset0:64 offset1:96
	s_waitcnt lgkmcnt(3)
	v_fmac_f32_e32 v19, v13, v9
	v_fmac_f32_e32 v19, v14, v10
	ds_read2_b32 v[13:14], v17 offset0:128 offset1:160
	ds_read_b128 v[7:10], v0 offset:4176
	s_waitcnt lgkmcnt(3)
	v_fmac_f32_e32 v19, v15, v3
	v_fmac_f32_e32 v19, v16, v4
	ds_read2_b32 v[15:16], v17 offset0:192 offset1:224
	v_mad_u64_u32 v[17:18], null, s22, v1, 0
	s_waitcnt lgkmcnt(3)
	v_fmac_f32_e32 v19, v11, v5
	v_fmac_f32_e32 v19, v12, v6
	ds_read2_b32 v[11:12], v20 offset1:32
	ds_read_b128 v[3:6], v0 offset:4192
	s_waitcnt lgkmcnt(3)
	v_fmac_f32_e32 v19, v13, v7
	v_fmac_f32_e32 v19, v14, v8
	ds_read2_b32 v[13:14], v20 offset0:64 offset1:96
	s_waitcnt lgkmcnt(3)
	v_fmac_f32_e32 v19, v15, v9
	v_fmac_f32_e32 v19, v16, v10
	ds_read2_b32 v[15:16], v20 offset0:128 offset1:160
	ds_read_b128 v[7:10], v0 offset:4208
	v_mov_b32_e32 v0, v18
	s_waitcnt lgkmcnt(3)
	v_fmac_f32_e32 v19, v11, v3
	v_mad_u64_u32 v[0:1], null, s23, v1, v[0:1]
	v_fmac_f32_e32 v19, v12, v4
	ds_read2_b32 v[3:4], v20 offset0:192 offset1:224
	v_mov_b32_e32 v18, v0
	s_waitcnt lgkmcnt(3)
	v_fmac_f32_e32 v19, v13, v5
	v_lshlrev_b64 v[0:1], 2, v[17:18]
	v_fmac_f32_e32 v19, v14, v6
	v_add_co_u32 v0, vcc_lo, s0, v0
	s_waitcnt lgkmcnt(1)
	v_fmac_f32_e32 v19, v15, v7
	v_add_co_ci_u32_e64 v1, null, s1, v1, vcc_lo
	v_add_co_u32 v0, vcc_lo, v0, v2
	v_fmac_f32_e32 v19, v16, v8
	v_add_co_ci_u32_e64 v1, null, 0, v1, vcc_lo
	s_waitcnt lgkmcnt(0)
	v_fmac_f32_e32 v19, v3, v9
	v_fmac_f32_e32 v19, v4, v10
	v_mul_f32_e32 v3, s7, v19
	flat_store_dword v[0:1], v3
.LBB149_15:
	s_endpgm
	.section	.rodata,"a",@progbits
	.p2align	6, 0x0
	.amdhsa_kernel _ZL23rocblas_trmm_lTx_kernelILi32ELb1EffKPKfKPfEv13rocblas_fill_17rocblas_diagonal_iiT2_lPT3_llS9_llPT4_lli
		.amdhsa_group_segment_fixed_size 8192
		.amdhsa_private_segment_fixed_size 0
		.amdhsa_kernarg_size 108
		.amdhsa_user_sgpr_count 6
		.amdhsa_user_sgpr_private_segment_buffer 1
		.amdhsa_user_sgpr_dispatch_ptr 0
		.amdhsa_user_sgpr_queue_ptr 0
		.amdhsa_user_sgpr_kernarg_segment_ptr 1
		.amdhsa_user_sgpr_dispatch_id 0
		.amdhsa_user_sgpr_flat_scratch_init 0
		.amdhsa_user_sgpr_private_segment_size 0
		.amdhsa_wavefront_size32 1
		.amdhsa_uses_dynamic_stack 0
		.amdhsa_system_sgpr_private_segment_wavefront_offset 0
		.amdhsa_system_sgpr_workgroup_id_x 1
		.amdhsa_system_sgpr_workgroup_id_y 0
		.amdhsa_system_sgpr_workgroup_id_z 1
		.amdhsa_system_sgpr_workgroup_info 0
		.amdhsa_system_vgpr_workitem_id 1
		.amdhsa_next_free_vgpr 21
		.amdhsa_next_free_sgpr 30
		.amdhsa_reserve_vcc 1
		.amdhsa_reserve_flat_scratch 0
		.amdhsa_float_round_mode_32 0
		.amdhsa_float_round_mode_16_64 0
		.amdhsa_float_denorm_mode_32 3
		.amdhsa_float_denorm_mode_16_64 3
		.amdhsa_dx10_clamp 1
		.amdhsa_ieee_mode 1
		.amdhsa_fp16_overflow 0
		.amdhsa_workgroup_processor_mode 1
		.amdhsa_memory_ordered 1
		.amdhsa_forward_progress 1
		.amdhsa_shared_vgpr_count 0
		.amdhsa_exception_fp_ieee_invalid_op 0
		.amdhsa_exception_fp_denorm_src 0
		.amdhsa_exception_fp_ieee_div_zero 0
		.amdhsa_exception_fp_ieee_overflow 0
		.amdhsa_exception_fp_ieee_underflow 0
		.amdhsa_exception_fp_ieee_inexact 0
		.amdhsa_exception_int_div_zero 0
	.end_amdhsa_kernel
	.section	.text._ZL23rocblas_trmm_lTx_kernelILi32ELb1EffKPKfKPfEv13rocblas_fill_17rocblas_diagonal_iiT2_lPT3_llS9_llPT4_lli,"axG",@progbits,_ZL23rocblas_trmm_lTx_kernelILi32ELb1EffKPKfKPfEv13rocblas_fill_17rocblas_diagonal_iiT2_lPT3_llS9_llPT4_lli,comdat
.Lfunc_end149:
	.size	_ZL23rocblas_trmm_lTx_kernelILi32ELb1EffKPKfKPfEv13rocblas_fill_17rocblas_diagonal_iiT2_lPT3_llS9_llPT4_lli, .Lfunc_end149-_ZL23rocblas_trmm_lTx_kernelILi32ELb1EffKPKfKPfEv13rocblas_fill_17rocblas_diagonal_iiT2_lPT3_llS9_llPT4_lli
                                        ; -- End function
	.set _ZL23rocblas_trmm_lTx_kernelILi32ELb1EffKPKfKPfEv13rocblas_fill_17rocblas_diagonal_iiT2_lPT3_llS9_llPT4_lli.num_vgpr, 21
	.set _ZL23rocblas_trmm_lTx_kernelILi32ELb1EffKPKfKPfEv13rocblas_fill_17rocblas_diagonal_iiT2_lPT3_llS9_llPT4_lli.num_agpr, 0
	.set _ZL23rocblas_trmm_lTx_kernelILi32ELb1EffKPKfKPfEv13rocblas_fill_17rocblas_diagonal_iiT2_lPT3_llS9_llPT4_lli.numbered_sgpr, 30
	.set _ZL23rocblas_trmm_lTx_kernelILi32ELb1EffKPKfKPfEv13rocblas_fill_17rocblas_diagonal_iiT2_lPT3_llS9_llPT4_lli.num_named_barrier, 0
	.set _ZL23rocblas_trmm_lTx_kernelILi32ELb1EffKPKfKPfEv13rocblas_fill_17rocblas_diagonal_iiT2_lPT3_llS9_llPT4_lli.private_seg_size, 0
	.set _ZL23rocblas_trmm_lTx_kernelILi32ELb1EffKPKfKPfEv13rocblas_fill_17rocblas_diagonal_iiT2_lPT3_llS9_llPT4_lli.uses_vcc, 1
	.set _ZL23rocblas_trmm_lTx_kernelILi32ELb1EffKPKfKPfEv13rocblas_fill_17rocblas_diagonal_iiT2_lPT3_llS9_llPT4_lli.uses_flat_scratch, 0
	.set _ZL23rocblas_trmm_lTx_kernelILi32ELb1EffKPKfKPfEv13rocblas_fill_17rocblas_diagonal_iiT2_lPT3_llS9_llPT4_lli.has_dyn_sized_stack, 0
	.set _ZL23rocblas_trmm_lTx_kernelILi32ELb1EffKPKfKPfEv13rocblas_fill_17rocblas_diagonal_iiT2_lPT3_llS9_llPT4_lli.has_recursion, 0
	.set _ZL23rocblas_trmm_lTx_kernelILi32ELb1EffKPKfKPfEv13rocblas_fill_17rocblas_diagonal_iiT2_lPT3_llS9_llPT4_lli.has_indirect_call, 0
	.section	.AMDGPU.csdata,"",@progbits
; Kernel info:
; codeLenInByte = 1168
; TotalNumSgprs: 32
; NumVgprs: 21
; ScratchSize: 0
; MemoryBound: 0
; FloatMode: 240
; IeeeMode: 1
; LDSByteSize: 8192 bytes/workgroup (compile time only)
; SGPRBlocks: 0
; VGPRBlocks: 2
; NumSGPRsForWavesPerEU: 32
; NumVGPRsForWavesPerEU: 21
; Occupancy: 16
; WaveLimiterHint : 1
; COMPUTE_PGM_RSRC2:SCRATCH_EN: 0
; COMPUTE_PGM_RSRC2:USER_SGPR: 6
; COMPUTE_PGM_RSRC2:TRAP_HANDLER: 0
; COMPUTE_PGM_RSRC2:TGID_X_EN: 1
; COMPUTE_PGM_RSRC2:TGID_Y_EN: 0
; COMPUTE_PGM_RSRC2:TGID_Z_EN: 1
; COMPUTE_PGM_RSRC2:TIDIG_COMP_CNT: 1
	.section	.text._ZL23rocblas_trmm_rNx_kernelILi32EfPKfKS1_KPfEv13rocblas_fill_17rocblas_diagonal_iiT1_lPT2_llS9_llPT3_lli,"axG",@progbits,_ZL23rocblas_trmm_rNx_kernelILi32EfPKfKS1_KPfEv13rocblas_fill_17rocblas_diagonal_iiT1_lPT2_llS9_llPT3_lli,comdat
	.globl	_ZL23rocblas_trmm_rNx_kernelILi32EfPKfKS1_KPfEv13rocblas_fill_17rocblas_diagonal_iiT1_lPT2_llS9_llPT3_lli ; -- Begin function _ZL23rocblas_trmm_rNx_kernelILi32EfPKfKS1_KPfEv13rocblas_fill_17rocblas_diagonal_iiT1_lPT2_llS9_llPT3_lli
	.p2align	8
	.type	_ZL23rocblas_trmm_rNx_kernelILi32EfPKfKS1_KPfEv13rocblas_fill_17rocblas_diagonal_iiT1_lPT2_llS9_llPT3_lli,@function
_ZL23rocblas_trmm_rNx_kernelILi32EfPKfKS1_KPfEv13rocblas_fill_17rocblas_diagonal_iiT1_lPT2_llS9_llPT3_lli: ; @_ZL23rocblas_trmm_rNx_kernelILi32EfPKfKS1_KPfEv13rocblas_fill_17rocblas_diagonal_iiT1_lPT2_llS9_llPT3_lli
; %bb.0:
	s_load_dwordx16 s[8:23], s[4:5], 0x10
	s_mov_b32 s25, 0
	s_waitcnt lgkmcnt(0)
	s_mul_i32 s0, s11, s7
	s_mul_hi_u32 s1, s10, s7
	s_add_i32 s1, s1, s0
	s_mul_i32 s0, s10, s7
	s_lshl_b64 s[0:1], s[0:1], 2
	s_add_u32 s0, s8, s0
	s_addc_u32 s1, s9, s1
	s_load_dword s28, s[0:1], 0x0
	s_waitcnt lgkmcnt(0)
	v_cmp_eq_f32_e64 s0, s28, 0
	s_and_b32 vcc_lo, exec_lo, s0
	s_cbranch_vccnz .LBB150_15
; %bb.1:
	s_clause 0x1
	s_load_dwordx4 s[0:3], s[4:5], 0x50
	s_load_dwordx4 s[8:11], s[4:5], 0x0
	s_mov_b32 s24, s7
	v_lshlrev_b32_e32 v3, 5, v1
	s_lshl_b64 s[26:27], s[24:25], 3
	v_mov_b32_e32 v5, 0
	s_add_u32 s18, s18, s26
	s_addc_u32 s19, s19, s27
	v_add_lshl_u32 v4, v3, v0, 2
	v_lshlrev_b32_e32 v2, 2, v0
	s_waitcnt lgkmcnt(0)
	s_add_u32 s0, s0, s26
	s_addc_u32 s1, s1, s27
	s_load_dwordx2 s[24:25], s[18:19], 0x0
	s_load_dwordx2 s[18:19], s[0:1], 0x0
	v_cmp_gt_i32_e32 vcc_lo, s11, v1
	v_cmp_gt_i32_e64 s0, s11, v0
	ds_write2st64_b32 v4, v5, v5 offset1:16
	s_and_b32 s0, vcc_lo, s0
	s_and_saveexec_b32 s1, s0
	s_cbranch_execz .LBB150_3
; %bb.2:
	s_add_u32 s12, s12, s26
	s_addc_u32 s13, s13, s27
	v_mad_u64_u32 v[5:6], null, s14, v1, 0
	s_load_dwordx2 s[12:13], s[12:13], 0x0
	v_mad_u64_u32 v[6:7], null, s15, v1, v[6:7]
	s_lshl_b64 s[14:15], s[16:17], 2
	v_lshlrev_b64 v[5:6], 2, v[5:6]
	s_waitcnt lgkmcnt(0)
	s_add_u32 s0, s12, s14
	s_addc_u32 s7, s13, s15
	v_add_co_u32 v5, s0, s0, v5
	v_add_co_ci_u32_e64 v6, null, s7, v6, s0
	v_add_co_u32 v5, s0, v5, v2
	v_add_co_ci_u32_e64 v6, null, 0, v6, s0
	flat_load_dword v5, v[5:6]
	s_waitcnt vmcnt(0) lgkmcnt(0)
	ds_write_b32 v4, v5
.LBB150_3:
	s_or_b32 exec_lo, exec_lo, s1
	s_add_i32 s0, s10, -1
	s_ashr_i32 s1, s0, 31
	s_lshr_b32 s1, s1, 27
	s_add_i32 s0, s0, s1
	s_and_b32 s1, s0, 0xffffffe0
	s_ashr_i32 s0, s0, 5
	s_sub_i32 s1, s10, s1
	s_cmp_ge_i32 s6, s0
	s_cselect_b32 s0, s1, 32
	s_lshl_b32 s6, s6, 5
	v_cmp_gt_i32_e64 s0, s0, v0
	s_ashr_i32 s7, s6, 31
	s_and_b32 s0, vcc_lo, s0
	s_and_saveexec_b32 s1, s0
	s_cbranch_execz .LBB150_5
; %bb.4:
	v_mad_u64_u32 v[5:6], null, s20, v1, 0
	s_lshl_b64 s[10:11], s[22:23], 2
	s_waitcnt lgkmcnt(0)
	s_add_u32 s12, s24, s10
	s_addc_u32 s13, s25, s11
	s_lshl_b64 s[10:11], s[6:7], 2
	s_add_u32 s10, s12, s10
	v_mad_u64_u32 v[6:7], null, s21, v1, v[6:7]
	s_addc_u32 s11, s13, s11
	v_lshlrev_b64 v[5:6], 2, v[5:6]
	v_add_co_u32 v5, vcc_lo, s10, v5
	v_add_co_ci_u32_e64 v6, null, s11, v6, vcc_lo
	v_add_co_u32 v5, vcc_lo, v5, v2
	v_add_co_ci_u32_e64 v6, null, 0, v6, vcc_lo
	flat_load_dword v5, v[5:6]
	v_add_nc_u32_e32 v6, 0x1000, v4
	s_waitcnt vmcnt(0) lgkmcnt(0)
	ds_write_b32 v6, v5
.LBB150_5:
	s_or_b32 exec_lo, exec_lo, s1
	v_cmp_eq_u32_e32 vcc_lo, v1, v0
	s_cmpk_eq_i32 s9, 0x84
	s_cselect_b32 s1, -1, 0
	s_and_b32 s9, vcc_lo, s1
	s_and_saveexec_b32 s1, s9
; %bb.6:
	v_mov_b32_e32 v5, 1.0
	ds_write_b32 v4, v5
; %bb.7:
	s_or_b32 exec_lo, exec_lo, s1
	s_cmpk_lg_i32 s8, 0x79
	s_cbranch_scc0 .LBB150_9
; %bb.8:
	v_cmp_lt_u32_e32 vcc_lo, v0, v1
	s_and_b32 s1, vcc_lo, exec_lo
	s_cbranch_execz .LBB150_10
	s_branch .LBB150_11
.LBB150_9:
	s_mov_b32 s1, 0
.LBB150_10:
	v_cmp_gt_u32_e32 vcc_lo, v0, v1
	s_andn2_b32 s1, s1, exec_lo
	s_and_b32 s8, vcc_lo, exec_lo
	s_or_b32 s1, s1, s8
.LBB150_11:
	s_and_saveexec_b32 s8, s1
; %bb.12:
	v_mov_b32_e32 v0, 0
	ds_write_b32 v4, v0
; %bb.13:
	s_or_b32 exec_lo, exec_lo, s8
	s_waitcnt lgkmcnt(0)
	s_barrier
	buffer_gl0_inv
	s_and_saveexec_b32 s1, s0
	s_cbranch_execz .LBB150_15
; %bb.14:
	v_add_nc_u32_e32 v0, 0x1000, v2
	v_lshlrev_b32_e32 v17, 2, v3
	s_load_dwordx2 s[0:1], s[4:5], 0x60
	ds_read2_b32 v[11:12], v0 offset1:32
	ds_read_b128 v[3:6], v17
	ds_read2_b32 v[13:14], v0 offset0:64 offset1:96
	ds_read_b128 v[7:10], v17 offset:16
	ds_read2_b32 v[15:16], v0 offset0:128 offset1:160
	s_waitcnt lgkmcnt(0)
	s_lshl_b64 s[0:1], s[0:1], 2
	v_fma_f32 v19, v11, v3, 0
	v_fmac_f32_e32 v19, v12, v4
	ds_read2_b32 v[11:12], v0 offset0:192 offset1:224
	v_add_nc_u32_e32 v0, 0x1400, v2
	v_fmac_f32_e32 v19, v13, v5
	v_fmac_f32_e32 v19, v14, v6
	ds_read_b128 v[3:6], v17 offset:32
	ds_read2_b32 v[13:14], v0 offset1:32
	v_fmac_f32_e32 v19, v15, v7
	v_fmac_f32_e32 v19, v16, v8
	ds_read2_b32 v[15:16], v0 offset0:64 offset1:96
	s_waitcnt lgkmcnt(3)
	v_fmac_f32_e32 v19, v11, v9
	v_fmac_f32_e32 v19, v12, v10
	ds_read_b128 v[7:10], v17 offset:48
	ds_read2_b32 v[11:12], v0 offset0:128 offset1:160
	s_waitcnt lgkmcnt(3)
	v_fmac_f32_e32 v19, v13, v3
	v_fmac_f32_e32 v19, v14, v4
	ds_read2_b32 v[13:14], v0 offset0:192 offset1:224
	v_add_nc_u32_e32 v0, 0x1800, v2
	s_waitcnt lgkmcnt(3)
	v_fmac_f32_e32 v19, v15, v5
	v_fmac_f32_e32 v19, v16, v6
	ds_read2_b32 v[15:16], v0 offset1:32
	ds_read_b128 v[3:6], v17 offset:64
	s_waitcnt lgkmcnt(3)
	v_fmac_f32_e32 v19, v11, v7
	v_fmac_f32_e32 v19, v12, v8
	ds_read2_b32 v[11:12], v0 offset0:64 offset1:96
	s_waitcnt lgkmcnt(3)
	v_fmac_f32_e32 v19, v13, v9
	v_fmac_f32_e32 v19, v14, v10
	ds_read2_b32 v[13:14], v0 offset0:128 offset1:160
	ds_read_b128 v[7:10], v17 offset:80
	s_waitcnt lgkmcnt(3)
	v_fmac_f32_e32 v19, v15, v3
	v_fmac_f32_e32 v19, v16, v4
	ds_read2_b32 v[15:16], v0 offset0:192 offset1:224
	v_add_nc_u32_e32 v0, 0x1c00, v2
	s_waitcnt lgkmcnt(3)
	v_fmac_f32_e32 v19, v11, v5
	v_fmac_f32_e32 v19, v12, v6
	ds_read2_b32 v[11:12], v0 offset1:32
	ds_read_b128 v[3:6], v17 offset:96
	s_waitcnt lgkmcnt(3)
	v_fmac_f32_e32 v19, v13, v7
	v_fmac_f32_e32 v19, v14, v8
	ds_read2_b32 v[13:14], v0 offset0:64 offset1:96
	s_waitcnt lgkmcnt(3)
	v_fmac_f32_e32 v19, v15, v9
	v_fmac_f32_e32 v19, v16, v10
	ds_read2_b32 v[15:16], v0 offset0:128 offset1:160
	ds_read_b128 v[7:10], v17 offset:112
	v_mad_u64_u32 v[17:18], null, s2, v1, 0
	s_add_u32 s2, s18, s0
	s_waitcnt lgkmcnt(3)
	v_fmac_f32_e32 v19, v11, v3
	v_fmac_f32_e32 v19, v12, v4
	ds_read2_b32 v[3:4], v0 offset0:192 offset1:224
	v_mov_b32_e32 v0, v18
	s_waitcnt lgkmcnt(3)
	v_fmac_f32_e32 v19, v13, v5
	v_mad_u64_u32 v[0:1], null, s3, v1, v[0:1]
	s_addc_u32 s3, s19, s1
	v_fmac_f32_e32 v19, v14, v6
	s_lshl_b64 s[0:1], s[6:7], 2
	s_add_u32 s0, s2, s0
	s_addc_u32 s1, s3, s1
	s_waitcnt lgkmcnt(1)
	v_fmac_f32_e32 v19, v15, v7
	v_mov_b32_e32 v18, v0
	v_fmac_f32_e32 v19, v16, v8
	v_lshlrev_b64 v[0:1], 2, v[17:18]
	s_waitcnt lgkmcnt(0)
	v_fmac_f32_e32 v19, v3, v9
	v_add_co_u32 v0, vcc_lo, s0, v0
	v_add_co_ci_u32_e64 v1, null, s1, v1, vcc_lo
	v_fmac_f32_e32 v19, v4, v10
	v_add_co_u32 v0, vcc_lo, v0, v2
	v_add_co_ci_u32_e64 v1, null, 0, v1, vcc_lo
	v_mul_f32_e32 v3, s28, v19
	flat_store_dword v[0:1], v3
.LBB150_15:
	s_endpgm
	.section	.rodata,"a",@progbits
	.p2align	6, 0x0
	.amdhsa_kernel _ZL23rocblas_trmm_rNx_kernelILi32EfPKfKS1_KPfEv13rocblas_fill_17rocblas_diagonal_iiT1_lPT2_llS9_llPT3_lli
		.amdhsa_group_segment_fixed_size 8192
		.amdhsa_private_segment_fixed_size 0
		.amdhsa_kernarg_size 108
		.amdhsa_user_sgpr_count 6
		.amdhsa_user_sgpr_private_segment_buffer 1
		.amdhsa_user_sgpr_dispatch_ptr 0
		.amdhsa_user_sgpr_queue_ptr 0
		.amdhsa_user_sgpr_kernarg_segment_ptr 1
		.amdhsa_user_sgpr_dispatch_id 0
		.amdhsa_user_sgpr_flat_scratch_init 0
		.amdhsa_user_sgpr_private_segment_size 0
		.amdhsa_wavefront_size32 1
		.amdhsa_uses_dynamic_stack 0
		.amdhsa_system_sgpr_private_segment_wavefront_offset 0
		.amdhsa_system_sgpr_workgroup_id_x 1
		.amdhsa_system_sgpr_workgroup_id_y 0
		.amdhsa_system_sgpr_workgroup_id_z 1
		.amdhsa_system_sgpr_workgroup_info 0
		.amdhsa_system_vgpr_workitem_id 1
		.amdhsa_next_free_vgpr 20
		.amdhsa_next_free_sgpr 29
		.amdhsa_reserve_vcc 1
		.amdhsa_reserve_flat_scratch 0
		.amdhsa_float_round_mode_32 0
		.amdhsa_float_round_mode_16_64 0
		.amdhsa_float_denorm_mode_32 3
		.amdhsa_float_denorm_mode_16_64 3
		.amdhsa_dx10_clamp 1
		.amdhsa_ieee_mode 1
		.amdhsa_fp16_overflow 0
		.amdhsa_workgroup_processor_mode 1
		.amdhsa_memory_ordered 1
		.amdhsa_forward_progress 1
		.amdhsa_shared_vgpr_count 0
		.amdhsa_exception_fp_ieee_invalid_op 0
		.amdhsa_exception_fp_denorm_src 0
		.amdhsa_exception_fp_ieee_div_zero 0
		.amdhsa_exception_fp_ieee_overflow 0
		.amdhsa_exception_fp_ieee_underflow 0
		.amdhsa_exception_fp_ieee_inexact 0
		.amdhsa_exception_int_div_zero 0
	.end_amdhsa_kernel
	.section	.text._ZL23rocblas_trmm_rNx_kernelILi32EfPKfKS1_KPfEv13rocblas_fill_17rocblas_diagonal_iiT1_lPT2_llS9_llPT3_lli,"axG",@progbits,_ZL23rocblas_trmm_rNx_kernelILi32EfPKfKS1_KPfEv13rocblas_fill_17rocblas_diagonal_iiT1_lPT2_llS9_llPT3_lli,comdat
.Lfunc_end150:
	.size	_ZL23rocblas_trmm_rNx_kernelILi32EfPKfKS1_KPfEv13rocblas_fill_17rocblas_diagonal_iiT1_lPT2_llS9_llPT3_lli, .Lfunc_end150-_ZL23rocblas_trmm_rNx_kernelILi32EfPKfKS1_KPfEv13rocblas_fill_17rocblas_diagonal_iiT1_lPT2_llS9_llPT3_lli
                                        ; -- End function
	.set _ZL23rocblas_trmm_rNx_kernelILi32EfPKfKS1_KPfEv13rocblas_fill_17rocblas_diagonal_iiT1_lPT2_llS9_llPT3_lli.num_vgpr, 20
	.set _ZL23rocblas_trmm_rNx_kernelILi32EfPKfKS1_KPfEv13rocblas_fill_17rocblas_diagonal_iiT1_lPT2_llS9_llPT3_lli.num_agpr, 0
	.set _ZL23rocblas_trmm_rNx_kernelILi32EfPKfKS1_KPfEv13rocblas_fill_17rocblas_diagonal_iiT1_lPT2_llS9_llPT3_lli.numbered_sgpr, 29
	.set _ZL23rocblas_trmm_rNx_kernelILi32EfPKfKS1_KPfEv13rocblas_fill_17rocblas_diagonal_iiT1_lPT2_llS9_llPT3_lli.num_named_barrier, 0
	.set _ZL23rocblas_trmm_rNx_kernelILi32EfPKfKS1_KPfEv13rocblas_fill_17rocblas_diagonal_iiT1_lPT2_llS9_llPT3_lli.private_seg_size, 0
	.set _ZL23rocblas_trmm_rNx_kernelILi32EfPKfKS1_KPfEv13rocblas_fill_17rocblas_diagonal_iiT1_lPT2_llS9_llPT3_lli.uses_vcc, 1
	.set _ZL23rocblas_trmm_rNx_kernelILi32EfPKfKS1_KPfEv13rocblas_fill_17rocblas_diagonal_iiT1_lPT2_llS9_llPT3_lli.uses_flat_scratch, 0
	.set _ZL23rocblas_trmm_rNx_kernelILi32EfPKfKS1_KPfEv13rocblas_fill_17rocblas_diagonal_iiT1_lPT2_llS9_llPT3_lli.has_dyn_sized_stack, 0
	.set _ZL23rocblas_trmm_rNx_kernelILi32EfPKfKS1_KPfEv13rocblas_fill_17rocblas_diagonal_iiT1_lPT2_llS9_llPT3_lli.has_recursion, 0
	.set _ZL23rocblas_trmm_rNx_kernelILi32EfPKfKS1_KPfEv13rocblas_fill_17rocblas_diagonal_iiT1_lPT2_llS9_llPT3_lli.has_indirect_call, 0
	.section	.AMDGPU.csdata,"",@progbits
; Kernel info:
; codeLenInByte = 1136
; TotalNumSgprs: 31
; NumVgprs: 20
; ScratchSize: 0
; MemoryBound: 0
; FloatMode: 240
; IeeeMode: 1
; LDSByteSize: 8192 bytes/workgroup (compile time only)
; SGPRBlocks: 0
; VGPRBlocks: 2
; NumSGPRsForWavesPerEU: 31
; NumVGPRsForWavesPerEU: 20
; Occupancy: 16
; WaveLimiterHint : 1
; COMPUTE_PGM_RSRC2:SCRATCH_EN: 0
; COMPUTE_PGM_RSRC2:USER_SGPR: 6
; COMPUTE_PGM_RSRC2:TRAP_HANDLER: 0
; COMPUTE_PGM_RSRC2:TGID_X_EN: 1
; COMPUTE_PGM_RSRC2:TGID_Y_EN: 0
; COMPUTE_PGM_RSRC2:TGID_Z_EN: 1
; COMPUTE_PGM_RSRC2:TIDIG_COMP_CNT: 1
	.section	.text._ZL23rocblas_trmm_rNx_kernelILi32EffKPKfKPfEv13rocblas_fill_17rocblas_diagonal_iiT1_lPT2_llS9_llPT3_lli,"axG",@progbits,_ZL23rocblas_trmm_rNx_kernelILi32EffKPKfKPfEv13rocblas_fill_17rocblas_diagonal_iiT1_lPT2_llS9_llPT3_lli,comdat
	.globl	_ZL23rocblas_trmm_rNx_kernelILi32EffKPKfKPfEv13rocblas_fill_17rocblas_diagonal_iiT1_lPT2_llS9_llPT3_lli ; -- Begin function _ZL23rocblas_trmm_rNx_kernelILi32EffKPKfKPfEv13rocblas_fill_17rocblas_diagonal_iiT1_lPT2_llS9_llPT3_lli
	.p2align	8
	.type	_ZL23rocblas_trmm_rNx_kernelILi32EffKPKfKPfEv13rocblas_fill_17rocblas_diagonal_iiT1_lPT2_llS9_llPT3_lli,@function
_ZL23rocblas_trmm_rNx_kernelILi32EffKPKfKPfEv13rocblas_fill_17rocblas_diagonal_iiT1_lPT2_llS9_llPT3_lli: ; @_ZL23rocblas_trmm_rNx_kernelILi32EffKPKfKPfEv13rocblas_fill_17rocblas_diagonal_iiT1_lPT2_llS9_llPT3_lli
; %bb.0:
	s_load_dword s30, s[4:5], 0x10
	s_waitcnt lgkmcnt(0)
	v_cmp_eq_f32_e64 s1, s30, 0
	s_and_b32 vcc_lo, exec_lo, s1
	s_mov_b32 s1, 0
	s_cbranch_vccnz .LBB151_15
; %bb.1:
	s_clause 0x1
	s_load_dwordx16 s[8:23], s[4:5], 0x20
	s_load_dwordx4 s[24:27], s[4:5], 0x0
	s_mov_b32 s0, s7
	v_lshlrev_b32_e32 v3, 5, v1
	s_lshl_b64 s[28:29], s[0:1], 3
	v_mov_b32_e32 v5, 0
	v_lshlrev_b32_e32 v2, 2, v0
	v_add_lshl_u32 v4, v3, v0, 2
	s_waitcnt lgkmcnt(0)
	s_add_u32 s0, s14, s28
	s_addc_u32 s1, s15, s29
	s_add_u32 s2, s20, s28
	s_addc_u32 s3, s21, s29
	s_load_dwordx2 s[14:15], s[0:1], 0x0
	s_load_dwordx2 s[2:3], s[2:3], 0x0
	v_cmp_gt_i32_e32 vcc_lo, s27, v1
	v_cmp_gt_i32_e64 s0, s27, v0
	ds_write2st64_b32 v4, v5, v5 offset1:16
	s_and_b32 s0, vcc_lo, s0
	s_and_saveexec_b32 s1, s0
	s_cbranch_execz .LBB151_3
; %bb.2:
	s_add_u32 s8, s8, s28
	s_addc_u32 s9, s9, s29
	v_mad_u64_u32 v[5:6], null, s10, v1, 0
	s_load_dwordx2 s[8:9], s[8:9], 0x0
	v_mad_u64_u32 v[6:7], null, s11, v1, v[6:7]
	s_lshl_b64 s[10:11], s[12:13], 2
	v_lshlrev_b64 v[5:6], 2, v[5:6]
	s_waitcnt lgkmcnt(0)
	s_add_u32 s0, s8, s10
	s_addc_u32 s7, s9, s11
	v_add_co_u32 v5, s0, s0, v5
	v_add_co_ci_u32_e64 v6, null, s7, v6, s0
	v_add_co_u32 v5, s0, v5, v2
	v_add_co_ci_u32_e64 v6, null, 0, v6, s0
	flat_load_dword v5, v[5:6]
	s_waitcnt vmcnt(0) lgkmcnt(0)
	ds_write_b32 v4, v5
.LBB151_3:
	s_or_b32 exec_lo, exec_lo, s1
	s_add_i32 s0, s26, -1
	s_ashr_i32 s1, s0, 31
	s_lshr_b32 s1, s1, 27
	s_add_i32 s0, s0, s1
	s_and_b32 s1, s0, 0xffffffe0
	s_ashr_i32 s0, s0, 5
	s_sub_i32 s1, s26, s1
	s_cmp_ge_i32 s6, s0
	s_cselect_b32 s0, s1, 32
	s_lshl_b32 s6, s6, 5
	v_cmp_gt_i32_e64 s0, s0, v0
	s_ashr_i32 s7, s6, 31
	s_and_b32 s0, vcc_lo, s0
	s_and_saveexec_b32 s1, s0
	s_cbranch_execz .LBB151_5
; %bb.4:
	v_mad_u64_u32 v[5:6], null, s16, v1, 0
	s_lshl_b64 s[8:9], s[18:19], 2
	s_waitcnt lgkmcnt(0)
	s_add_u32 s10, s14, s8
	s_addc_u32 s11, s15, s9
	s_lshl_b64 s[8:9], s[6:7], 2
	s_add_u32 s8, s10, s8
	v_mad_u64_u32 v[6:7], null, s17, v1, v[6:7]
	s_addc_u32 s9, s11, s9
	v_lshlrev_b64 v[5:6], 2, v[5:6]
	v_add_co_u32 v5, vcc_lo, s8, v5
	v_add_co_ci_u32_e64 v6, null, s9, v6, vcc_lo
	v_add_co_u32 v5, vcc_lo, v5, v2
	v_add_co_ci_u32_e64 v6, null, 0, v6, vcc_lo
	flat_load_dword v5, v[5:6]
	v_add_nc_u32_e32 v6, 0x1000, v4
	s_waitcnt vmcnt(0) lgkmcnt(0)
	ds_write_b32 v6, v5
.LBB151_5:
	s_or_b32 exec_lo, exec_lo, s1
	v_cmp_eq_u32_e32 vcc_lo, v1, v0
	s_cmpk_eq_i32 s25, 0x84
	s_cselect_b32 s1, -1, 0
	s_and_b32 s8, vcc_lo, s1
	s_and_saveexec_b32 s1, s8
; %bb.6:
	v_mov_b32_e32 v5, 1.0
	ds_write_b32 v4, v5
; %bb.7:
	s_or_b32 exec_lo, exec_lo, s1
	s_cmpk_lg_i32 s24, 0x79
	s_cbranch_scc0 .LBB151_9
; %bb.8:
	v_cmp_lt_u32_e32 vcc_lo, v0, v1
	s_and_b32 s1, vcc_lo, exec_lo
	s_cbranch_execz .LBB151_10
	s_branch .LBB151_11
.LBB151_9:
	s_mov_b32 s1, 0
.LBB151_10:
	v_cmp_gt_u32_e32 vcc_lo, v0, v1
	s_andn2_b32 s1, s1, exec_lo
	s_and_b32 s8, vcc_lo, exec_lo
	s_or_b32 s1, s1, s8
.LBB151_11:
	s_and_saveexec_b32 s8, s1
; %bb.12:
	v_mov_b32_e32 v0, 0
	ds_write_b32 v4, v0
; %bb.13:
	s_or_b32 exec_lo, exec_lo, s8
	s_waitcnt lgkmcnt(0)
	s_barrier
	buffer_gl0_inv
	s_and_saveexec_b32 s1, s0
	s_cbranch_execz .LBB151_15
; %bb.14:
	v_add_nc_u32_e32 v0, 0x1000, v2
	v_lshlrev_b32_e32 v17, 2, v3
	s_load_dwordx2 s[0:1], s[4:5], 0x60
	ds_read2_b32 v[11:12], v0 offset1:32
	ds_read_b128 v[3:6], v17
	ds_read2_b32 v[13:14], v0 offset0:64 offset1:96
	ds_read_b128 v[7:10], v17 offset:16
	ds_read2_b32 v[15:16], v0 offset0:128 offset1:160
	s_waitcnt lgkmcnt(0)
	s_lshl_b64 s[0:1], s[0:1], 2
	v_fma_f32 v19, v11, v3, 0
	s_add_u32 s2, s2, s0
	s_addc_u32 s3, s3, s1
	s_lshl_b64 s[0:1], s[6:7], 2
	v_fmac_f32_e32 v19, v12, v4
	ds_read2_b32 v[11:12], v0 offset0:192 offset1:224
	v_add_nc_u32_e32 v0, 0x1400, v2
	s_add_u32 s0, s2, s0
	s_addc_u32 s1, s3, s1
	v_fmac_f32_e32 v19, v13, v5
	v_fmac_f32_e32 v19, v14, v6
	ds_read_b128 v[3:6], v17 offset:32
	ds_read2_b32 v[13:14], v0 offset1:32
	v_fmac_f32_e32 v19, v15, v7
	v_fmac_f32_e32 v19, v16, v8
	ds_read2_b32 v[15:16], v0 offset0:64 offset1:96
	s_waitcnt lgkmcnt(3)
	v_fmac_f32_e32 v19, v11, v9
	v_fmac_f32_e32 v19, v12, v10
	ds_read_b128 v[7:10], v17 offset:48
	ds_read2_b32 v[11:12], v0 offset0:128 offset1:160
	s_waitcnt lgkmcnt(3)
	v_fmac_f32_e32 v19, v13, v3
	v_fmac_f32_e32 v19, v14, v4
	ds_read2_b32 v[13:14], v0 offset0:192 offset1:224
	v_add_nc_u32_e32 v0, 0x1800, v2
	s_waitcnt lgkmcnt(3)
	v_fmac_f32_e32 v19, v15, v5
	v_fmac_f32_e32 v19, v16, v6
	ds_read2_b32 v[15:16], v0 offset1:32
	ds_read_b128 v[3:6], v17 offset:64
	s_waitcnt lgkmcnt(3)
	v_fmac_f32_e32 v19, v11, v7
	v_fmac_f32_e32 v19, v12, v8
	ds_read2_b32 v[11:12], v0 offset0:64 offset1:96
	s_waitcnt lgkmcnt(3)
	v_fmac_f32_e32 v19, v13, v9
	v_fmac_f32_e32 v19, v14, v10
	ds_read2_b32 v[13:14], v0 offset0:128 offset1:160
	ds_read_b128 v[7:10], v17 offset:80
	s_waitcnt lgkmcnt(3)
	v_fmac_f32_e32 v19, v15, v3
	v_fmac_f32_e32 v19, v16, v4
	ds_read2_b32 v[15:16], v0 offset0:192 offset1:224
	v_add_nc_u32_e32 v0, 0x1c00, v2
	s_waitcnt lgkmcnt(3)
	v_fmac_f32_e32 v19, v11, v5
	v_fmac_f32_e32 v19, v12, v6
	ds_read2_b32 v[11:12], v0 offset1:32
	ds_read_b128 v[3:6], v17 offset:96
	s_waitcnt lgkmcnt(3)
	v_fmac_f32_e32 v19, v13, v7
	v_fmac_f32_e32 v19, v14, v8
	ds_read2_b32 v[13:14], v0 offset0:64 offset1:96
	s_waitcnt lgkmcnt(3)
	v_fmac_f32_e32 v19, v15, v9
	v_fmac_f32_e32 v19, v16, v10
	ds_read2_b32 v[15:16], v0 offset0:128 offset1:160
	ds_read_b128 v[7:10], v17 offset:112
	v_mad_u64_u32 v[17:18], null, s22, v1, 0
	s_waitcnt lgkmcnt(3)
	v_fmac_f32_e32 v19, v11, v3
	v_fmac_f32_e32 v19, v12, v4
	ds_read2_b32 v[3:4], v0 offset0:192 offset1:224
	v_mov_b32_e32 v0, v18
	s_waitcnt lgkmcnt(3)
	v_fmac_f32_e32 v19, v13, v5
	v_mad_u64_u32 v[0:1], null, s23, v1, v[0:1]
	v_fmac_f32_e32 v19, v14, v6
	v_mov_b32_e32 v18, v0
	s_waitcnt lgkmcnt(1)
	v_fmac_f32_e32 v19, v15, v7
	v_lshlrev_b64 v[0:1], 2, v[17:18]
	v_fmac_f32_e32 v19, v16, v8
	v_add_co_u32 v0, vcc_lo, s0, v0
	s_waitcnt lgkmcnt(0)
	v_fmac_f32_e32 v19, v3, v9
	v_add_co_ci_u32_e64 v1, null, s1, v1, vcc_lo
	v_add_co_u32 v0, vcc_lo, v0, v2
	v_fmac_f32_e32 v19, v4, v10
	v_add_co_ci_u32_e64 v1, null, 0, v1, vcc_lo
	v_mul_f32_e32 v3, s30, v19
	flat_store_dword v[0:1], v3
.LBB151_15:
	s_endpgm
	.section	.rodata,"a",@progbits
	.p2align	6, 0x0
	.amdhsa_kernel _ZL23rocblas_trmm_rNx_kernelILi32EffKPKfKPfEv13rocblas_fill_17rocblas_diagonal_iiT1_lPT2_llS9_llPT3_lli
		.amdhsa_group_segment_fixed_size 8192
		.amdhsa_private_segment_fixed_size 0
		.amdhsa_kernarg_size 108
		.amdhsa_user_sgpr_count 6
		.amdhsa_user_sgpr_private_segment_buffer 1
		.amdhsa_user_sgpr_dispatch_ptr 0
		.amdhsa_user_sgpr_queue_ptr 0
		.amdhsa_user_sgpr_kernarg_segment_ptr 1
		.amdhsa_user_sgpr_dispatch_id 0
		.amdhsa_user_sgpr_flat_scratch_init 0
		.amdhsa_user_sgpr_private_segment_size 0
		.amdhsa_wavefront_size32 1
		.amdhsa_uses_dynamic_stack 0
		.amdhsa_system_sgpr_private_segment_wavefront_offset 0
		.amdhsa_system_sgpr_workgroup_id_x 1
		.amdhsa_system_sgpr_workgroup_id_y 0
		.amdhsa_system_sgpr_workgroup_id_z 1
		.amdhsa_system_sgpr_workgroup_info 0
		.amdhsa_system_vgpr_workitem_id 1
		.amdhsa_next_free_vgpr 20
		.amdhsa_next_free_sgpr 31
		.amdhsa_reserve_vcc 1
		.amdhsa_reserve_flat_scratch 0
		.amdhsa_float_round_mode_32 0
		.amdhsa_float_round_mode_16_64 0
		.amdhsa_float_denorm_mode_32 3
		.amdhsa_float_denorm_mode_16_64 3
		.amdhsa_dx10_clamp 1
		.amdhsa_ieee_mode 1
		.amdhsa_fp16_overflow 0
		.amdhsa_workgroup_processor_mode 1
		.amdhsa_memory_ordered 1
		.amdhsa_forward_progress 1
		.amdhsa_shared_vgpr_count 0
		.amdhsa_exception_fp_ieee_invalid_op 0
		.amdhsa_exception_fp_denorm_src 0
		.amdhsa_exception_fp_ieee_div_zero 0
		.amdhsa_exception_fp_ieee_overflow 0
		.amdhsa_exception_fp_ieee_underflow 0
		.amdhsa_exception_fp_ieee_inexact 0
		.amdhsa_exception_int_div_zero 0
	.end_amdhsa_kernel
	.section	.text._ZL23rocblas_trmm_rNx_kernelILi32EffKPKfKPfEv13rocblas_fill_17rocblas_diagonal_iiT1_lPT2_llS9_llPT3_lli,"axG",@progbits,_ZL23rocblas_trmm_rNx_kernelILi32EffKPKfKPfEv13rocblas_fill_17rocblas_diagonal_iiT1_lPT2_llS9_llPT3_lli,comdat
.Lfunc_end151:
	.size	_ZL23rocblas_trmm_rNx_kernelILi32EffKPKfKPfEv13rocblas_fill_17rocblas_diagonal_iiT1_lPT2_llS9_llPT3_lli, .Lfunc_end151-_ZL23rocblas_trmm_rNx_kernelILi32EffKPKfKPfEv13rocblas_fill_17rocblas_diagonal_iiT1_lPT2_llS9_llPT3_lli
                                        ; -- End function
	.set _ZL23rocblas_trmm_rNx_kernelILi32EffKPKfKPfEv13rocblas_fill_17rocblas_diagonal_iiT1_lPT2_llS9_llPT3_lli.num_vgpr, 20
	.set _ZL23rocblas_trmm_rNx_kernelILi32EffKPKfKPfEv13rocblas_fill_17rocblas_diagonal_iiT1_lPT2_llS9_llPT3_lli.num_agpr, 0
	.set _ZL23rocblas_trmm_rNx_kernelILi32EffKPKfKPfEv13rocblas_fill_17rocblas_diagonal_iiT1_lPT2_llS9_llPT3_lli.numbered_sgpr, 31
	.set _ZL23rocblas_trmm_rNx_kernelILi32EffKPKfKPfEv13rocblas_fill_17rocblas_diagonal_iiT1_lPT2_llS9_llPT3_lli.num_named_barrier, 0
	.set _ZL23rocblas_trmm_rNx_kernelILi32EffKPKfKPfEv13rocblas_fill_17rocblas_diagonal_iiT1_lPT2_llS9_llPT3_lli.private_seg_size, 0
	.set _ZL23rocblas_trmm_rNx_kernelILi32EffKPKfKPfEv13rocblas_fill_17rocblas_diagonal_iiT1_lPT2_llS9_llPT3_lli.uses_vcc, 1
	.set _ZL23rocblas_trmm_rNx_kernelILi32EffKPKfKPfEv13rocblas_fill_17rocblas_diagonal_iiT1_lPT2_llS9_llPT3_lli.uses_flat_scratch, 0
	.set _ZL23rocblas_trmm_rNx_kernelILi32EffKPKfKPfEv13rocblas_fill_17rocblas_diagonal_iiT1_lPT2_llS9_llPT3_lli.has_dyn_sized_stack, 0
	.set _ZL23rocblas_trmm_rNx_kernelILi32EffKPKfKPfEv13rocblas_fill_17rocblas_diagonal_iiT1_lPT2_llS9_llPT3_lli.has_recursion, 0
	.set _ZL23rocblas_trmm_rNx_kernelILi32EffKPKfKPfEv13rocblas_fill_17rocblas_diagonal_iiT1_lPT2_llS9_llPT3_lli.has_indirect_call, 0
	.section	.AMDGPU.csdata,"",@progbits
; Kernel info:
; codeLenInByte = 1096
; TotalNumSgprs: 33
; NumVgprs: 20
; ScratchSize: 0
; MemoryBound: 0
; FloatMode: 240
; IeeeMode: 1
; LDSByteSize: 8192 bytes/workgroup (compile time only)
; SGPRBlocks: 0
; VGPRBlocks: 2
; NumSGPRsForWavesPerEU: 33
; NumVGPRsForWavesPerEU: 20
; Occupancy: 16
; WaveLimiterHint : 1
; COMPUTE_PGM_RSRC2:SCRATCH_EN: 0
; COMPUTE_PGM_RSRC2:USER_SGPR: 6
; COMPUTE_PGM_RSRC2:TRAP_HANDLER: 0
; COMPUTE_PGM_RSRC2:TGID_X_EN: 1
; COMPUTE_PGM_RSRC2:TGID_Y_EN: 0
; COMPUTE_PGM_RSRC2:TGID_Z_EN: 1
; COMPUTE_PGM_RSRC2:TIDIG_COMP_CNT: 1
	.section	.text._ZL23rocblas_trmm_rTx_kernelILi32ELb0EfPKfKS1_KPfEv13rocblas_fill_17rocblas_diagonal_iiT2_lPT3_llS9_llPT4_lli,"axG",@progbits,_ZL23rocblas_trmm_rTx_kernelILi32ELb0EfPKfKS1_KPfEv13rocblas_fill_17rocblas_diagonal_iiT2_lPT3_llS9_llPT4_lli,comdat
	.globl	_ZL23rocblas_trmm_rTx_kernelILi32ELb0EfPKfKS1_KPfEv13rocblas_fill_17rocblas_diagonal_iiT2_lPT3_llS9_llPT4_lli ; -- Begin function _ZL23rocblas_trmm_rTx_kernelILi32ELb0EfPKfKS1_KPfEv13rocblas_fill_17rocblas_diagonal_iiT2_lPT3_llS9_llPT4_lli
	.p2align	8
	.type	_ZL23rocblas_trmm_rTx_kernelILi32ELb0EfPKfKS1_KPfEv13rocblas_fill_17rocblas_diagonal_iiT2_lPT3_llS9_llPT4_lli,@function
_ZL23rocblas_trmm_rTx_kernelILi32ELb0EfPKfKS1_KPfEv13rocblas_fill_17rocblas_diagonal_iiT2_lPT3_llS9_llPT4_lli: ; @_ZL23rocblas_trmm_rTx_kernelILi32ELb0EfPKfKS1_KPfEv13rocblas_fill_17rocblas_diagonal_iiT2_lPT3_llS9_llPT4_lli
; %bb.0:
	s_load_dwordx16 s[8:23], s[4:5], 0x10
	s_mov_b32 s25, 0
	s_waitcnt lgkmcnt(0)
	s_mul_i32 s0, s11, s7
	s_mul_hi_u32 s1, s10, s7
	s_add_i32 s1, s1, s0
	s_mul_i32 s0, s10, s7
	s_lshl_b64 s[0:1], s[0:1], 2
	s_add_u32 s0, s8, s0
	s_addc_u32 s1, s9, s1
	s_load_dword s28, s[0:1], 0x0
	s_waitcnt lgkmcnt(0)
	v_cmp_eq_f32_e64 s0, s28, 0
	s_and_b32 vcc_lo, exec_lo, s0
	s_cbranch_vccnz .LBB152_15
; %bb.1:
	s_clause 0x1
	s_load_dwordx4 s[0:3], s[4:5], 0x50
	s_load_dwordx4 s[8:11], s[4:5], 0x0
	s_mov_b32 s24, s7
	v_lshlrev_b32_e32 v2, 5, v1
	s_lshl_b64 s[26:27], s[24:25], 3
	v_mov_b32_e32 v4, 0
	s_add_u32 s18, s18, s26
	s_addc_u32 s19, s19, s27
	v_add_lshl_u32 v3, v2, v0, 2
	v_lshlrev_b32_e32 v2, 2, v0
	s_waitcnt lgkmcnt(0)
	s_add_u32 s0, s0, s26
	s_addc_u32 s1, s1, s27
	s_load_dwordx2 s[24:25], s[18:19], 0x0
	s_load_dwordx2 s[18:19], s[0:1], 0x0
	v_cmp_gt_i32_e32 vcc_lo, s11, v1
	v_cmp_gt_i32_e64 s0, s11, v0
	ds_write2st64_b32 v3, v4, v4 offset1:16
	s_and_b32 s0, vcc_lo, s0
	s_and_saveexec_b32 s1, s0
	s_cbranch_execz .LBB152_3
; %bb.2:
	s_add_u32 s12, s12, s26
	s_addc_u32 s13, s13, s27
	v_mad_u64_u32 v[4:5], null, s14, v1, 0
	s_load_dwordx2 s[12:13], s[12:13], 0x0
	v_mad_u64_u32 v[5:6], null, s15, v1, v[5:6]
	s_lshl_b64 s[14:15], s[16:17], 2
	v_lshlrev_b64 v[4:5], 2, v[4:5]
	s_waitcnt lgkmcnt(0)
	s_add_u32 s0, s12, s14
	s_addc_u32 s7, s13, s15
	v_add_co_u32 v4, s0, s0, v4
	v_add_co_ci_u32_e64 v5, null, s7, v5, s0
	v_add_co_u32 v4, s0, v4, v2
	v_add_co_ci_u32_e64 v5, null, 0, v5, s0
	flat_load_dword v4, v[4:5]
	s_waitcnt vmcnt(0) lgkmcnt(0)
	ds_write_b32 v3, v4
.LBB152_3:
	s_or_b32 exec_lo, exec_lo, s1
	s_add_i32 s0, s10, -1
	s_ashr_i32 s1, s0, 31
	s_lshr_b32 s1, s1, 27
	s_add_i32 s0, s0, s1
	s_and_b32 s1, s0, 0xffffffe0
	s_ashr_i32 s0, s0, 5
	s_sub_i32 s1, s10, s1
	s_cmp_ge_i32 s6, s0
	s_cselect_b32 s0, s1, 32
	s_lshl_b32 s6, s6, 5
	v_cmp_gt_i32_e64 s0, s0, v0
	s_ashr_i32 s7, s6, 31
	s_and_b32 s0, vcc_lo, s0
	s_and_saveexec_b32 s1, s0
	s_cbranch_execz .LBB152_5
; %bb.4:
	v_mad_u64_u32 v[4:5], null, s20, v1, 0
	s_lshl_b64 s[10:11], s[22:23], 2
	s_waitcnt lgkmcnt(0)
	s_add_u32 s12, s24, s10
	s_addc_u32 s13, s25, s11
	s_lshl_b64 s[10:11], s[6:7], 2
	s_add_u32 s10, s12, s10
	v_mad_u64_u32 v[5:6], null, s21, v1, v[5:6]
	s_addc_u32 s11, s13, s11
	v_lshlrev_b64 v[4:5], 2, v[4:5]
	v_add_co_u32 v4, vcc_lo, s10, v4
	v_add_co_ci_u32_e64 v5, null, s11, v5, vcc_lo
	v_add_co_u32 v4, vcc_lo, v4, v2
	v_add_co_ci_u32_e64 v5, null, 0, v5, vcc_lo
	flat_load_dword v4, v[4:5]
	v_add_nc_u32_e32 v5, 0x1000, v3
	s_waitcnt vmcnt(0) lgkmcnt(0)
	ds_write_b32 v5, v4
.LBB152_5:
	s_or_b32 exec_lo, exec_lo, s1
	v_cmp_eq_u32_e32 vcc_lo, v1, v0
	s_cmpk_eq_i32 s9, 0x84
	s_cselect_b32 s1, -1, 0
	s_and_b32 s9, vcc_lo, s1
	s_and_saveexec_b32 s1, s9
; %bb.6:
	v_mov_b32_e32 v4, 1.0
	ds_write_b32 v3, v4
; %bb.7:
	s_or_b32 exec_lo, exec_lo, s1
	s_cmpk_lg_i32 s8, 0x79
	s_cbranch_scc0 .LBB152_9
; %bb.8:
	v_cmp_lt_u32_e32 vcc_lo, v0, v1
	s_and_b32 s1, vcc_lo, exec_lo
	s_cbranch_execz .LBB152_10
	s_branch .LBB152_11
.LBB152_9:
	s_mov_b32 s1, 0
.LBB152_10:
	v_cmp_gt_u32_e32 vcc_lo, v0, v1
	s_andn2_b32 s1, s1, exec_lo
	s_and_b32 s8, vcc_lo, exec_lo
	s_or_b32 s1, s1, s8
.LBB152_11:
	s_and_saveexec_b32 s8, s1
; %bb.12:
	v_mov_b32_e32 v0, 0
	ds_write_b32 v3, v0
; %bb.13:
	s_or_b32 exec_lo, exec_lo, s8
	s_waitcnt lgkmcnt(0)
	s_barrier
	buffer_gl0_inv
	s_and_saveexec_b32 s1, s0
	s_cbranch_execz .LBB152_15
; %bb.14:
	v_add_nc_u32_e32 v0, 0x1000, v2
	v_lshlrev_b32_e32 v15, 2, v1
	s_load_dwordx2 s[0:1], s[4:5], 0x60
	ds_read2_b32 v[3:4], v0 offset1:32
	ds_read2_b32 v[5:6], v15 offset1:32
	ds_read2_b32 v[7:8], v0 offset0:64 offset1:96
	ds_read2_b32 v[9:10], v15 offset0:64 offset1:96
	;; [unrolled: 1-line block ×4, first 2 shown]
	v_add_nc_u32_e32 v16, 0x400, v15
	v_add_nc_u32_e32 v18, 0xc00, v15
	s_waitcnt lgkmcnt(0)
	v_fma_f32 v17, v3, v5, 0
	s_lshl_b64 s[0:1], s[0:1], 2
	v_fmac_f32_e32 v17, v4, v6
	ds_read2_b32 v[3:4], v0 offset0:192 offset1:224
	ds_read2_b32 v[5:6], v15 offset0:192 offset1:224
	v_add_nc_u32_e32 v0, 0x1400, v2
	v_fmac_f32_e32 v17, v7, v9
	v_fmac_f32_e32 v17, v8, v10
	ds_read2_b32 v[7:8], v0 offset1:32
	ds_read2_b32 v[9:10], v16 offset1:32
	v_fmac_f32_e32 v17, v11, v13
	v_fmac_f32_e32 v17, v12, v14
	ds_read2_b32 v[11:12], v0 offset0:64 offset1:96
	ds_read2_b32 v[13:14], v16 offset0:64 offset1:96
	s_waitcnt lgkmcnt(4)
	v_fmac_f32_e32 v17, v3, v5
	v_fmac_f32_e32 v17, v4, v6
	ds_read2_b32 v[3:4], v0 offset0:128 offset1:160
	ds_read2_b32 v[5:6], v16 offset0:128 offset1:160
	s_waitcnt lgkmcnt(4)
	v_fmac_f32_e32 v17, v7, v9
	v_fmac_f32_e32 v17, v8, v10
	ds_read2_b32 v[7:8], v0 offset0:192 offset1:224
	ds_read2_b32 v[9:10], v16 offset0:192 offset1:224
	v_add_nc_u32_e32 v0, 0x1800, v2
	v_add_nc_u32_e32 v16, 0x800, v15
	s_waitcnt lgkmcnt(4)
	v_fmac_f32_e32 v17, v11, v13
	v_fmac_f32_e32 v17, v12, v14
	ds_read2_b32 v[11:12], v0 offset1:32
	ds_read2_b32 v[13:14], v16 offset1:32
	s_waitcnt lgkmcnt(4)
	v_fmac_f32_e32 v17, v3, v5
	v_fmac_f32_e32 v17, v4, v6
	ds_read2_b32 v[3:4], v0 offset0:64 offset1:96
	ds_read2_b32 v[5:6], v16 offset0:64 offset1:96
	s_waitcnt lgkmcnt(4)
	v_fmac_f32_e32 v17, v7, v9
	v_fmac_f32_e32 v17, v8, v10
	ds_read2_b32 v[7:8], v0 offset0:128 offset1:160
	ds_read2_b32 v[9:10], v16 offset0:128 offset1:160
	;; [unrolled: 5-line block ×3, first 2 shown]
	v_add_nc_u32_e32 v0, 0x1c00, v2
	v_mad_u64_u32 v[15:16], null, s2, v1, 0
	s_waitcnt lgkmcnt(4)
	v_fmac_f32_e32 v17, v3, v5
	s_add_u32 s2, s18, s0
	v_fmac_f32_e32 v17, v4, v6
	ds_read2_b32 v[3:4], v0 offset1:32
	ds_read2_b32 v[5:6], v18 offset1:32
	s_waitcnt lgkmcnt(4)
	v_fmac_f32_e32 v17, v7, v9
	v_fmac_f32_e32 v17, v8, v10
	ds_read2_b32 v[7:8], v0 offset0:64 offset1:96
	ds_read2_b32 v[9:10], v18 offset0:64 offset1:96
	s_waitcnt lgkmcnt(4)
	v_fmac_f32_e32 v17, v11, v13
	v_fmac_f32_e32 v17, v12, v14
	ds_read2_b32 v[11:12], v0 offset0:128 offset1:160
	ds_read2_b32 v[13:14], v18 offset0:128 offset1:160
	;; [unrolled: 5-line block ×3, first 2 shown]
	v_mov_b32_e32 v0, v16
	s_waitcnt lgkmcnt(4)
	v_fmac_f32_e32 v17, v7, v9
	v_mad_u64_u32 v[0:1], null, s3, v1, v[0:1]
	s_addc_u32 s3, s19, s1
	v_fmac_f32_e32 v17, v8, v10
	s_lshl_b64 s[0:1], s[6:7], 2
	s_add_u32 s0, s2, s0
	s_addc_u32 s1, s3, s1
	s_waitcnt lgkmcnt(2)
	v_fmac_f32_e32 v17, v11, v13
	v_mov_b32_e32 v16, v0
	v_fmac_f32_e32 v17, v12, v14
	v_lshlrev_b64 v[0:1], 2, v[15:16]
	s_waitcnt lgkmcnt(0)
	v_fmac_f32_e32 v17, v3, v5
	v_add_co_u32 v0, vcc_lo, s0, v0
	v_add_co_ci_u32_e64 v1, null, s1, v1, vcc_lo
	v_fmac_f32_e32 v17, v4, v6
	v_add_co_u32 v0, vcc_lo, v0, v2
	v_add_co_ci_u32_e64 v1, null, 0, v1, vcc_lo
	v_mul_f32_e32 v3, s28, v17
	flat_store_dword v[0:1], v3
.LBB152_15:
	s_endpgm
	.section	.rodata,"a",@progbits
	.p2align	6, 0x0
	.amdhsa_kernel _ZL23rocblas_trmm_rTx_kernelILi32ELb0EfPKfKS1_KPfEv13rocblas_fill_17rocblas_diagonal_iiT2_lPT3_llS9_llPT4_lli
		.amdhsa_group_segment_fixed_size 8192
		.amdhsa_private_segment_fixed_size 0
		.amdhsa_kernarg_size 108
		.amdhsa_user_sgpr_count 6
		.amdhsa_user_sgpr_private_segment_buffer 1
		.amdhsa_user_sgpr_dispatch_ptr 0
		.amdhsa_user_sgpr_queue_ptr 0
		.amdhsa_user_sgpr_kernarg_segment_ptr 1
		.amdhsa_user_sgpr_dispatch_id 0
		.amdhsa_user_sgpr_flat_scratch_init 0
		.amdhsa_user_sgpr_private_segment_size 0
		.amdhsa_wavefront_size32 1
		.amdhsa_uses_dynamic_stack 0
		.amdhsa_system_sgpr_private_segment_wavefront_offset 0
		.amdhsa_system_sgpr_workgroup_id_x 1
		.amdhsa_system_sgpr_workgroup_id_y 0
		.amdhsa_system_sgpr_workgroup_id_z 1
		.amdhsa_system_sgpr_workgroup_info 0
		.amdhsa_system_vgpr_workitem_id 1
		.amdhsa_next_free_vgpr 19
		.amdhsa_next_free_sgpr 29
		.amdhsa_reserve_vcc 1
		.amdhsa_reserve_flat_scratch 0
		.amdhsa_float_round_mode_32 0
		.amdhsa_float_round_mode_16_64 0
		.amdhsa_float_denorm_mode_32 3
		.amdhsa_float_denorm_mode_16_64 3
		.amdhsa_dx10_clamp 1
		.amdhsa_ieee_mode 1
		.amdhsa_fp16_overflow 0
		.amdhsa_workgroup_processor_mode 1
		.amdhsa_memory_ordered 1
		.amdhsa_forward_progress 1
		.amdhsa_shared_vgpr_count 0
		.amdhsa_exception_fp_ieee_invalid_op 0
		.amdhsa_exception_fp_denorm_src 0
		.amdhsa_exception_fp_ieee_div_zero 0
		.amdhsa_exception_fp_ieee_overflow 0
		.amdhsa_exception_fp_ieee_underflow 0
		.amdhsa_exception_fp_ieee_inexact 0
		.amdhsa_exception_int_div_zero 0
	.end_amdhsa_kernel
	.section	.text._ZL23rocblas_trmm_rTx_kernelILi32ELb0EfPKfKS1_KPfEv13rocblas_fill_17rocblas_diagonal_iiT2_lPT3_llS9_llPT4_lli,"axG",@progbits,_ZL23rocblas_trmm_rTx_kernelILi32ELb0EfPKfKS1_KPfEv13rocblas_fill_17rocblas_diagonal_iiT2_lPT3_llS9_llPT4_lli,comdat
.Lfunc_end152:
	.size	_ZL23rocblas_trmm_rTx_kernelILi32ELb0EfPKfKS1_KPfEv13rocblas_fill_17rocblas_diagonal_iiT2_lPT3_llS9_llPT4_lli, .Lfunc_end152-_ZL23rocblas_trmm_rTx_kernelILi32ELb0EfPKfKS1_KPfEv13rocblas_fill_17rocblas_diagonal_iiT2_lPT3_llS9_llPT4_lli
                                        ; -- End function
	.set _ZL23rocblas_trmm_rTx_kernelILi32ELb0EfPKfKS1_KPfEv13rocblas_fill_17rocblas_diagonal_iiT2_lPT3_llS9_llPT4_lli.num_vgpr, 19
	.set _ZL23rocblas_trmm_rTx_kernelILi32ELb0EfPKfKS1_KPfEv13rocblas_fill_17rocblas_diagonal_iiT2_lPT3_llS9_llPT4_lli.num_agpr, 0
	.set _ZL23rocblas_trmm_rTx_kernelILi32ELb0EfPKfKS1_KPfEv13rocblas_fill_17rocblas_diagonal_iiT2_lPT3_llS9_llPT4_lli.numbered_sgpr, 29
	.set _ZL23rocblas_trmm_rTx_kernelILi32ELb0EfPKfKS1_KPfEv13rocblas_fill_17rocblas_diagonal_iiT2_lPT3_llS9_llPT4_lli.num_named_barrier, 0
	.set _ZL23rocblas_trmm_rTx_kernelILi32ELb0EfPKfKS1_KPfEv13rocblas_fill_17rocblas_diagonal_iiT2_lPT3_llS9_llPT4_lli.private_seg_size, 0
	.set _ZL23rocblas_trmm_rTx_kernelILi32ELb0EfPKfKS1_KPfEv13rocblas_fill_17rocblas_diagonal_iiT2_lPT3_llS9_llPT4_lli.uses_vcc, 1
	.set _ZL23rocblas_trmm_rTx_kernelILi32ELb0EfPKfKS1_KPfEv13rocblas_fill_17rocblas_diagonal_iiT2_lPT3_llS9_llPT4_lli.uses_flat_scratch, 0
	.set _ZL23rocblas_trmm_rTx_kernelILi32ELb0EfPKfKS1_KPfEv13rocblas_fill_17rocblas_diagonal_iiT2_lPT3_llS9_llPT4_lli.has_dyn_sized_stack, 0
	.set _ZL23rocblas_trmm_rTx_kernelILi32ELb0EfPKfKS1_KPfEv13rocblas_fill_17rocblas_diagonal_iiT2_lPT3_llS9_llPT4_lli.has_recursion, 0
	.set _ZL23rocblas_trmm_rTx_kernelILi32ELb0EfPKfKS1_KPfEv13rocblas_fill_17rocblas_diagonal_iiT2_lPT3_llS9_llPT4_lli.has_indirect_call, 0
	.section	.AMDGPU.csdata,"",@progbits
; Kernel info:
; codeLenInByte = 1224
; TotalNumSgprs: 31
; NumVgprs: 19
; ScratchSize: 0
; MemoryBound: 0
; FloatMode: 240
; IeeeMode: 1
; LDSByteSize: 8192 bytes/workgroup (compile time only)
; SGPRBlocks: 0
; VGPRBlocks: 2
; NumSGPRsForWavesPerEU: 31
; NumVGPRsForWavesPerEU: 19
; Occupancy: 16
; WaveLimiterHint : 1
; COMPUTE_PGM_RSRC2:SCRATCH_EN: 0
; COMPUTE_PGM_RSRC2:USER_SGPR: 6
; COMPUTE_PGM_RSRC2:TRAP_HANDLER: 0
; COMPUTE_PGM_RSRC2:TGID_X_EN: 1
; COMPUTE_PGM_RSRC2:TGID_Y_EN: 0
; COMPUTE_PGM_RSRC2:TGID_Z_EN: 1
; COMPUTE_PGM_RSRC2:TIDIG_COMP_CNT: 1
	.section	.text._ZL23rocblas_trmm_rTx_kernelILi32ELb0EffKPKfKPfEv13rocblas_fill_17rocblas_diagonal_iiT2_lPT3_llS9_llPT4_lli,"axG",@progbits,_ZL23rocblas_trmm_rTx_kernelILi32ELb0EffKPKfKPfEv13rocblas_fill_17rocblas_diagonal_iiT2_lPT3_llS9_llPT4_lli,comdat
	.globl	_ZL23rocblas_trmm_rTx_kernelILi32ELb0EffKPKfKPfEv13rocblas_fill_17rocblas_diagonal_iiT2_lPT3_llS9_llPT4_lli ; -- Begin function _ZL23rocblas_trmm_rTx_kernelILi32ELb0EffKPKfKPfEv13rocblas_fill_17rocblas_diagonal_iiT2_lPT3_llS9_llPT4_lli
	.p2align	8
	.type	_ZL23rocblas_trmm_rTx_kernelILi32ELb0EffKPKfKPfEv13rocblas_fill_17rocblas_diagonal_iiT2_lPT3_llS9_llPT4_lli,@function
_ZL23rocblas_trmm_rTx_kernelILi32ELb0EffKPKfKPfEv13rocblas_fill_17rocblas_diagonal_iiT2_lPT3_llS9_llPT4_lli: ; @_ZL23rocblas_trmm_rTx_kernelILi32ELb0EffKPKfKPfEv13rocblas_fill_17rocblas_diagonal_iiT2_lPT3_llS9_llPT4_lli
; %bb.0:
	s_load_dword s30, s[4:5], 0x10
	s_waitcnt lgkmcnt(0)
	v_cmp_eq_f32_e64 s1, s30, 0
	s_and_b32 vcc_lo, exec_lo, s1
	s_mov_b32 s1, 0
	s_cbranch_vccnz .LBB153_15
; %bb.1:
	s_clause 0x1
	s_load_dwordx16 s[8:23], s[4:5], 0x20
	s_load_dwordx4 s[24:27], s[4:5], 0x0
	s_mov_b32 s0, s7
	v_lshlrev_b32_e32 v2, 5, v1
	s_lshl_b64 s[28:29], s[0:1], 3
	v_mov_b32_e32 v4, 0
	v_add_lshl_u32 v3, v2, v0, 2
	v_lshlrev_b32_e32 v2, 2, v0
	s_waitcnt lgkmcnt(0)
	s_add_u32 s0, s14, s28
	s_addc_u32 s1, s15, s29
	s_add_u32 s2, s20, s28
	s_addc_u32 s3, s21, s29
	s_load_dwordx2 s[14:15], s[0:1], 0x0
	s_load_dwordx2 s[2:3], s[2:3], 0x0
	v_cmp_gt_i32_e32 vcc_lo, s27, v1
	v_cmp_gt_i32_e64 s0, s27, v0
	ds_write2st64_b32 v3, v4, v4 offset1:16
	s_and_b32 s0, vcc_lo, s0
	s_and_saveexec_b32 s1, s0
	s_cbranch_execz .LBB153_3
; %bb.2:
	s_add_u32 s8, s8, s28
	s_addc_u32 s9, s9, s29
	v_mad_u64_u32 v[4:5], null, s10, v1, 0
	s_load_dwordx2 s[8:9], s[8:9], 0x0
	v_mad_u64_u32 v[5:6], null, s11, v1, v[5:6]
	s_lshl_b64 s[10:11], s[12:13], 2
	v_lshlrev_b64 v[4:5], 2, v[4:5]
	s_waitcnt lgkmcnt(0)
	s_add_u32 s0, s8, s10
	s_addc_u32 s7, s9, s11
	v_add_co_u32 v4, s0, s0, v4
	v_add_co_ci_u32_e64 v5, null, s7, v5, s0
	v_add_co_u32 v4, s0, v4, v2
	v_add_co_ci_u32_e64 v5, null, 0, v5, s0
	flat_load_dword v4, v[4:5]
	s_waitcnt vmcnt(0) lgkmcnt(0)
	ds_write_b32 v3, v4
.LBB153_3:
	s_or_b32 exec_lo, exec_lo, s1
	s_add_i32 s0, s26, -1
	s_ashr_i32 s1, s0, 31
	s_lshr_b32 s1, s1, 27
	s_add_i32 s0, s0, s1
	s_and_b32 s1, s0, 0xffffffe0
	s_ashr_i32 s0, s0, 5
	s_sub_i32 s1, s26, s1
	s_cmp_ge_i32 s6, s0
	s_cselect_b32 s0, s1, 32
	s_lshl_b32 s6, s6, 5
	v_cmp_gt_i32_e64 s0, s0, v0
	s_ashr_i32 s7, s6, 31
	s_and_b32 s0, vcc_lo, s0
	s_and_saveexec_b32 s1, s0
	s_cbranch_execz .LBB153_5
; %bb.4:
	v_mad_u64_u32 v[4:5], null, s16, v1, 0
	s_lshl_b64 s[8:9], s[18:19], 2
	s_waitcnt lgkmcnt(0)
	s_add_u32 s10, s14, s8
	s_addc_u32 s11, s15, s9
	s_lshl_b64 s[8:9], s[6:7], 2
	s_add_u32 s8, s10, s8
	v_mad_u64_u32 v[5:6], null, s17, v1, v[5:6]
	s_addc_u32 s9, s11, s9
	v_lshlrev_b64 v[4:5], 2, v[4:5]
	v_add_co_u32 v4, vcc_lo, s8, v4
	v_add_co_ci_u32_e64 v5, null, s9, v5, vcc_lo
	v_add_co_u32 v4, vcc_lo, v4, v2
	v_add_co_ci_u32_e64 v5, null, 0, v5, vcc_lo
	flat_load_dword v4, v[4:5]
	v_add_nc_u32_e32 v5, 0x1000, v3
	s_waitcnt vmcnt(0) lgkmcnt(0)
	ds_write_b32 v5, v4
.LBB153_5:
	s_or_b32 exec_lo, exec_lo, s1
	v_cmp_eq_u32_e32 vcc_lo, v1, v0
	s_cmpk_eq_i32 s25, 0x84
	s_cselect_b32 s1, -1, 0
	s_and_b32 s8, vcc_lo, s1
	s_and_saveexec_b32 s1, s8
; %bb.6:
	v_mov_b32_e32 v4, 1.0
	ds_write_b32 v3, v4
; %bb.7:
	s_or_b32 exec_lo, exec_lo, s1
	s_cmpk_lg_i32 s24, 0x79
	s_cbranch_scc0 .LBB153_9
; %bb.8:
	v_cmp_lt_u32_e32 vcc_lo, v0, v1
	s_and_b32 s1, vcc_lo, exec_lo
	s_cbranch_execz .LBB153_10
	s_branch .LBB153_11
.LBB153_9:
	s_mov_b32 s1, 0
.LBB153_10:
	v_cmp_gt_u32_e32 vcc_lo, v0, v1
	s_andn2_b32 s1, s1, exec_lo
	s_and_b32 s8, vcc_lo, exec_lo
	s_or_b32 s1, s1, s8
.LBB153_11:
	s_and_saveexec_b32 s8, s1
; %bb.12:
	v_mov_b32_e32 v0, 0
	ds_write_b32 v3, v0
; %bb.13:
	s_or_b32 exec_lo, exec_lo, s8
	s_waitcnt lgkmcnt(0)
	s_barrier
	buffer_gl0_inv
	s_and_saveexec_b32 s1, s0
	s_cbranch_execz .LBB153_15
; %bb.14:
	v_add_nc_u32_e32 v0, 0x1000, v2
	v_lshlrev_b32_e32 v15, 2, v1
	s_load_dwordx2 s[0:1], s[4:5], 0x60
	ds_read2_b32 v[3:4], v0 offset1:32
	ds_read2_b32 v[5:6], v15 offset1:32
	ds_read2_b32 v[7:8], v0 offset0:64 offset1:96
	ds_read2_b32 v[9:10], v15 offset0:64 offset1:96
	;; [unrolled: 1-line block ×4, first 2 shown]
	v_add_nc_u32_e32 v16, 0x400, v15
	v_add_nc_u32_e32 v18, 0xc00, v15
	s_waitcnt lgkmcnt(0)
	v_fma_f32 v17, v3, v5, 0
	s_lshl_b64 s[0:1], s[0:1], 2
	s_add_u32 s2, s2, s0
	s_addc_u32 s3, s3, s1
	v_fmac_f32_e32 v17, v4, v6
	ds_read2_b32 v[3:4], v0 offset0:192 offset1:224
	ds_read2_b32 v[5:6], v15 offset0:192 offset1:224
	v_add_nc_u32_e32 v0, 0x1400, v2
	s_lshl_b64 s[0:1], s[6:7], 2
	s_add_u32 s0, s2, s0
	v_fmac_f32_e32 v17, v7, v9
	s_addc_u32 s1, s3, s1
	v_fmac_f32_e32 v17, v8, v10
	ds_read2_b32 v[7:8], v0 offset1:32
	ds_read2_b32 v[9:10], v16 offset1:32
	v_fmac_f32_e32 v17, v11, v13
	v_fmac_f32_e32 v17, v12, v14
	ds_read2_b32 v[11:12], v0 offset0:64 offset1:96
	ds_read2_b32 v[13:14], v16 offset0:64 offset1:96
	s_waitcnt lgkmcnt(4)
	v_fmac_f32_e32 v17, v3, v5
	v_fmac_f32_e32 v17, v4, v6
	ds_read2_b32 v[3:4], v0 offset0:128 offset1:160
	ds_read2_b32 v[5:6], v16 offset0:128 offset1:160
	s_waitcnt lgkmcnt(4)
	v_fmac_f32_e32 v17, v7, v9
	v_fmac_f32_e32 v17, v8, v10
	ds_read2_b32 v[7:8], v0 offset0:192 offset1:224
	ds_read2_b32 v[9:10], v16 offset0:192 offset1:224
	v_add_nc_u32_e32 v0, 0x1800, v2
	v_add_nc_u32_e32 v16, 0x800, v15
	s_waitcnt lgkmcnt(4)
	v_fmac_f32_e32 v17, v11, v13
	v_fmac_f32_e32 v17, v12, v14
	ds_read2_b32 v[11:12], v0 offset1:32
	ds_read2_b32 v[13:14], v16 offset1:32
	s_waitcnt lgkmcnt(4)
	v_fmac_f32_e32 v17, v3, v5
	v_fmac_f32_e32 v17, v4, v6
	ds_read2_b32 v[3:4], v0 offset0:64 offset1:96
	ds_read2_b32 v[5:6], v16 offset0:64 offset1:96
	s_waitcnt lgkmcnt(4)
	v_fmac_f32_e32 v17, v7, v9
	v_fmac_f32_e32 v17, v8, v10
	ds_read2_b32 v[7:8], v0 offset0:128 offset1:160
	ds_read2_b32 v[9:10], v16 offset0:128 offset1:160
	;; [unrolled: 5-line block ×3, first 2 shown]
	v_add_nc_u32_e32 v0, 0x1c00, v2
	v_mad_u64_u32 v[15:16], null, s22, v1, 0
	s_waitcnt lgkmcnt(4)
	v_fmac_f32_e32 v17, v3, v5
	v_fmac_f32_e32 v17, v4, v6
	ds_read2_b32 v[3:4], v0 offset1:32
	ds_read2_b32 v[5:6], v18 offset1:32
	s_waitcnt lgkmcnt(4)
	v_fmac_f32_e32 v17, v7, v9
	v_fmac_f32_e32 v17, v8, v10
	ds_read2_b32 v[7:8], v0 offset0:64 offset1:96
	ds_read2_b32 v[9:10], v18 offset0:64 offset1:96
	s_waitcnt lgkmcnt(4)
	v_fmac_f32_e32 v17, v11, v13
	v_fmac_f32_e32 v17, v12, v14
	ds_read2_b32 v[11:12], v0 offset0:128 offset1:160
	ds_read2_b32 v[13:14], v18 offset0:128 offset1:160
	;; [unrolled: 5-line block ×3, first 2 shown]
	v_mov_b32_e32 v0, v16
	s_waitcnt lgkmcnt(4)
	v_fmac_f32_e32 v17, v7, v9
	v_mad_u64_u32 v[0:1], null, s23, v1, v[0:1]
	v_fmac_f32_e32 v17, v8, v10
	v_mov_b32_e32 v16, v0
	s_waitcnt lgkmcnt(2)
	v_fmac_f32_e32 v17, v11, v13
	v_lshlrev_b64 v[0:1], 2, v[15:16]
	v_fmac_f32_e32 v17, v12, v14
	v_add_co_u32 v0, vcc_lo, s0, v0
	s_waitcnt lgkmcnt(0)
	v_fmac_f32_e32 v17, v3, v5
	v_add_co_ci_u32_e64 v1, null, s1, v1, vcc_lo
	v_add_co_u32 v0, vcc_lo, v0, v2
	v_fmac_f32_e32 v17, v4, v6
	v_add_co_ci_u32_e64 v1, null, 0, v1, vcc_lo
	v_mul_f32_e32 v3, s30, v17
	flat_store_dword v[0:1], v3
.LBB153_15:
	s_endpgm
	.section	.rodata,"a",@progbits
	.p2align	6, 0x0
	.amdhsa_kernel _ZL23rocblas_trmm_rTx_kernelILi32ELb0EffKPKfKPfEv13rocblas_fill_17rocblas_diagonal_iiT2_lPT3_llS9_llPT4_lli
		.amdhsa_group_segment_fixed_size 8192
		.amdhsa_private_segment_fixed_size 0
		.amdhsa_kernarg_size 108
		.amdhsa_user_sgpr_count 6
		.amdhsa_user_sgpr_private_segment_buffer 1
		.amdhsa_user_sgpr_dispatch_ptr 0
		.amdhsa_user_sgpr_queue_ptr 0
		.amdhsa_user_sgpr_kernarg_segment_ptr 1
		.amdhsa_user_sgpr_dispatch_id 0
		.amdhsa_user_sgpr_flat_scratch_init 0
		.amdhsa_user_sgpr_private_segment_size 0
		.amdhsa_wavefront_size32 1
		.amdhsa_uses_dynamic_stack 0
		.amdhsa_system_sgpr_private_segment_wavefront_offset 0
		.amdhsa_system_sgpr_workgroup_id_x 1
		.amdhsa_system_sgpr_workgroup_id_y 0
		.amdhsa_system_sgpr_workgroup_id_z 1
		.amdhsa_system_sgpr_workgroup_info 0
		.amdhsa_system_vgpr_workitem_id 1
		.amdhsa_next_free_vgpr 19
		.amdhsa_next_free_sgpr 31
		.amdhsa_reserve_vcc 1
		.amdhsa_reserve_flat_scratch 0
		.amdhsa_float_round_mode_32 0
		.amdhsa_float_round_mode_16_64 0
		.amdhsa_float_denorm_mode_32 3
		.amdhsa_float_denorm_mode_16_64 3
		.amdhsa_dx10_clamp 1
		.amdhsa_ieee_mode 1
		.amdhsa_fp16_overflow 0
		.amdhsa_workgroup_processor_mode 1
		.amdhsa_memory_ordered 1
		.amdhsa_forward_progress 1
		.amdhsa_shared_vgpr_count 0
		.amdhsa_exception_fp_ieee_invalid_op 0
		.amdhsa_exception_fp_denorm_src 0
		.amdhsa_exception_fp_ieee_div_zero 0
		.amdhsa_exception_fp_ieee_overflow 0
		.amdhsa_exception_fp_ieee_underflow 0
		.amdhsa_exception_fp_ieee_inexact 0
		.amdhsa_exception_int_div_zero 0
	.end_amdhsa_kernel
	.section	.text._ZL23rocblas_trmm_rTx_kernelILi32ELb0EffKPKfKPfEv13rocblas_fill_17rocblas_diagonal_iiT2_lPT3_llS9_llPT4_lli,"axG",@progbits,_ZL23rocblas_trmm_rTx_kernelILi32ELb0EffKPKfKPfEv13rocblas_fill_17rocblas_diagonal_iiT2_lPT3_llS9_llPT4_lli,comdat
.Lfunc_end153:
	.size	_ZL23rocblas_trmm_rTx_kernelILi32ELb0EffKPKfKPfEv13rocblas_fill_17rocblas_diagonal_iiT2_lPT3_llS9_llPT4_lli, .Lfunc_end153-_ZL23rocblas_trmm_rTx_kernelILi32ELb0EffKPKfKPfEv13rocblas_fill_17rocblas_diagonal_iiT2_lPT3_llS9_llPT4_lli
                                        ; -- End function
	.set _ZL23rocblas_trmm_rTx_kernelILi32ELb0EffKPKfKPfEv13rocblas_fill_17rocblas_diagonal_iiT2_lPT3_llS9_llPT4_lli.num_vgpr, 19
	.set _ZL23rocblas_trmm_rTx_kernelILi32ELb0EffKPKfKPfEv13rocblas_fill_17rocblas_diagonal_iiT2_lPT3_llS9_llPT4_lli.num_agpr, 0
	.set _ZL23rocblas_trmm_rTx_kernelILi32ELb0EffKPKfKPfEv13rocblas_fill_17rocblas_diagonal_iiT2_lPT3_llS9_llPT4_lli.numbered_sgpr, 31
	.set _ZL23rocblas_trmm_rTx_kernelILi32ELb0EffKPKfKPfEv13rocblas_fill_17rocblas_diagonal_iiT2_lPT3_llS9_llPT4_lli.num_named_barrier, 0
	.set _ZL23rocblas_trmm_rTx_kernelILi32ELb0EffKPKfKPfEv13rocblas_fill_17rocblas_diagonal_iiT2_lPT3_llS9_llPT4_lli.private_seg_size, 0
	.set _ZL23rocblas_trmm_rTx_kernelILi32ELb0EffKPKfKPfEv13rocblas_fill_17rocblas_diagonal_iiT2_lPT3_llS9_llPT4_lli.uses_vcc, 1
	.set _ZL23rocblas_trmm_rTx_kernelILi32ELb0EffKPKfKPfEv13rocblas_fill_17rocblas_diagonal_iiT2_lPT3_llS9_llPT4_lli.uses_flat_scratch, 0
	.set _ZL23rocblas_trmm_rTx_kernelILi32ELb0EffKPKfKPfEv13rocblas_fill_17rocblas_diagonal_iiT2_lPT3_llS9_llPT4_lli.has_dyn_sized_stack, 0
	.set _ZL23rocblas_trmm_rTx_kernelILi32ELb0EffKPKfKPfEv13rocblas_fill_17rocblas_diagonal_iiT2_lPT3_llS9_llPT4_lli.has_recursion, 0
	.set _ZL23rocblas_trmm_rTx_kernelILi32ELb0EffKPKfKPfEv13rocblas_fill_17rocblas_diagonal_iiT2_lPT3_llS9_llPT4_lli.has_indirect_call, 0
	.section	.AMDGPU.csdata,"",@progbits
; Kernel info:
; codeLenInByte = 1184
; TotalNumSgprs: 33
; NumVgprs: 19
; ScratchSize: 0
; MemoryBound: 0
; FloatMode: 240
; IeeeMode: 1
; LDSByteSize: 8192 bytes/workgroup (compile time only)
; SGPRBlocks: 0
; VGPRBlocks: 2
; NumSGPRsForWavesPerEU: 33
; NumVGPRsForWavesPerEU: 19
; Occupancy: 16
; WaveLimiterHint : 1
; COMPUTE_PGM_RSRC2:SCRATCH_EN: 0
; COMPUTE_PGM_RSRC2:USER_SGPR: 6
; COMPUTE_PGM_RSRC2:TRAP_HANDLER: 0
; COMPUTE_PGM_RSRC2:TGID_X_EN: 1
; COMPUTE_PGM_RSRC2:TGID_Y_EN: 0
; COMPUTE_PGM_RSRC2:TGID_Z_EN: 1
; COMPUTE_PGM_RSRC2:TIDIG_COMP_CNT: 1
	.section	.text._ZL23rocblas_trmm_rTx_kernelILi32ELb1EfPKfKS1_KPfEv13rocblas_fill_17rocblas_diagonal_iiT2_lPT3_llS9_llPT4_lli,"axG",@progbits,_ZL23rocblas_trmm_rTx_kernelILi32ELb1EfPKfKS1_KPfEv13rocblas_fill_17rocblas_diagonal_iiT2_lPT3_llS9_llPT4_lli,comdat
	.globl	_ZL23rocblas_trmm_rTx_kernelILi32ELb1EfPKfKS1_KPfEv13rocblas_fill_17rocblas_diagonal_iiT2_lPT3_llS9_llPT4_lli ; -- Begin function _ZL23rocblas_trmm_rTx_kernelILi32ELb1EfPKfKS1_KPfEv13rocblas_fill_17rocblas_diagonal_iiT2_lPT3_llS9_llPT4_lli
	.p2align	8
	.type	_ZL23rocblas_trmm_rTx_kernelILi32ELb1EfPKfKS1_KPfEv13rocblas_fill_17rocblas_diagonal_iiT2_lPT3_llS9_llPT4_lli,@function
_ZL23rocblas_trmm_rTx_kernelILi32ELb1EfPKfKS1_KPfEv13rocblas_fill_17rocblas_diagonal_iiT2_lPT3_llS9_llPT4_lli: ; @_ZL23rocblas_trmm_rTx_kernelILi32ELb1EfPKfKS1_KPfEv13rocblas_fill_17rocblas_diagonal_iiT2_lPT3_llS9_llPT4_lli
; %bb.0:
	s_load_dwordx16 s[8:23], s[4:5], 0x10
	s_mov_b32 s25, 0
	s_waitcnt lgkmcnt(0)
	s_mul_i32 s0, s11, s7
	s_mul_hi_u32 s1, s10, s7
	s_add_i32 s1, s1, s0
	s_mul_i32 s0, s10, s7
	s_lshl_b64 s[0:1], s[0:1], 2
	s_add_u32 s0, s8, s0
	s_addc_u32 s1, s9, s1
	s_load_dword s28, s[0:1], 0x0
	s_waitcnt lgkmcnt(0)
	v_cmp_eq_f32_e64 s0, s28, 0
	s_and_b32 vcc_lo, exec_lo, s0
	s_cbranch_vccnz .LBB154_15
; %bb.1:
	s_clause 0x1
	s_load_dwordx4 s[0:3], s[4:5], 0x50
	s_load_dwordx4 s[8:11], s[4:5], 0x0
	s_mov_b32 s24, s7
	v_lshlrev_b32_e32 v2, 5, v1
	s_lshl_b64 s[26:27], s[24:25], 3
	v_mov_b32_e32 v4, 0
	s_add_u32 s18, s18, s26
	s_addc_u32 s19, s19, s27
	v_add_lshl_u32 v3, v2, v0, 2
	v_lshlrev_b32_e32 v2, 2, v0
	s_waitcnt lgkmcnt(0)
	s_add_u32 s0, s0, s26
	s_addc_u32 s1, s1, s27
	s_load_dwordx2 s[24:25], s[18:19], 0x0
	s_load_dwordx2 s[18:19], s[0:1], 0x0
	v_cmp_gt_i32_e32 vcc_lo, s11, v1
	v_cmp_gt_i32_e64 s0, s11, v0
	ds_write2st64_b32 v3, v4, v4 offset1:16
	s_and_b32 s0, vcc_lo, s0
	s_and_saveexec_b32 s1, s0
	s_cbranch_execz .LBB154_3
; %bb.2:
	s_add_u32 s12, s12, s26
	s_addc_u32 s13, s13, s27
	v_mad_u64_u32 v[4:5], null, s14, v1, 0
	s_load_dwordx2 s[12:13], s[12:13], 0x0
	v_mad_u64_u32 v[5:6], null, s15, v1, v[5:6]
	s_lshl_b64 s[14:15], s[16:17], 2
	v_lshlrev_b64 v[4:5], 2, v[4:5]
	s_waitcnt lgkmcnt(0)
	s_add_u32 s0, s12, s14
	s_addc_u32 s7, s13, s15
	v_add_co_u32 v4, s0, s0, v4
	v_add_co_ci_u32_e64 v5, null, s7, v5, s0
	v_add_co_u32 v4, s0, v4, v2
	v_add_co_ci_u32_e64 v5, null, 0, v5, s0
	flat_load_dword v4, v[4:5]
	s_waitcnt vmcnt(0) lgkmcnt(0)
	ds_write_b32 v3, v4
.LBB154_3:
	s_or_b32 exec_lo, exec_lo, s1
	s_add_i32 s0, s10, -1
	s_ashr_i32 s1, s0, 31
	s_lshr_b32 s1, s1, 27
	s_add_i32 s0, s0, s1
	s_and_b32 s1, s0, 0xffffffe0
	s_ashr_i32 s0, s0, 5
	s_sub_i32 s1, s10, s1
	s_cmp_ge_i32 s6, s0
	s_cselect_b32 s0, s1, 32
	s_lshl_b32 s6, s6, 5
	v_cmp_gt_i32_e64 s0, s0, v0
	s_ashr_i32 s7, s6, 31
	s_and_b32 s0, vcc_lo, s0
	s_and_saveexec_b32 s1, s0
	s_cbranch_execz .LBB154_5
; %bb.4:
	v_mad_u64_u32 v[4:5], null, s20, v1, 0
	s_lshl_b64 s[10:11], s[22:23], 2
	s_waitcnt lgkmcnt(0)
	s_add_u32 s12, s24, s10
	s_addc_u32 s13, s25, s11
	s_lshl_b64 s[10:11], s[6:7], 2
	s_add_u32 s10, s12, s10
	v_mad_u64_u32 v[5:6], null, s21, v1, v[5:6]
	s_addc_u32 s11, s13, s11
	v_lshlrev_b64 v[4:5], 2, v[4:5]
	v_add_co_u32 v4, vcc_lo, s10, v4
	v_add_co_ci_u32_e64 v5, null, s11, v5, vcc_lo
	v_add_co_u32 v4, vcc_lo, v4, v2
	v_add_co_ci_u32_e64 v5, null, 0, v5, vcc_lo
	flat_load_dword v4, v[4:5]
	v_add_nc_u32_e32 v5, 0x1000, v3
	s_waitcnt vmcnt(0) lgkmcnt(0)
	ds_write_b32 v5, v4
.LBB154_5:
	s_or_b32 exec_lo, exec_lo, s1
	v_cmp_eq_u32_e32 vcc_lo, v1, v0
	s_cmpk_eq_i32 s9, 0x84
	s_cselect_b32 s1, -1, 0
	s_and_b32 s9, vcc_lo, s1
	s_and_saveexec_b32 s1, s9
; %bb.6:
	v_mov_b32_e32 v4, 1.0
	ds_write_b32 v3, v4
; %bb.7:
	s_or_b32 exec_lo, exec_lo, s1
	s_cmpk_lg_i32 s8, 0x79
	s_cbranch_scc0 .LBB154_9
; %bb.8:
	v_cmp_lt_u32_e32 vcc_lo, v0, v1
	s_and_b32 s1, vcc_lo, exec_lo
	s_cbranch_execz .LBB154_10
	s_branch .LBB154_11
.LBB154_9:
	s_mov_b32 s1, 0
.LBB154_10:
	v_cmp_gt_u32_e32 vcc_lo, v0, v1
	s_andn2_b32 s1, s1, exec_lo
	s_and_b32 s8, vcc_lo, exec_lo
	s_or_b32 s1, s1, s8
.LBB154_11:
	s_and_saveexec_b32 s8, s1
; %bb.12:
	v_mov_b32_e32 v0, 0
	ds_write_b32 v3, v0
; %bb.13:
	s_or_b32 exec_lo, exec_lo, s8
	s_waitcnt lgkmcnt(0)
	s_barrier
	buffer_gl0_inv
	s_and_saveexec_b32 s1, s0
	s_cbranch_execz .LBB154_15
; %bb.14:
	v_add_nc_u32_e32 v0, 0x1000, v2
	v_lshlrev_b32_e32 v15, 2, v1
	s_load_dwordx2 s[0:1], s[4:5], 0x60
	ds_read2_b32 v[3:4], v0 offset1:32
	ds_read2_b32 v[5:6], v15 offset1:32
	ds_read2_b32 v[7:8], v0 offset0:64 offset1:96
	ds_read2_b32 v[9:10], v15 offset0:64 offset1:96
	;; [unrolled: 1-line block ×4, first 2 shown]
	v_add_nc_u32_e32 v16, 0x400, v15
	v_add_nc_u32_e32 v18, 0xc00, v15
	s_waitcnt lgkmcnt(0)
	v_fma_f32 v17, v3, v5, 0
	s_lshl_b64 s[0:1], s[0:1], 2
	v_fmac_f32_e32 v17, v4, v6
	ds_read2_b32 v[3:4], v0 offset0:192 offset1:224
	ds_read2_b32 v[5:6], v15 offset0:192 offset1:224
	v_add_nc_u32_e32 v0, 0x1400, v2
	v_fmac_f32_e32 v17, v7, v9
	v_fmac_f32_e32 v17, v8, v10
	ds_read2_b32 v[7:8], v0 offset1:32
	ds_read2_b32 v[9:10], v16 offset1:32
	v_fmac_f32_e32 v17, v11, v13
	v_fmac_f32_e32 v17, v12, v14
	ds_read2_b32 v[11:12], v0 offset0:64 offset1:96
	ds_read2_b32 v[13:14], v16 offset0:64 offset1:96
	s_waitcnt lgkmcnt(4)
	v_fmac_f32_e32 v17, v3, v5
	v_fmac_f32_e32 v17, v4, v6
	ds_read2_b32 v[3:4], v0 offset0:128 offset1:160
	ds_read2_b32 v[5:6], v16 offset0:128 offset1:160
	s_waitcnt lgkmcnt(4)
	v_fmac_f32_e32 v17, v7, v9
	v_fmac_f32_e32 v17, v8, v10
	ds_read2_b32 v[7:8], v0 offset0:192 offset1:224
	ds_read2_b32 v[9:10], v16 offset0:192 offset1:224
	v_add_nc_u32_e32 v0, 0x1800, v2
	v_add_nc_u32_e32 v16, 0x800, v15
	s_waitcnt lgkmcnt(4)
	v_fmac_f32_e32 v17, v11, v13
	v_fmac_f32_e32 v17, v12, v14
	ds_read2_b32 v[11:12], v0 offset1:32
	ds_read2_b32 v[13:14], v16 offset1:32
	s_waitcnt lgkmcnt(4)
	v_fmac_f32_e32 v17, v3, v5
	v_fmac_f32_e32 v17, v4, v6
	ds_read2_b32 v[3:4], v0 offset0:64 offset1:96
	ds_read2_b32 v[5:6], v16 offset0:64 offset1:96
	s_waitcnt lgkmcnt(4)
	v_fmac_f32_e32 v17, v7, v9
	v_fmac_f32_e32 v17, v8, v10
	ds_read2_b32 v[7:8], v0 offset0:128 offset1:160
	ds_read2_b32 v[9:10], v16 offset0:128 offset1:160
	;; [unrolled: 5-line block ×3, first 2 shown]
	v_add_nc_u32_e32 v0, 0x1c00, v2
	v_mad_u64_u32 v[15:16], null, s2, v1, 0
	s_waitcnt lgkmcnt(4)
	v_fmac_f32_e32 v17, v3, v5
	s_add_u32 s2, s18, s0
	v_fmac_f32_e32 v17, v4, v6
	ds_read2_b32 v[3:4], v0 offset1:32
	ds_read2_b32 v[5:6], v18 offset1:32
	s_waitcnt lgkmcnt(4)
	v_fmac_f32_e32 v17, v7, v9
	v_fmac_f32_e32 v17, v8, v10
	ds_read2_b32 v[7:8], v0 offset0:64 offset1:96
	ds_read2_b32 v[9:10], v18 offset0:64 offset1:96
	s_waitcnt lgkmcnt(4)
	v_fmac_f32_e32 v17, v11, v13
	v_fmac_f32_e32 v17, v12, v14
	ds_read2_b32 v[11:12], v0 offset0:128 offset1:160
	ds_read2_b32 v[13:14], v18 offset0:128 offset1:160
	;; [unrolled: 5-line block ×3, first 2 shown]
	v_mov_b32_e32 v0, v16
	s_waitcnt lgkmcnt(4)
	v_fmac_f32_e32 v17, v7, v9
	v_mad_u64_u32 v[0:1], null, s3, v1, v[0:1]
	s_addc_u32 s3, s19, s1
	v_fmac_f32_e32 v17, v8, v10
	s_lshl_b64 s[0:1], s[6:7], 2
	s_add_u32 s0, s2, s0
	s_addc_u32 s1, s3, s1
	s_waitcnt lgkmcnt(2)
	v_fmac_f32_e32 v17, v11, v13
	v_mov_b32_e32 v16, v0
	v_fmac_f32_e32 v17, v12, v14
	v_lshlrev_b64 v[0:1], 2, v[15:16]
	s_waitcnt lgkmcnt(0)
	v_fmac_f32_e32 v17, v3, v5
	v_add_co_u32 v0, vcc_lo, s0, v0
	v_add_co_ci_u32_e64 v1, null, s1, v1, vcc_lo
	v_fmac_f32_e32 v17, v4, v6
	v_add_co_u32 v0, vcc_lo, v0, v2
	v_add_co_ci_u32_e64 v1, null, 0, v1, vcc_lo
	v_mul_f32_e32 v3, s28, v17
	flat_store_dword v[0:1], v3
.LBB154_15:
	s_endpgm
	.section	.rodata,"a",@progbits
	.p2align	6, 0x0
	.amdhsa_kernel _ZL23rocblas_trmm_rTx_kernelILi32ELb1EfPKfKS1_KPfEv13rocblas_fill_17rocblas_diagonal_iiT2_lPT3_llS9_llPT4_lli
		.amdhsa_group_segment_fixed_size 8192
		.amdhsa_private_segment_fixed_size 0
		.amdhsa_kernarg_size 108
		.amdhsa_user_sgpr_count 6
		.amdhsa_user_sgpr_private_segment_buffer 1
		.amdhsa_user_sgpr_dispatch_ptr 0
		.amdhsa_user_sgpr_queue_ptr 0
		.amdhsa_user_sgpr_kernarg_segment_ptr 1
		.amdhsa_user_sgpr_dispatch_id 0
		.amdhsa_user_sgpr_flat_scratch_init 0
		.amdhsa_user_sgpr_private_segment_size 0
		.amdhsa_wavefront_size32 1
		.amdhsa_uses_dynamic_stack 0
		.amdhsa_system_sgpr_private_segment_wavefront_offset 0
		.amdhsa_system_sgpr_workgroup_id_x 1
		.amdhsa_system_sgpr_workgroup_id_y 0
		.amdhsa_system_sgpr_workgroup_id_z 1
		.amdhsa_system_sgpr_workgroup_info 0
		.amdhsa_system_vgpr_workitem_id 1
		.amdhsa_next_free_vgpr 19
		.amdhsa_next_free_sgpr 29
		.amdhsa_reserve_vcc 1
		.amdhsa_reserve_flat_scratch 0
		.amdhsa_float_round_mode_32 0
		.amdhsa_float_round_mode_16_64 0
		.amdhsa_float_denorm_mode_32 3
		.amdhsa_float_denorm_mode_16_64 3
		.amdhsa_dx10_clamp 1
		.amdhsa_ieee_mode 1
		.amdhsa_fp16_overflow 0
		.amdhsa_workgroup_processor_mode 1
		.amdhsa_memory_ordered 1
		.amdhsa_forward_progress 1
		.amdhsa_shared_vgpr_count 0
		.amdhsa_exception_fp_ieee_invalid_op 0
		.amdhsa_exception_fp_denorm_src 0
		.amdhsa_exception_fp_ieee_div_zero 0
		.amdhsa_exception_fp_ieee_overflow 0
		.amdhsa_exception_fp_ieee_underflow 0
		.amdhsa_exception_fp_ieee_inexact 0
		.amdhsa_exception_int_div_zero 0
	.end_amdhsa_kernel
	.section	.text._ZL23rocblas_trmm_rTx_kernelILi32ELb1EfPKfKS1_KPfEv13rocblas_fill_17rocblas_diagonal_iiT2_lPT3_llS9_llPT4_lli,"axG",@progbits,_ZL23rocblas_trmm_rTx_kernelILi32ELb1EfPKfKS1_KPfEv13rocblas_fill_17rocblas_diagonal_iiT2_lPT3_llS9_llPT4_lli,comdat
.Lfunc_end154:
	.size	_ZL23rocblas_trmm_rTx_kernelILi32ELb1EfPKfKS1_KPfEv13rocblas_fill_17rocblas_diagonal_iiT2_lPT3_llS9_llPT4_lli, .Lfunc_end154-_ZL23rocblas_trmm_rTx_kernelILi32ELb1EfPKfKS1_KPfEv13rocblas_fill_17rocblas_diagonal_iiT2_lPT3_llS9_llPT4_lli
                                        ; -- End function
	.set _ZL23rocblas_trmm_rTx_kernelILi32ELb1EfPKfKS1_KPfEv13rocblas_fill_17rocblas_diagonal_iiT2_lPT3_llS9_llPT4_lli.num_vgpr, 19
	.set _ZL23rocblas_trmm_rTx_kernelILi32ELb1EfPKfKS1_KPfEv13rocblas_fill_17rocblas_diagonal_iiT2_lPT3_llS9_llPT4_lli.num_agpr, 0
	.set _ZL23rocblas_trmm_rTx_kernelILi32ELb1EfPKfKS1_KPfEv13rocblas_fill_17rocblas_diagonal_iiT2_lPT3_llS9_llPT4_lli.numbered_sgpr, 29
	.set _ZL23rocblas_trmm_rTx_kernelILi32ELb1EfPKfKS1_KPfEv13rocblas_fill_17rocblas_diagonal_iiT2_lPT3_llS9_llPT4_lli.num_named_barrier, 0
	.set _ZL23rocblas_trmm_rTx_kernelILi32ELb1EfPKfKS1_KPfEv13rocblas_fill_17rocblas_diagonal_iiT2_lPT3_llS9_llPT4_lli.private_seg_size, 0
	.set _ZL23rocblas_trmm_rTx_kernelILi32ELb1EfPKfKS1_KPfEv13rocblas_fill_17rocblas_diagonal_iiT2_lPT3_llS9_llPT4_lli.uses_vcc, 1
	.set _ZL23rocblas_trmm_rTx_kernelILi32ELb1EfPKfKS1_KPfEv13rocblas_fill_17rocblas_diagonal_iiT2_lPT3_llS9_llPT4_lli.uses_flat_scratch, 0
	.set _ZL23rocblas_trmm_rTx_kernelILi32ELb1EfPKfKS1_KPfEv13rocblas_fill_17rocblas_diagonal_iiT2_lPT3_llS9_llPT4_lli.has_dyn_sized_stack, 0
	.set _ZL23rocblas_trmm_rTx_kernelILi32ELb1EfPKfKS1_KPfEv13rocblas_fill_17rocblas_diagonal_iiT2_lPT3_llS9_llPT4_lli.has_recursion, 0
	.set _ZL23rocblas_trmm_rTx_kernelILi32ELb1EfPKfKS1_KPfEv13rocblas_fill_17rocblas_diagonal_iiT2_lPT3_llS9_llPT4_lli.has_indirect_call, 0
	.section	.AMDGPU.csdata,"",@progbits
; Kernel info:
; codeLenInByte = 1224
; TotalNumSgprs: 31
; NumVgprs: 19
; ScratchSize: 0
; MemoryBound: 0
; FloatMode: 240
; IeeeMode: 1
; LDSByteSize: 8192 bytes/workgroup (compile time only)
; SGPRBlocks: 0
; VGPRBlocks: 2
; NumSGPRsForWavesPerEU: 31
; NumVGPRsForWavesPerEU: 19
; Occupancy: 16
; WaveLimiterHint : 1
; COMPUTE_PGM_RSRC2:SCRATCH_EN: 0
; COMPUTE_PGM_RSRC2:USER_SGPR: 6
; COMPUTE_PGM_RSRC2:TRAP_HANDLER: 0
; COMPUTE_PGM_RSRC2:TGID_X_EN: 1
; COMPUTE_PGM_RSRC2:TGID_Y_EN: 0
; COMPUTE_PGM_RSRC2:TGID_Z_EN: 1
; COMPUTE_PGM_RSRC2:TIDIG_COMP_CNT: 1
	.section	.text._ZL23rocblas_trmm_rTx_kernelILi32ELb1EffKPKfKPfEv13rocblas_fill_17rocblas_diagonal_iiT2_lPT3_llS9_llPT4_lli,"axG",@progbits,_ZL23rocblas_trmm_rTx_kernelILi32ELb1EffKPKfKPfEv13rocblas_fill_17rocblas_diagonal_iiT2_lPT3_llS9_llPT4_lli,comdat
	.globl	_ZL23rocblas_trmm_rTx_kernelILi32ELb1EffKPKfKPfEv13rocblas_fill_17rocblas_diagonal_iiT2_lPT3_llS9_llPT4_lli ; -- Begin function _ZL23rocblas_trmm_rTx_kernelILi32ELb1EffKPKfKPfEv13rocblas_fill_17rocblas_diagonal_iiT2_lPT3_llS9_llPT4_lli
	.p2align	8
	.type	_ZL23rocblas_trmm_rTx_kernelILi32ELb1EffKPKfKPfEv13rocblas_fill_17rocblas_diagonal_iiT2_lPT3_llS9_llPT4_lli,@function
_ZL23rocblas_trmm_rTx_kernelILi32ELb1EffKPKfKPfEv13rocblas_fill_17rocblas_diagonal_iiT2_lPT3_llS9_llPT4_lli: ; @_ZL23rocblas_trmm_rTx_kernelILi32ELb1EffKPKfKPfEv13rocblas_fill_17rocblas_diagonal_iiT2_lPT3_llS9_llPT4_lli
; %bb.0:
	s_load_dword s30, s[4:5], 0x10
	s_waitcnt lgkmcnt(0)
	v_cmp_eq_f32_e64 s1, s30, 0
	s_and_b32 vcc_lo, exec_lo, s1
	s_mov_b32 s1, 0
	s_cbranch_vccnz .LBB155_15
; %bb.1:
	s_clause 0x1
	s_load_dwordx16 s[8:23], s[4:5], 0x20
	s_load_dwordx4 s[24:27], s[4:5], 0x0
	s_mov_b32 s0, s7
	v_lshlrev_b32_e32 v2, 5, v1
	s_lshl_b64 s[28:29], s[0:1], 3
	v_mov_b32_e32 v4, 0
	v_add_lshl_u32 v3, v2, v0, 2
	v_lshlrev_b32_e32 v2, 2, v0
	s_waitcnt lgkmcnt(0)
	s_add_u32 s0, s14, s28
	s_addc_u32 s1, s15, s29
	s_add_u32 s2, s20, s28
	s_addc_u32 s3, s21, s29
	s_load_dwordx2 s[14:15], s[0:1], 0x0
	s_load_dwordx2 s[2:3], s[2:3], 0x0
	v_cmp_gt_i32_e32 vcc_lo, s27, v1
	v_cmp_gt_i32_e64 s0, s27, v0
	ds_write2st64_b32 v3, v4, v4 offset1:16
	s_and_b32 s0, vcc_lo, s0
	s_and_saveexec_b32 s1, s0
	s_cbranch_execz .LBB155_3
; %bb.2:
	s_add_u32 s8, s8, s28
	s_addc_u32 s9, s9, s29
	v_mad_u64_u32 v[4:5], null, s10, v1, 0
	s_load_dwordx2 s[8:9], s[8:9], 0x0
	v_mad_u64_u32 v[5:6], null, s11, v1, v[5:6]
	s_lshl_b64 s[10:11], s[12:13], 2
	v_lshlrev_b64 v[4:5], 2, v[4:5]
	s_waitcnt lgkmcnt(0)
	s_add_u32 s0, s8, s10
	s_addc_u32 s7, s9, s11
	v_add_co_u32 v4, s0, s0, v4
	v_add_co_ci_u32_e64 v5, null, s7, v5, s0
	v_add_co_u32 v4, s0, v4, v2
	v_add_co_ci_u32_e64 v5, null, 0, v5, s0
	flat_load_dword v4, v[4:5]
	s_waitcnt vmcnt(0) lgkmcnt(0)
	ds_write_b32 v3, v4
.LBB155_3:
	s_or_b32 exec_lo, exec_lo, s1
	s_add_i32 s0, s26, -1
	s_ashr_i32 s1, s0, 31
	s_lshr_b32 s1, s1, 27
	s_add_i32 s0, s0, s1
	s_and_b32 s1, s0, 0xffffffe0
	s_ashr_i32 s0, s0, 5
	s_sub_i32 s1, s26, s1
	s_cmp_ge_i32 s6, s0
	s_cselect_b32 s0, s1, 32
	s_lshl_b32 s6, s6, 5
	v_cmp_gt_i32_e64 s0, s0, v0
	s_ashr_i32 s7, s6, 31
	s_and_b32 s0, vcc_lo, s0
	s_and_saveexec_b32 s1, s0
	s_cbranch_execz .LBB155_5
; %bb.4:
	v_mad_u64_u32 v[4:5], null, s16, v1, 0
	s_lshl_b64 s[8:9], s[18:19], 2
	s_waitcnt lgkmcnt(0)
	s_add_u32 s10, s14, s8
	s_addc_u32 s11, s15, s9
	s_lshl_b64 s[8:9], s[6:7], 2
	s_add_u32 s8, s10, s8
	v_mad_u64_u32 v[5:6], null, s17, v1, v[5:6]
	s_addc_u32 s9, s11, s9
	v_lshlrev_b64 v[4:5], 2, v[4:5]
	v_add_co_u32 v4, vcc_lo, s8, v4
	v_add_co_ci_u32_e64 v5, null, s9, v5, vcc_lo
	v_add_co_u32 v4, vcc_lo, v4, v2
	v_add_co_ci_u32_e64 v5, null, 0, v5, vcc_lo
	flat_load_dword v4, v[4:5]
	v_add_nc_u32_e32 v5, 0x1000, v3
	s_waitcnt vmcnt(0) lgkmcnt(0)
	ds_write_b32 v5, v4
.LBB155_5:
	s_or_b32 exec_lo, exec_lo, s1
	v_cmp_eq_u32_e32 vcc_lo, v1, v0
	s_cmpk_eq_i32 s25, 0x84
	s_cselect_b32 s1, -1, 0
	s_and_b32 s8, vcc_lo, s1
	s_and_saveexec_b32 s1, s8
; %bb.6:
	v_mov_b32_e32 v4, 1.0
	ds_write_b32 v3, v4
; %bb.7:
	s_or_b32 exec_lo, exec_lo, s1
	s_cmpk_lg_i32 s24, 0x79
	s_cbranch_scc0 .LBB155_9
; %bb.8:
	v_cmp_lt_u32_e32 vcc_lo, v0, v1
	s_and_b32 s1, vcc_lo, exec_lo
	s_cbranch_execz .LBB155_10
	s_branch .LBB155_11
.LBB155_9:
	s_mov_b32 s1, 0
.LBB155_10:
	v_cmp_gt_u32_e32 vcc_lo, v0, v1
	s_andn2_b32 s1, s1, exec_lo
	s_and_b32 s8, vcc_lo, exec_lo
	s_or_b32 s1, s1, s8
.LBB155_11:
	s_and_saveexec_b32 s8, s1
; %bb.12:
	v_mov_b32_e32 v0, 0
	ds_write_b32 v3, v0
; %bb.13:
	s_or_b32 exec_lo, exec_lo, s8
	s_waitcnt lgkmcnt(0)
	s_barrier
	buffer_gl0_inv
	s_and_saveexec_b32 s1, s0
	s_cbranch_execz .LBB155_15
; %bb.14:
	v_add_nc_u32_e32 v0, 0x1000, v2
	v_lshlrev_b32_e32 v15, 2, v1
	s_load_dwordx2 s[0:1], s[4:5], 0x60
	ds_read2_b32 v[3:4], v0 offset1:32
	ds_read2_b32 v[5:6], v15 offset1:32
	ds_read2_b32 v[7:8], v0 offset0:64 offset1:96
	ds_read2_b32 v[9:10], v15 offset0:64 offset1:96
	;; [unrolled: 1-line block ×4, first 2 shown]
	v_add_nc_u32_e32 v16, 0x400, v15
	v_add_nc_u32_e32 v18, 0xc00, v15
	s_waitcnt lgkmcnt(0)
	v_fma_f32 v17, v3, v5, 0
	s_lshl_b64 s[0:1], s[0:1], 2
	s_add_u32 s2, s2, s0
	s_addc_u32 s3, s3, s1
	v_fmac_f32_e32 v17, v4, v6
	ds_read2_b32 v[3:4], v0 offset0:192 offset1:224
	ds_read2_b32 v[5:6], v15 offset0:192 offset1:224
	v_add_nc_u32_e32 v0, 0x1400, v2
	s_lshl_b64 s[0:1], s[6:7], 2
	s_add_u32 s0, s2, s0
	v_fmac_f32_e32 v17, v7, v9
	s_addc_u32 s1, s3, s1
	v_fmac_f32_e32 v17, v8, v10
	ds_read2_b32 v[7:8], v0 offset1:32
	ds_read2_b32 v[9:10], v16 offset1:32
	v_fmac_f32_e32 v17, v11, v13
	v_fmac_f32_e32 v17, v12, v14
	ds_read2_b32 v[11:12], v0 offset0:64 offset1:96
	ds_read2_b32 v[13:14], v16 offset0:64 offset1:96
	s_waitcnt lgkmcnt(4)
	v_fmac_f32_e32 v17, v3, v5
	v_fmac_f32_e32 v17, v4, v6
	ds_read2_b32 v[3:4], v0 offset0:128 offset1:160
	ds_read2_b32 v[5:6], v16 offset0:128 offset1:160
	s_waitcnt lgkmcnt(4)
	v_fmac_f32_e32 v17, v7, v9
	v_fmac_f32_e32 v17, v8, v10
	ds_read2_b32 v[7:8], v0 offset0:192 offset1:224
	ds_read2_b32 v[9:10], v16 offset0:192 offset1:224
	v_add_nc_u32_e32 v0, 0x1800, v2
	v_add_nc_u32_e32 v16, 0x800, v15
	s_waitcnt lgkmcnt(4)
	v_fmac_f32_e32 v17, v11, v13
	v_fmac_f32_e32 v17, v12, v14
	ds_read2_b32 v[11:12], v0 offset1:32
	ds_read2_b32 v[13:14], v16 offset1:32
	s_waitcnt lgkmcnt(4)
	v_fmac_f32_e32 v17, v3, v5
	v_fmac_f32_e32 v17, v4, v6
	ds_read2_b32 v[3:4], v0 offset0:64 offset1:96
	ds_read2_b32 v[5:6], v16 offset0:64 offset1:96
	s_waitcnt lgkmcnt(4)
	v_fmac_f32_e32 v17, v7, v9
	v_fmac_f32_e32 v17, v8, v10
	ds_read2_b32 v[7:8], v0 offset0:128 offset1:160
	ds_read2_b32 v[9:10], v16 offset0:128 offset1:160
	;; [unrolled: 5-line block ×3, first 2 shown]
	v_add_nc_u32_e32 v0, 0x1c00, v2
	v_mad_u64_u32 v[15:16], null, s22, v1, 0
	s_waitcnt lgkmcnt(4)
	v_fmac_f32_e32 v17, v3, v5
	v_fmac_f32_e32 v17, v4, v6
	ds_read2_b32 v[3:4], v0 offset1:32
	ds_read2_b32 v[5:6], v18 offset1:32
	s_waitcnt lgkmcnt(4)
	v_fmac_f32_e32 v17, v7, v9
	v_fmac_f32_e32 v17, v8, v10
	ds_read2_b32 v[7:8], v0 offset0:64 offset1:96
	ds_read2_b32 v[9:10], v18 offset0:64 offset1:96
	s_waitcnt lgkmcnt(4)
	v_fmac_f32_e32 v17, v11, v13
	v_fmac_f32_e32 v17, v12, v14
	ds_read2_b32 v[11:12], v0 offset0:128 offset1:160
	ds_read2_b32 v[13:14], v18 offset0:128 offset1:160
	;; [unrolled: 5-line block ×3, first 2 shown]
	v_mov_b32_e32 v0, v16
	s_waitcnt lgkmcnt(4)
	v_fmac_f32_e32 v17, v7, v9
	v_mad_u64_u32 v[0:1], null, s23, v1, v[0:1]
	v_fmac_f32_e32 v17, v8, v10
	v_mov_b32_e32 v16, v0
	s_waitcnt lgkmcnt(2)
	v_fmac_f32_e32 v17, v11, v13
	v_lshlrev_b64 v[0:1], 2, v[15:16]
	v_fmac_f32_e32 v17, v12, v14
	v_add_co_u32 v0, vcc_lo, s0, v0
	s_waitcnt lgkmcnt(0)
	v_fmac_f32_e32 v17, v3, v5
	v_add_co_ci_u32_e64 v1, null, s1, v1, vcc_lo
	v_add_co_u32 v0, vcc_lo, v0, v2
	v_fmac_f32_e32 v17, v4, v6
	v_add_co_ci_u32_e64 v1, null, 0, v1, vcc_lo
	v_mul_f32_e32 v3, s30, v17
	flat_store_dword v[0:1], v3
.LBB155_15:
	s_endpgm
	.section	.rodata,"a",@progbits
	.p2align	6, 0x0
	.amdhsa_kernel _ZL23rocblas_trmm_rTx_kernelILi32ELb1EffKPKfKPfEv13rocblas_fill_17rocblas_diagonal_iiT2_lPT3_llS9_llPT4_lli
		.amdhsa_group_segment_fixed_size 8192
		.amdhsa_private_segment_fixed_size 0
		.amdhsa_kernarg_size 108
		.amdhsa_user_sgpr_count 6
		.amdhsa_user_sgpr_private_segment_buffer 1
		.amdhsa_user_sgpr_dispatch_ptr 0
		.amdhsa_user_sgpr_queue_ptr 0
		.amdhsa_user_sgpr_kernarg_segment_ptr 1
		.amdhsa_user_sgpr_dispatch_id 0
		.amdhsa_user_sgpr_flat_scratch_init 0
		.amdhsa_user_sgpr_private_segment_size 0
		.amdhsa_wavefront_size32 1
		.amdhsa_uses_dynamic_stack 0
		.amdhsa_system_sgpr_private_segment_wavefront_offset 0
		.amdhsa_system_sgpr_workgroup_id_x 1
		.amdhsa_system_sgpr_workgroup_id_y 0
		.amdhsa_system_sgpr_workgroup_id_z 1
		.amdhsa_system_sgpr_workgroup_info 0
		.amdhsa_system_vgpr_workitem_id 1
		.amdhsa_next_free_vgpr 19
		.amdhsa_next_free_sgpr 31
		.amdhsa_reserve_vcc 1
		.amdhsa_reserve_flat_scratch 0
		.amdhsa_float_round_mode_32 0
		.amdhsa_float_round_mode_16_64 0
		.amdhsa_float_denorm_mode_32 3
		.amdhsa_float_denorm_mode_16_64 3
		.amdhsa_dx10_clamp 1
		.amdhsa_ieee_mode 1
		.amdhsa_fp16_overflow 0
		.amdhsa_workgroup_processor_mode 1
		.amdhsa_memory_ordered 1
		.amdhsa_forward_progress 1
		.amdhsa_shared_vgpr_count 0
		.amdhsa_exception_fp_ieee_invalid_op 0
		.amdhsa_exception_fp_denorm_src 0
		.amdhsa_exception_fp_ieee_div_zero 0
		.amdhsa_exception_fp_ieee_overflow 0
		.amdhsa_exception_fp_ieee_underflow 0
		.amdhsa_exception_fp_ieee_inexact 0
		.amdhsa_exception_int_div_zero 0
	.end_amdhsa_kernel
	.section	.text._ZL23rocblas_trmm_rTx_kernelILi32ELb1EffKPKfKPfEv13rocblas_fill_17rocblas_diagonal_iiT2_lPT3_llS9_llPT4_lli,"axG",@progbits,_ZL23rocblas_trmm_rTx_kernelILi32ELb1EffKPKfKPfEv13rocblas_fill_17rocblas_diagonal_iiT2_lPT3_llS9_llPT4_lli,comdat
.Lfunc_end155:
	.size	_ZL23rocblas_trmm_rTx_kernelILi32ELb1EffKPKfKPfEv13rocblas_fill_17rocblas_diagonal_iiT2_lPT3_llS9_llPT4_lli, .Lfunc_end155-_ZL23rocblas_trmm_rTx_kernelILi32ELb1EffKPKfKPfEv13rocblas_fill_17rocblas_diagonal_iiT2_lPT3_llS9_llPT4_lli
                                        ; -- End function
	.set _ZL23rocblas_trmm_rTx_kernelILi32ELb1EffKPKfKPfEv13rocblas_fill_17rocblas_diagonal_iiT2_lPT3_llS9_llPT4_lli.num_vgpr, 19
	.set _ZL23rocblas_trmm_rTx_kernelILi32ELb1EffKPKfKPfEv13rocblas_fill_17rocblas_diagonal_iiT2_lPT3_llS9_llPT4_lli.num_agpr, 0
	.set _ZL23rocblas_trmm_rTx_kernelILi32ELb1EffKPKfKPfEv13rocblas_fill_17rocblas_diagonal_iiT2_lPT3_llS9_llPT4_lli.numbered_sgpr, 31
	.set _ZL23rocblas_trmm_rTx_kernelILi32ELb1EffKPKfKPfEv13rocblas_fill_17rocblas_diagonal_iiT2_lPT3_llS9_llPT4_lli.num_named_barrier, 0
	.set _ZL23rocblas_trmm_rTx_kernelILi32ELb1EffKPKfKPfEv13rocblas_fill_17rocblas_diagonal_iiT2_lPT3_llS9_llPT4_lli.private_seg_size, 0
	.set _ZL23rocblas_trmm_rTx_kernelILi32ELb1EffKPKfKPfEv13rocblas_fill_17rocblas_diagonal_iiT2_lPT3_llS9_llPT4_lli.uses_vcc, 1
	.set _ZL23rocblas_trmm_rTx_kernelILi32ELb1EffKPKfKPfEv13rocblas_fill_17rocblas_diagonal_iiT2_lPT3_llS9_llPT4_lli.uses_flat_scratch, 0
	.set _ZL23rocblas_trmm_rTx_kernelILi32ELb1EffKPKfKPfEv13rocblas_fill_17rocblas_diagonal_iiT2_lPT3_llS9_llPT4_lli.has_dyn_sized_stack, 0
	.set _ZL23rocblas_trmm_rTx_kernelILi32ELb1EffKPKfKPfEv13rocblas_fill_17rocblas_diagonal_iiT2_lPT3_llS9_llPT4_lli.has_recursion, 0
	.set _ZL23rocblas_trmm_rTx_kernelILi32ELb1EffKPKfKPfEv13rocblas_fill_17rocblas_diagonal_iiT2_lPT3_llS9_llPT4_lli.has_indirect_call, 0
	.section	.AMDGPU.csdata,"",@progbits
; Kernel info:
; codeLenInByte = 1184
; TotalNumSgprs: 33
; NumVgprs: 19
; ScratchSize: 0
; MemoryBound: 0
; FloatMode: 240
; IeeeMode: 1
; LDSByteSize: 8192 bytes/workgroup (compile time only)
; SGPRBlocks: 0
; VGPRBlocks: 2
; NumSGPRsForWavesPerEU: 33
; NumVGPRsForWavesPerEU: 19
; Occupancy: 16
; WaveLimiterHint : 1
; COMPUTE_PGM_RSRC2:SCRATCH_EN: 0
; COMPUTE_PGM_RSRC2:USER_SGPR: 6
; COMPUTE_PGM_RSRC2:TRAP_HANDLER: 0
; COMPUTE_PGM_RSRC2:TGID_X_EN: 1
; COMPUTE_PGM_RSRC2:TGID_Y_EN: 0
; COMPUTE_PGM_RSRC2:TGID_Z_EN: 1
; COMPUTE_PGM_RSRC2:TIDIG_COMP_CNT: 1
	.section	.text._ZL23rocblas_trmm_lNx_kernelILi32EdPKdKS1_KPdEv13rocblas_fill_17rocblas_diagonal_iiT1_lPT2_llS9_llPT3_lli,"axG",@progbits,_ZL23rocblas_trmm_lNx_kernelILi32EdPKdKS1_KPdEv13rocblas_fill_17rocblas_diagonal_iiT1_lPT2_llS9_llPT3_lli,comdat
	.globl	_ZL23rocblas_trmm_lNx_kernelILi32EdPKdKS1_KPdEv13rocblas_fill_17rocblas_diagonal_iiT1_lPT2_llS9_llPT3_lli ; -- Begin function _ZL23rocblas_trmm_lNx_kernelILi32EdPKdKS1_KPdEv13rocblas_fill_17rocblas_diagonal_iiT1_lPT2_llS9_llPT3_lli
	.p2align	8
	.type	_ZL23rocblas_trmm_lNx_kernelILi32EdPKdKS1_KPdEv13rocblas_fill_17rocblas_diagonal_iiT1_lPT2_llS9_llPT3_lli,@function
_ZL23rocblas_trmm_lNx_kernelILi32EdPKdKS1_KPdEv13rocblas_fill_17rocblas_diagonal_iiT1_lPT2_llS9_llPT3_lli: ; @_ZL23rocblas_trmm_lNx_kernelILi32EdPKdKS1_KPdEv13rocblas_fill_17rocblas_diagonal_iiT1_lPT2_llS9_llPT3_lli
; %bb.0:
	s_load_dwordx16 s[8:23], s[4:5], 0x10
	s_waitcnt lgkmcnt(0)
	s_mul_i32 s0, s11, s7
	s_mul_hi_u32 s1, s10, s7
	s_add_i32 s1, s1, s0
	s_mul_i32 s0, s10, s7
	s_lshl_b64 s[0:1], s[0:1], 3
	s_add_u32 s0, s8, s0
	s_addc_u32 s1, s9, s1
	s_load_dwordx2 s[24:25], s[0:1], 0x0
	s_waitcnt lgkmcnt(0)
	v_cmp_eq_f64_e64 s0, s[24:25], 0
	s_and_b32 vcc_lo, exec_lo, s0
	s_cbranch_vccnz .LBB156_15
; %bb.1:
	s_clause 0x1
	s_load_dwordx4 s[0:3], s[4:5], 0x50
	s_load_dwordx4 s[8:11], s[4:5], 0x0
	s_mov_b32 s28, s7
	s_mov_b32 s29, 0
	v_lshlrev_b32_e32 v3, 5, v1
	s_lshl_b64 s[30:31], s[28:29], 3
	s_mov_b32 s28, s29
	s_add_u32 s18, s18, s30
	s_addc_u32 s19, s19, s31
	v_mov_b32_e32 v5, s28
	v_add_lshl_u32 v4, v3, v0, 3
	v_mov_b32_e32 v6, s29
	v_lshlrev_b32_e32 v2, 3, v0
	s_waitcnt lgkmcnt(0)
	s_add_u32 s0, s0, s30
	s_addc_u32 s1, s1, s31
	s_load_dwordx2 s[26:27], s[18:19], 0x0
	s_load_dwordx2 s[18:19], s[0:1], 0x0
	v_cmp_gt_i32_e64 s0, s10, v1
	v_cmp_gt_i32_e32 vcc_lo, s10, v0
	ds_write2st64_b64 v4, v[5:6], v[5:6] offset1:16
	s_and_b32 s0, s0, vcc_lo
	s_and_saveexec_b32 s1, s0
	s_cbranch_execz .LBB156_3
; %bb.2:
	s_add_u32 s12, s12, s30
	s_addc_u32 s13, s13, s31
	v_mad_u64_u32 v[5:6], null, s14, v1, 0
	s_load_dwordx2 s[12:13], s[12:13], 0x0
	v_mad_u64_u32 v[6:7], null, s15, v1, v[6:7]
	s_lshl_b64 s[14:15], s[16:17], 3
	v_lshlrev_b64 v[5:6], 3, v[5:6]
	s_waitcnt lgkmcnt(0)
	s_add_u32 s0, s12, s14
	s_addc_u32 s7, s13, s15
	v_add_co_u32 v5, s0, s0, v5
	v_add_co_ci_u32_e64 v6, null, s7, v6, s0
	v_add_co_u32 v5, s0, v5, v2
	v_add_co_ci_u32_e64 v6, null, 0, v6, s0
	flat_load_dwordx2 v[5:6], v[5:6]
	s_waitcnt vmcnt(0) lgkmcnt(0)
	ds_write_b64 v4, v[5:6]
.LBB156_3:
	s_or_b32 exec_lo, exec_lo, s1
	s_add_i32 s0, s11, -1
	s_ashr_i32 s1, s0, 31
	s_lshr_b32 s1, s1, 27
	s_add_i32 s0, s0, s1
	s_and_b32 s1, s0, 0xffffffe0
	s_ashr_i32 s0, s0, 5
	s_sub_i32 s1, s11, s1
	s_cmp_ge_i32 s6, s0
	s_cselect_b32 s0, s1, 32
	s_lshl_b32 s1, s6, 5
	v_cmp_gt_i32_e64 s0, s0, v1
	s_ashr_i32 s6, s1, 31
	s_and_b32 s0, vcc_lo, s0
	s_and_saveexec_b32 s7, s0
	s_cbranch_execz .LBB156_5
; %bb.4:
	v_mad_u64_u32 v[5:6], null, s20, v1, 0
	s_lshl_b64 s[10:11], s[22:23], 3
	s_mul_i32 s12, s20, s6
	s_mul_hi_u32 s13, s20, s1
	s_waitcnt lgkmcnt(0)
	s_add_u32 s15, s26, s10
	s_mul_i32 s14, s21, s1
	s_addc_u32 s16, s27, s11
	v_mad_u64_u32 v[6:7], null, s21, v1, v[6:7]
	s_add_i32 s11, s13, s12
	s_mul_i32 s10, s20, s1
	s_add_i32 s11, s11, s14
	v_add_nc_u32_e32 v7, 0x2000, v4
	s_lshl_b64 s[10:11], s[10:11], 3
	s_add_u32 s10, s15, s10
	v_lshlrev_b64 v[5:6], 3, v[5:6]
	s_addc_u32 s11, s16, s11
	v_add_co_u32 v5, vcc_lo, s10, v5
	v_add_co_ci_u32_e64 v6, null, s11, v6, vcc_lo
	v_add_co_u32 v5, vcc_lo, v5, v2
	v_add_co_ci_u32_e64 v6, null, 0, v6, vcc_lo
	flat_load_dwordx2 v[5:6], v[5:6]
	s_waitcnt vmcnt(0) lgkmcnt(0)
	ds_write_b64 v7, v[5:6]
.LBB156_5:
	s_or_b32 exec_lo, exec_lo, s7
	v_cmp_eq_u32_e32 vcc_lo, v1, v0
	s_cmpk_eq_i32 s9, 0x84
	s_cselect_b32 s7, -1, 0
	s_and_b32 s9, vcc_lo, s7
	s_and_saveexec_b32 s7, s9
; %bb.6:
	v_mov_b32_e32 v5, 0
	v_mov_b32_e32 v6, 0x3ff00000
	ds_write_b64 v4, v[5:6]
; %bb.7:
	s_or_b32 exec_lo, exec_lo, s7
	s_cmpk_lg_i32 s8, 0x79
	s_cbranch_scc0 .LBB156_9
; %bb.8:
	v_cmp_lt_u32_e32 vcc_lo, v0, v1
	s_and_b32 s7, vcc_lo, exec_lo
	s_cbranch_execz .LBB156_10
	s_branch .LBB156_11
.LBB156_9:
	s_mov_b32 s7, 0
.LBB156_10:
	v_cmp_gt_u32_e32 vcc_lo, v0, v1
	s_andn2_b32 s7, s7, exec_lo
	s_and_b32 s8, vcc_lo, exec_lo
	s_or_b32 s7, s7, s8
.LBB156_11:
	s_and_saveexec_b32 s8, s7
; %bb.12:
	v_mov_b32_e32 v5, 0
	v_mov_b32_e32 v6, v5
	ds_write_b64 v4, v[5:6]
; %bb.13:
	s_or_b32 exec_lo, exec_lo, s8
	s_waitcnt lgkmcnt(0)
	s_barrier
	buffer_gl0_inv
	s_and_saveexec_b32 s7, s0
	s_cbranch_execz .LBB156_15
; %bb.14:
	v_lshlrev_b32_e32 v0, 3, v3
	v_add_nc_u32_e32 v17, 0x800, v2
	s_load_dwordx2 s[4:5], s[4:5], 0x60
	s_mul_i32 s0, s2, s6
	ds_read2_b64 v[3:6], v2 offset1:32
	ds_read_b128 v[7:10], v0 offset:8192
	ds_read_b128 v[11:14], v0 offset:8208
	s_mul_hi_u32 s6, s2, s1
	s_waitcnt lgkmcnt(0)
	s_lshl_b64 s[4:5], s[4:5], 3
	v_fma_f64 v[3:4], v[3:4], v[7:8], 0
	s_add_u32 s4, s18, s4
	s_addc_u32 s5, s19, s5
	s_add_i32 s0, s6, s0
	v_fma_f64 v[7:8], v[5:6], v[9:10], v[3:4]
	ds_read2_b64 v[3:6], v2 offset0:64 offset1:96
	s_waitcnt lgkmcnt(0)
	v_fma_f64 v[3:4], v[3:4], v[11:12], v[7:8]
	v_fma_f64 v[15:16], v[5:6], v[13:14], v[3:4]
	ds_read2_b64 v[3:6], v2 offset0:128 offset1:160
	ds_read_b128 v[7:10], v0 offset:8224
	ds_read_b128 v[11:14], v0 offset:8240
	s_waitcnt lgkmcnt(1)
	v_fma_f64 v[3:4], v[3:4], v[7:8], v[15:16]
	v_fma_f64 v[7:8], v[5:6], v[9:10], v[3:4]
	ds_read2_b64 v[3:6], v2 offset0:192 offset1:224
	s_waitcnt lgkmcnt(0)
	v_fma_f64 v[3:4], v[3:4], v[11:12], v[7:8]
	v_fma_f64 v[15:16], v[5:6], v[13:14], v[3:4]
	ds_read2_b64 v[3:6], v17 offset1:32
	ds_read_b128 v[7:10], v0 offset:8256
	ds_read_b128 v[11:14], v0 offset:8272
	s_waitcnt lgkmcnt(1)
	v_fma_f64 v[3:4], v[3:4], v[7:8], v[15:16]
	v_fma_f64 v[7:8], v[5:6], v[9:10], v[3:4]
	ds_read2_b64 v[3:6], v17 offset0:64 offset1:96
	s_waitcnt lgkmcnt(0)
	v_fma_f64 v[3:4], v[3:4], v[11:12], v[7:8]
	v_fma_f64 v[15:16], v[5:6], v[13:14], v[3:4]
	ds_read2_b64 v[3:6], v17 offset0:128 offset1:160
	ds_read_b128 v[7:10], v0 offset:8288
	ds_read_b128 v[11:14], v0 offset:8304
	s_waitcnt lgkmcnt(1)
	v_fma_f64 v[3:4], v[3:4], v[7:8], v[15:16]
	v_fma_f64 v[7:8], v[5:6], v[9:10], v[3:4]
	ds_read2_b64 v[3:6], v17 offset0:192 offset1:224
	v_add_nc_u32_e32 v17, 0x1000, v2
	s_waitcnt lgkmcnt(0)
	v_fma_f64 v[3:4], v[3:4], v[11:12], v[7:8]
	v_fma_f64 v[15:16], v[5:6], v[13:14], v[3:4]
	ds_read2_b64 v[3:6], v17 offset1:32
	ds_read_b128 v[7:10], v0 offset:8320
	ds_read_b128 v[11:14], v0 offset:8336
	s_waitcnt lgkmcnt(1)
	v_fma_f64 v[3:4], v[3:4], v[7:8], v[15:16]
	v_fma_f64 v[7:8], v[5:6], v[9:10], v[3:4]
	ds_read2_b64 v[3:6], v17 offset0:64 offset1:96
	s_waitcnt lgkmcnt(0)
	v_fma_f64 v[3:4], v[3:4], v[11:12], v[7:8]
	v_fma_f64 v[15:16], v[5:6], v[13:14], v[3:4]
	ds_read2_b64 v[3:6], v17 offset0:128 offset1:160
	ds_read_b128 v[7:10], v0 offset:8352
	ds_read_b128 v[11:14], v0 offset:8368
	s_waitcnt lgkmcnt(1)
	v_fma_f64 v[3:4], v[3:4], v[7:8], v[15:16]
	v_fma_f64 v[7:8], v[5:6], v[9:10], v[3:4]
	ds_read2_b64 v[3:6], v17 offset0:192 offset1:224
	v_add_nc_u32_e32 v17, 0x1800, v2
	s_waitcnt lgkmcnt(0)
	v_fma_f64 v[3:4], v[3:4], v[11:12], v[7:8]
	v_fma_f64 v[15:16], v[5:6], v[13:14], v[3:4]
	ds_read2_b64 v[3:6], v17 offset1:32
	ds_read_b128 v[7:10], v0 offset:8384
	ds_read_b128 v[11:14], v0 offset:8400
	s_waitcnt lgkmcnt(1)
	v_fma_f64 v[3:4], v[3:4], v[7:8], v[15:16]
	v_fma_f64 v[7:8], v[5:6], v[9:10], v[3:4]
	ds_read2_b64 v[3:6], v17 offset0:64 offset1:96
	s_waitcnt lgkmcnt(0)
	v_fma_f64 v[3:4], v[3:4], v[11:12], v[7:8]
	v_fma_f64 v[15:16], v[5:6], v[13:14], v[3:4]
	ds_read2_b64 v[3:6], v17 offset0:128 offset1:160
	ds_read_b128 v[7:10], v0 offset:8416
	ds_read_b128 v[11:14], v0 offset:8432
	s_waitcnt lgkmcnt(1)
	v_fma_f64 v[3:4], v[3:4], v[7:8], v[15:16]
	v_fma_f64 v[7:8], v[5:6], v[9:10], v[3:4]
	ds_read2_b64 v[3:6], v17 offset0:192 offset1:224
	s_waitcnt lgkmcnt(0)
	v_fma_f64 v[3:4], v[3:4], v[11:12], v[7:8]
	v_fma_f64 v[3:4], v[5:6], v[13:14], v[3:4]
	v_mad_u64_u32 v[5:6], null, s2, v1, 0
	s_mul_i32 s2, s2, s1
	v_mov_b32_e32 v0, v6
	v_mad_u64_u32 v[0:1], null, s3, v1, v[0:1]
	s_mul_i32 s3, s3, s1
	s_add_i32 s3, s0, s3
	s_lshl_b64 s[0:1], s[2:3], 3
	v_mov_b32_e32 v6, v0
	v_mul_f64 v[0:1], s[24:25], v[3:4]
	s_add_u32 s0, s4, s0
	s_addc_u32 s1, s5, s1
	v_lshlrev_b64 v[3:4], 3, v[5:6]
	v_add_co_u32 v3, vcc_lo, s0, v3
	v_add_co_ci_u32_e64 v4, null, s1, v4, vcc_lo
	v_add_co_u32 v2, vcc_lo, v3, v2
	v_add_co_ci_u32_e64 v3, null, 0, v4, vcc_lo
	flat_store_dwordx2 v[2:3], v[0:1]
.LBB156_15:
	s_endpgm
	.section	.rodata,"a",@progbits
	.p2align	6, 0x0
	.amdhsa_kernel _ZL23rocblas_trmm_lNx_kernelILi32EdPKdKS1_KPdEv13rocblas_fill_17rocblas_diagonal_iiT1_lPT2_llS9_llPT3_lli
		.amdhsa_group_segment_fixed_size 16384
		.amdhsa_private_segment_fixed_size 0
		.amdhsa_kernarg_size 108
		.amdhsa_user_sgpr_count 6
		.amdhsa_user_sgpr_private_segment_buffer 1
		.amdhsa_user_sgpr_dispatch_ptr 0
		.amdhsa_user_sgpr_queue_ptr 0
		.amdhsa_user_sgpr_kernarg_segment_ptr 1
		.amdhsa_user_sgpr_dispatch_id 0
		.amdhsa_user_sgpr_flat_scratch_init 0
		.amdhsa_user_sgpr_private_segment_size 0
		.amdhsa_wavefront_size32 1
		.amdhsa_uses_dynamic_stack 0
		.amdhsa_system_sgpr_private_segment_wavefront_offset 0
		.amdhsa_system_sgpr_workgroup_id_x 1
		.amdhsa_system_sgpr_workgroup_id_y 0
		.amdhsa_system_sgpr_workgroup_id_z 1
		.amdhsa_system_sgpr_workgroup_info 0
		.amdhsa_system_vgpr_workitem_id 1
		.amdhsa_next_free_vgpr 18
		.amdhsa_next_free_sgpr 32
		.amdhsa_reserve_vcc 1
		.amdhsa_reserve_flat_scratch 0
		.amdhsa_float_round_mode_32 0
		.amdhsa_float_round_mode_16_64 0
		.amdhsa_float_denorm_mode_32 3
		.amdhsa_float_denorm_mode_16_64 3
		.amdhsa_dx10_clamp 1
		.amdhsa_ieee_mode 1
		.amdhsa_fp16_overflow 0
		.amdhsa_workgroup_processor_mode 1
		.amdhsa_memory_ordered 1
		.amdhsa_forward_progress 1
		.amdhsa_shared_vgpr_count 0
		.amdhsa_exception_fp_ieee_invalid_op 0
		.amdhsa_exception_fp_denorm_src 0
		.amdhsa_exception_fp_ieee_div_zero 0
		.amdhsa_exception_fp_ieee_overflow 0
		.amdhsa_exception_fp_ieee_underflow 0
		.amdhsa_exception_fp_ieee_inexact 0
		.amdhsa_exception_int_div_zero 0
	.end_amdhsa_kernel
	.section	.text._ZL23rocblas_trmm_lNx_kernelILi32EdPKdKS1_KPdEv13rocblas_fill_17rocblas_diagonal_iiT1_lPT2_llS9_llPT3_lli,"axG",@progbits,_ZL23rocblas_trmm_lNx_kernelILi32EdPKdKS1_KPdEv13rocblas_fill_17rocblas_diagonal_iiT1_lPT2_llS9_llPT3_lli,comdat
.Lfunc_end156:
	.size	_ZL23rocblas_trmm_lNx_kernelILi32EdPKdKS1_KPdEv13rocblas_fill_17rocblas_diagonal_iiT1_lPT2_llS9_llPT3_lli, .Lfunc_end156-_ZL23rocblas_trmm_lNx_kernelILi32EdPKdKS1_KPdEv13rocblas_fill_17rocblas_diagonal_iiT1_lPT2_llS9_llPT3_lli
                                        ; -- End function
	.set _ZL23rocblas_trmm_lNx_kernelILi32EdPKdKS1_KPdEv13rocblas_fill_17rocblas_diagonal_iiT1_lPT2_llS9_llPT3_lli.num_vgpr, 18
	.set _ZL23rocblas_trmm_lNx_kernelILi32EdPKdKS1_KPdEv13rocblas_fill_17rocblas_diagonal_iiT1_lPT2_llS9_llPT3_lli.num_agpr, 0
	.set _ZL23rocblas_trmm_lNx_kernelILi32EdPKdKS1_KPdEv13rocblas_fill_17rocblas_diagonal_iiT1_lPT2_llS9_llPT3_lli.numbered_sgpr, 32
	.set _ZL23rocblas_trmm_lNx_kernelILi32EdPKdKS1_KPdEv13rocblas_fill_17rocblas_diagonal_iiT1_lPT2_llS9_llPT3_lli.num_named_barrier, 0
	.set _ZL23rocblas_trmm_lNx_kernelILi32EdPKdKS1_KPdEv13rocblas_fill_17rocblas_diagonal_iiT1_lPT2_llS9_llPT3_lli.private_seg_size, 0
	.set _ZL23rocblas_trmm_lNx_kernelILi32EdPKdKS1_KPdEv13rocblas_fill_17rocblas_diagonal_iiT1_lPT2_llS9_llPT3_lli.uses_vcc, 1
	.set _ZL23rocblas_trmm_lNx_kernelILi32EdPKdKS1_KPdEv13rocblas_fill_17rocblas_diagonal_iiT1_lPT2_llS9_llPT3_lli.uses_flat_scratch, 0
	.set _ZL23rocblas_trmm_lNx_kernelILi32EdPKdKS1_KPdEv13rocblas_fill_17rocblas_diagonal_iiT1_lPT2_llS9_llPT3_lli.has_dyn_sized_stack, 0
	.set _ZL23rocblas_trmm_lNx_kernelILi32EdPKdKS1_KPdEv13rocblas_fill_17rocblas_diagonal_iiT1_lPT2_llS9_llPT3_lli.has_recursion, 0
	.set _ZL23rocblas_trmm_lNx_kernelILi32EdPKdKS1_KPdEv13rocblas_fill_17rocblas_diagonal_iiT1_lPT2_llS9_llPT3_lli.has_indirect_call, 0
	.section	.AMDGPU.csdata,"",@progbits
; Kernel info:
; codeLenInByte = 1396
; TotalNumSgprs: 34
; NumVgprs: 18
; ScratchSize: 0
; MemoryBound: 0
; FloatMode: 240
; IeeeMode: 1
; LDSByteSize: 16384 bytes/workgroup (compile time only)
; SGPRBlocks: 0
; VGPRBlocks: 2
; NumSGPRsForWavesPerEU: 34
; NumVGPRsForWavesPerEU: 18
; Occupancy: 16
; WaveLimiterHint : 1
; COMPUTE_PGM_RSRC2:SCRATCH_EN: 0
; COMPUTE_PGM_RSRC2:USER_SGPR: 6
; COMPUTE_PGM_RSRC2:TRAP_HANDLER: 0
; COMPUTE_PGM_RSRC2:TGID_X_EN: 1
; COMPUTE_PGM_RSRC2:TGID_Y_EN: 0
; COMPUTE_PGM_RSRC2:TGID_Z_EN: 1
; COMPUTE_PGM_RSRC2:TIDIG_COMP_CNT: 1
	.section	.text._ZL23rocblas_trmm_lNx_kernelILi32EddKPKdKPdEv13rocblas_fill_17rocblas_diagonal_iiT1_lPT2_llS9_llPT3_lli,"axG",@progbits,_ZL23rocblas_trmm_lNx_kernelILi32EddKPKdKPdEv13rocblas_fill_17rocblas_diagonal_iiT1_lPT2_llS9_llPT3_lli,comdat
	.globl	_ZL23rocblas_trmm_lNx_kernelILi32EddKPKdKPdEv13rocblas_fill_17rocblas_diagonal_iiT1_lPT2_llS9_llPT3_lli ; -- Begin function _ZL23rocblas_trmm_lNx_kernelILi32EddKPKdKPdEv13rocblas_fill_17rocblas_diagonal_iiT1_lPT2_llS9_llPT3_lli
	.p2align	8
	.type	_ZL23rocblas_trmm_lNx_kernelILi32EddKPKdKPdEv13rocblas_fill_17rocblas_diagonal_iiT1_lPT2_llS9_llPT3_lli,@function
_ZL23rocblas_trmm_lNx_kernelILi32EddKPKdKPdEv13rocblas_fill_17rocblas_diagonal_iiT1_lPT2_llS9_llPT3_lli: ; @_ZL23rocblas_trmm_lNx_kernelILi32EddKPKdKPdEv13rocblas_fill_17rocblas_diagonal_iiT1_lPT2_llS9_llPT3_lli
; %bb.0:
	s_load_dwordx2 s[2:3], s[4:5], 0x10
	s_waitcnt lgkmcnt(0)
	v_cmp_eq_f64_e64 s0, s[2:3], 0
	s_and_b32 vcc_lo, exec_lo, s0
	s_cbranch_vccnz .LBB157_15
; %bb.1:
	s_load_dwordx16 s[8:23], s[4:5], 0x20
	s_mov_b32 s30, s7
	s_mov_b32 s31, 0
	s_load_dwordx4 s[24:27], s[4:5], 0x0
	s_lshl_b64 s[28:29], s[30:31], 3
	v_lshlrev_b32_e32 v3, 5, v1
	s_mov_b32 s30, s31
	v_lshlrev_b32_e32 v2, 3, v0
	v_mov_b32_e32 v5, s30
	v_mov_b32_e32 v6, s31
	v_add_lshl_u32 v4, v3, v0, 3
	s_waitcnt lgkmcnt(0)
	s_add_u32 s0, s14, s28
	s_addc_u32 s1, s15, s29
	s_add_u32 s14, s20, s28
	s_addc_u32 s15, s21, s29
	s_load_dwordx2 s[20:21], s[0:1], 0x0
	s_load_dwordx2 s[14:15], s[14:15], 0x0
	v_cmp_gt_i32_e64 s0, s26, v1
	v_cmp_gt_i32_e32 vcc_lo, s26, v0
	ds_write2st64_b64 v4, v[5:6], v[5:6] offset1:16
	s_and_b32 s0, s0, vcc_lo
	s_and_saveexec_b32 s1, s0
	s_cbranch_execz .LBB157_3
; %bb.2:
	s_add_u32 s8, s8, s28
	s_addc_u32 s9, s9, s29
	v_mad_u64_u32 v[5:6], null, s10, v1, 0
	s_load_dwordx2 s[8:9], s[8:9], 0x0
	v_mad_u64_u32 v[6:7], null, s11, v1, v[6:7]
	s_lshl_b64 s[10:11], s[12:13], 3
	v_lshlrev_b64 v[5:6], 3, v[5:6]
	s_waitcnt lgkmcnt(0)
	s_add_u32 s0, s8, s10
	s_addc_u32 s7, s9, s11
	v_add_co_u32 v5, s0, s0, v5
	v_add_co_ci_u32_e64 v6, null, s7, v6, s0
	v_add_co_u32 v5, s0, v5, v2
	v_add_co_ci_u32_e64 v6, null, 0, v6, s0
	flat_load_dwordx2 v[5:6], v[5:6]
	s_waitcnt vmcnt(0) lgkmcnt(0)
	ds_write_b64 v4, v[5:6]
.LBB157_3:
	s_or_b32 exec_lo, exec_lo, s1
	s_add_i32 s0, s27, -1
	s_ashr_i32 s1, s0, 31
	s_lshr_b32 s1, s1, 27
	s_add_i32 s0, s0, s1
	s_and_b32 s1, s0, 0xffffffe0
	s_ashr_i32 s0, s0, 5
	s_sub_i32 s1, s27, s1
	s_cmp_ge_i32 s6, s0
	s_cselect_b32 s0, s1, 32
	s_lshl_b32 s1, s6, 5
	v_cmp_gt_i32_e64 s0, s0, v1
	s_ashr_i32 s6, s1, 31
	s_and_b32 s0, vcc_lo, s0
	s_and_saveexec_b32 s7, s0
	s_cbranch_execz .LBB157_5
; %bb.4:
	v_mad_u64_u32 v[5:6], null, s16, v1, 0
	s_lshl_b64 s[8:9], s[18:19], 3
	s_mul_i32 s10, s16, s6
	s_mul_hi_u32 s11, s16, s1
	s_waitcnt lgkmcnt(0)
	s_add_u32 s13, s20, s8
	s_mul_i32 s12, s17, s1
	s_mul_i32 s8, s16, s1
	v_mad_u64_u32 v[6:7], null, s17, v1, v[6:7]
	s_addc_u32 s17, s21, s9
	s_add_i32 s9, s11, s10
	v_add_nc_u32_e32 v7, 0x2000, v4
	s_add_i32 s9, s9, s12
	s_lshl_b64 s[8:9], s[8:9], 3
	v_lshlrev_b64 v[5:6], 3, v[5:6]
	s_add_u32 s8, s13, s8
	s_addc_u32 s9, s17, s9
	v_add_co_u32 v5, vcc_lo, s8, v5
	v_add_co_ci_u32_e64 v6, null, s9, v6, vcc_lo
	v_add_co_u32 v5, vcc_lo, v5, v2
	v_add_co_ci_u32_e64 v6, null, 0, v6, vcc_lo
	flat_load_dwordx2 v[5:6], v[5:6]
	s_waitcnt vmcnt(0) lgkmcnt(0)
	ds_write_b64 v7, v[5:6]
.LBB157_5:
	s_or_b32 exec_lo, exec_lo, s7
	v_cmp_eq_u32_e32 vcc_lo, v1, v0
	s_cmpk_eq_i32 s25, 0x84
	s_cselect_b32 s7, -1, 0
	s_and_b32 s8, vcc_lo, s7
	s_and_saveexec_b32 s7, s8
; %bb.6:
	v_mov_b32_e32 v5, 0
	v_mov_b32_e32 v6, 0x3ff00000
	ds_write_b64 v4, v[5:6]
; %bb.7:
	s_or_b32 exec_lo, exec_lo, s7
	s_cmpk_lg_i32 s24, 0x79
	s_cbranch_scc0 .LBB157_9
; %bb.8:
	v_cmp_lt_u32_e32 vcc_lo, v0, v1
	s_and_b32 s7, vcc_lo, exec_lo
	s_cbranch_execz .LBB157_10
	s_branch .LBB157_11
.LBB157_9:
	s_mov_b32 s7, 0
.LBB157_10:
	v_cmp_gt_u32_e32 vcc_lo, v0, v1
	s_andn2_b32 s7, s7, exec_lo
	s_and_b32 s8, vcc_lo, exec_lo
	s_or_b32 s7, s7, s8
.LBB157_11:
	s_and_saveexec_b32 s8, s7
; %bb.12:
	v_mov_b32_e32 v5, 0
	v_mov_b32_e32 v6, v5
	ds_write_b64 v4, v[5:6]
; %bb.13:
	s_or_b32 exec_lo, exec_lo, s8
	s_waitcnt lgkmcnt(0)
	s_barrier
	buffer_gl0_inv
	s_and_saveexec_b32 s7, s0
	s_cbranch_execz .LBB157_15
; %bb.14:
	v_lshlrev_b32_e32 v0, 3, v3
	v_add_nc_u32_e32 v17, 0x800, v2
	s_load_dwordx2 s[4:5], s[4:5], 0x60
	s_mul_i32 s0, s22, s6
	ds_read2_b64 v[3:6], v2 offset1:32
	ds_read_b128 v[7:10], v0 offset:8192
	ds_read_b128 v[11:14], v0 offset:8208
	s_mul_hi_u32 s6, s22, s1
	s_waitcnt lgkmcnt(0)
	s_lshl_b64 s[4:5], s[4:5], 3
	v_fma_f64 v[3:4], v[3:4], v[7:8], 0
	s_add_u32 s4, s14, s4
	s_addc_u32 s5, s15, s5
	s_add_i32 s0, s6, s0
	s_mul_i32 s6, s23, s1
	v_fma_f64 v[7:8], v[5:6], v[9:10], v[3:4]
	ds_read2_b64 v[3:6], v2 offset0:64 offset1:96
	s_waitcnt lgkmcnt(0)
	v_fma_f64 v[3:4], v[3:4], v[11:12], v[7:8]
	v_fma_f64 v[15:16], v[5:6], v[13:14], v[3:4]
	ds_read2_b64 v[3:6], v2 offset0:128 offset1:160
	ds_read_b128 v[7:10], v0 offset:8224
	ds_read_b128 v[11:14], v0 offset:8240
	s_waitcnt lgkmcnt(1)
	v_fma_f64 v[3:4], v[3:4], v[7:8], v[15:16]
	v_fma_f64 v[7:8], v[5:6], v[9:10], v[3:4]
	ds_read2_b64 v[3:6], v2 offset0:192 offset1:224
	s_waitcnt lgkmcnt(0)
	v_fma_f64 v[3:4], v[3:4], v[11:12], v[7:8]
	v_fma_f64 v[15:16], v[5:6], v[13:14], v[3:4]
	ds_read2_b64 v[3:6], v17 offset1:32
	ds_read_b128 v[7:10], v0 offset:8256
	ds_read_b128 v[11:14], v0 offset:8272
	s_waitcnt lgkmcnt(1)
	v_fma_f64 v[3:4], v[3:4], v[7:8], v[15:16]
	v_fma_f64 v[7:8], v[5:6], v[9:10], v[3:4]
	ds_read2_b64 v[3:6], v17 offset0:64 offset1:96
	s_waitcnt lgkmcnt(0)
	v_fma_f64 v[3:4], v[3:4], v[11:12], v[7:8]
	v_fma_f64 v[15:16], v[5:6], v[13:14], v[3:4]
	ds_read2_b64 v[3:6], v17 offset0:128 offset1:160
	ds_read_b128 v[7:10], v0 offset:8288
	ds_read_b128 v[11:14], v0 offset:8304
	s_waitcnt lgkmcnt(1)
	v_fma_f64 v[3:4], v[3:4], v[7:8], v[15:16]
	v_fma_f64 v[7:8], v[5:6], v[9:10], v[3:4]
	ds_read2_b64 v[3:6], v17 offset0:192 offset1:224
	v_add_nc_u32_e32 v17, 0x1000, v2
	s_waitcnt lgkmcnt(0)
	v_fma_f64 v[3:4], v[3:4], v[11:12], v[7:8]
	v_fma_f64 v[15:16], v[5:6], v[13:14], v[3:4]
	ds_read2_b64 v[3:6], v17 offset1:32
	ds_read_b128 v[7:10], v0 offset:8320
	ds_read_b128 v[11:14], v0 offset:8336
	s_waitcnt lgkmcnt(1)
	v_fma_f64 v[3:4], v[3:4], v[7:8], v[15:16]
	v_fma_f64 v[7:8], v[5:6], v[9:10], v[3:4]
	ds_read2_b64 v[3:6], v17 offset0:64 offset1:96
	s_waitcnt lgkmcnt(0)
	v_fma_f64 v[3:4], v[3:4], v[11:12], v[7:8]
	v_fma_f64 v[15:16], v[5:6], v[13:14], v[3:4]
	ds_read2_b64 v[3:6], v17 offset0:128 offset1:160
	ds_read_b128 v[7:10], v0 offset:8352
	ds_read_b128 v[11:14], v0 offset:8368
	s_waitcnt lgkmcnt(1)
	v_fma_f64 v[3:4], v[3:4], v[7:8], v[15:16]
	v_fma_f64 v[7:8], v[5:6], v[9:10], v[3:4]
	ds_read2_b64 v[3:6], v17 offset0:192 offset1:224
	v_add_nc_u32_e32 v17, 0x1800, v2
	s_waitcnt lgkmcnt(0)
	v_fma_f64 v[3:4], v[3:4], v[11:12], v[7:8]
	v_fma_f64 v[15:16], v[5:6], v[13:14], v[3:4]
	ds_read2_b64 v[3:6], v17 offset1:32
	ds_read_b128 v[7:10], v0 offset:8384
	ds_read_b128 v[11:14], v0 offset:8400
	s_waitcnt lgkmcnt(1)
	v_fma_f64 v[3:4], v[3:4], v[7:8], v[15:16]
	v_fma_f64 v[7:8], v[5:6], v[9:10], v[3:4]
	ds_read2_b64 v[3:6], v17 offset0:64 offset1:96
	s_waitcnt lgkmcnt(0)
	v_fma_f64 v[3:4], v[3:4], v[11:12], v[7:8]
	v_fma_f64 v[15:16], v[5:6], v[13:14], v[3:4]
	ds_read2_b64 v[3:6], v17 offset0:128 offset1:160
	ds_read_b128 v[7:10], v0 offset:8416
	ds_read_b128 v[11:14], v0 offset:8432
	s_waitcnt lgkmcnt(1)
	v_fma_f64 v[3:4], v[3:4], v[7:8], v[15:16]
	v_fma_f64 v[7:8], v[5:6], v[9:10], v[3:4]
	ds_read2_b64 v[3:6], v17 offset0:192 offset1:224
	s_waitcnt lgkmcnt(0)
	v_fma_f64 v[3:4], v[3:4], v[11:12], v[7:8]
	v_fma_f64 v[3:4], v[5:6], v[13:14], v[3:4]
	v_mad_u64_u32 v[5:6], null, s22, v1, 0
	v_mov_b32_e32 v0, v6
	v_mad_u64_u32 v[0:1], null, s23, v1, v[0:1]
	v_mov_b32_e32 v6, v0
	v_mul_f64 v[0:1], s[2:3], v[3:4]
	s_add_i32 s3, s0, s6
	s_mul_i32 s2, s22, s1
	v_lshlrev_b64 v[3:4], 3, v[5:6]
	s_lshl_b64 s[0:1], s[2:3], 3
	s_add_u32 s0, s4, s0
	s_addc_u32 s1, s5, s1
	v_add_co_u32 v3, vcc_lo, s0, v3
	v_add_co_ci_u32_e64 v4, null, s1, v4, vcc_lo
	v_add_co_u32 v2, vcc_lo, v3, v2
	v_add_co_ci_u32_e64 v3, null, 0, v4, vcc_lo
	flat_store_dwordx2 v[2:3], v[0:1]
.LBB157_15:
	s_endpgm
	.section	.rodata,"a",@progbits
	.p2align	6, 0x0
	.amdhsa_kernel _ZL23rocblas_trmm_lNx_kernelILi32EddKPKdKPdEv13rocblas_fill_17rocblas_diagonal_iiT1_lPT2_llS9_llPT3_lli
		.amdhsa_group_segment_fixed_size 16384
		.amdhsa_private_segment_fixed_size 0
		.amdhsa_kernarg_size 108
		.amdhsa_user_sgpr_count 6
		.amdhsa_user_sgpr_private_segment_buffer 1
		.amdhsa_user_sgpr_dispatch_ptr 0
		.amdhsa_user_sgpr_queue_ptr 0
		.amdhsa_user_sgpr_kernarg_segment_ptr 1
		.amdhsa_user_sgpr_dispatch_id 0
		.amdhsa_user_sgpr_flat_scratch_init 0
		.amdhsa_user_sgpr_private_segment_size 0
		.amdhsa_wavefront_size32 1
		.amdhsa_uses_dynamic_stack 0
		.amdhsa_system_sgpr_private_segment_wavefront_offset 0
		.amdhsa_system_sgpr_workgroup_id_x 1
		.amdhsa_system_sgpr_workgroup_id_y 0
		.amdhsa_system_sgpr_workgroup_id_z 1
		.amdhsa_system_sgpr_workgroup_info 0
		.amdhsa_system_vgpr_workitem_id 1
		.amdhsa_next_free_vgpr 18
		.amdhsa_next_free_sgpr 32
		.amdhsa_reserve_vcc 1
		.amdhsa_reserve_flat_scratch 0
		.amdhsa_float_round_mode_32 0
		.amdhsa_float_round_mode_16_64 0
		.amdhsa_float_denorm_mode_32 3
		.amdhsa_float_denorm_mode_16_64 3
		.amdhsa_dx10_clamp 1
		.amdhsa_ieee_mode 1
		.amdhsa_fp16_overflow 0
		.amdhsa_workgroup_processor_mode 1
		.amdhsa_memory_ordered 1
		.amdhsa_forward_progress 1
		.amdhsa_shared_vgpr_count 0
		.amdhsa_exception_fp_ieee_invalid_op 0
		.amdhsa_exception_fp_denorm_src 0
		.amdhsa_exception_fp_ieee_div_zero 0
		.amdhsa_exception_fp_ieee_overflow 0
		.amdhsa_exception_fp_ieee_underflow 0
		.amdhsa_exception_fp_ieee_inexact 0
		.amdhsa_exception_int_div_zero 0
	.end_amdhsa_kernel
	.section	.text._ZL23rocblas_trmm_lNx_kernelILi32EddKPKdKPdEv13rocblas_fill_17rocblas_diagonal_iiT1_lPT2_llS9_llPT3_lli,"axG",@progbits,_ZL23rocblas_trmm_lNx_kernelILi32EddKPKdKPdEv13rocblas_fill_17rocblas_diagonal_iiT1_lPT2_llS9_llPT3_lli,comdat
.Lfunc_end157:
	.size	_ZL23rocblas_trmm_lNx_kernelILi32EddKPKdKPdEv13rocblas_fill_17rocblas_diagonal_iiT1_lPT2_llS9_llPT3_lli, .Lfunc_end157-_ZL23rocblas_trmm_lNx_kernelILi32EddKPKdKPdEv13rocblas_fill_17rocblas_diagonal_iiT1_lPT2_llS9_llPT3_lli
                                        ; -- End function
	.set _ZL23rocblas_trmm_lNx_kernelILi32EddKPKdKPdEv13rocblas_fill_17rocblas_diagonal_iiT1_lPT2_llS9_llPT3_lli.num_vgpr, 18
	.set _ZL23rocblas_trmm_lNx_kernelILi32EddKPKdKPdEv13rocblas_fill_17rocblas_diagonal_iiT1_lPT2_llS9_llPT3_lli.num_agpr, 0
	.set _ZL23rocblas_trmm_lNx_kernelILi32EddKPKdKPdEv13rocblas_fill_17rocblas_diagonal_iiT1_lPT2_llS9_llPT3_lli.numbered_sgpr, 32
	.set _ZL23rocblas_trmm_lNx_kernelILi32EddKPKdKPdEv13rocblas_fill_17rocblas_diagonal_iiT1_lPT2_llS9_llPT3_lli.num_named_barrier, 0
	.set _ZL23rocblas_trmm_lNx_kernelILi32EddKPKdKPdEv13rocblas_fill_17rocblas_diagonal_iiT1_lPT2_llS9_llPT3_lli.private_seg_size, 0
	.set _ZL23rocblas_trmm_lNx_kernelILi32EddKPKdKPdEv13rocblas_fill_17rocblas_diagonal_iiT1_lPT2_llS9_llPT3_lli.uses_vcc, 1
	.set _ZL23rocblas_trmm_lNx_kernelILi32EddKPKdKPdEv13rocblas_fill_17rocblas_diagonal_iiT1_lPT2_llS9_llPT3_lli.uses_flat_scratch, 0
	.set _ZL23rocblas_trmm_lNx_kernelILi32EddKPKdKPdEv13rocblas_fill_17rocblas_diagonal_iiT1_lPT2_llS9_llPT3_lli.has_dyn_sized_stack, 0
	.set _ZL23rocblas_trmm_lNx_kernelILi32EddKPKdKPdEv13rocblas_fill_17rocblas_diagonal_iiT1_lPT2_llS9_llPT3_lli.has_recursion, 0
	.set _ZL23rocblas_trmm_lNx_kernelILi32EddKPKdKPdEv13rocblas_fill_17rocblas_diagonal_iiT1_lPT2_llS9_llPT3_lli.has_indirect_call, 0
	.section	.AMDGPU.csdata,"",@progbits
; Kernel info:
; codeLenInByte = 1352
; TotalNumSgprs: 34
; NumVgprs: 18
; ScratchSize: 0
; MemoryBound: 0
; FloatMode: 240
; IeeeMode: 1
; LDSByteSize: 16384 bytes/workgroup (compile time only)
; SGPRBlocks: 0
; VGPRBlocks: 2
; NumSGPRsForWavesPerEU: 34
; NumVGPRsForWavesPerEU: 18
; Occupancy: 16
; WaveLimiterHint : 1
; COMPUTE_PGM_RSRC2:SCRATCH_EN: 0
; COMPUTE_PGM_RSRC2:USER_SGPR: 6
; COMPUTE_PGM_RSRC2:TRAP_HANDLER: 0
; COMPUTE_PGM_RSRC2:TGID_X_EN: 1
; COMPUTE_PGM_RSRC2:TGID_Y_EN: 0
; COMPUTE_PGM_RSRC2:TGID_Z_EN: 1
; COMPUTE_PGM_RSRC2:TIDIG_COMP_CNT: 1
	.section	.text._ZL23rocblas_trmm_lTx_kernelILi32ELb0EdPKdKS1_KPdEv13rocblas_fill_17rocblas_diagonal_iiT2_lPT3_llS9_llPT4_lli,"axG",@progbits,_ZL23rocblas_trmm_lTx_kernelILi32ELb0EdPKdKS1_KPdEv13rocblas_fill_17rocblas_diagonal_iiT2_lPT3_llS9_llPT4_lli,comdat
	.globl	_ZL23rocblas_trmm_lTx_kernelILi32ELb0EdPKdKS1_KPdEv13rocblas_fill_17rocblas_diagonal_iiT2_lPT3_llS9_llPT4_lli ; -- Begin function _ZL23rocblas_trmm_lTx_kernelILi32ELb0EdPKdKS1_KPdEv13rocblas_fill_17rocblas_diagonal_iiT2_lPT3_llS9_llPT4_lli
	.p2align	8
	.type	_ZL23rocblas_trmm_lTx_kernelILi32ELb0EdPKdKS1_KPdEv13rocblas_fill_17rocblas_diagonal_iiT2_lPT3_llS9_llPT4_lli,@function
_ZL23rocblas_trmm_lTx_kernelILi32ELb0EdPKdKS1_KPdEv13rocblas_fill_17rocblas_diagonal_iiT2_lPT3_llS9_llPT4_lli: ; @_ZL23rocblas_trmm_lTx_kernelILi32ELb0EdPKdKS1_KPdEv13rocblas_fill_17rocblas_diagonal_iiT2_lPT3_llS9_llPT4_lli
; %bb.0:
	s_load_dwordx16 s[8:23], s[4:5], 0x10
	s_waitcnt lgkmcnt(0)
	s_mul_i32 s0, s11, s7
	s_mul_hi_u32 s1, s10, s7
	s_add_i32 s1, s1, s0
	s_mul_i32 s0, s10, s7
	s_lshl_b64 s[0:1], s[0:1], 3
	s_add_u32 s0, s8, s0
	s_addc_u32 s1, s9, s1
	s_load_dwordx2 s[24:25], s[0:1], 0x0
	s_waitcnt lgkmcnt(0)
	v_cmp_eq_f64_e64 s0, s[24:25], 0
	s_and_b32 vcc_lo, exec_lo, s0
	s_cbranch_vccnz .LBB158_15
; %bb.1:
	s_clause 0x1
	s_load_dwordx4 s[0:3], s[4:5], 0x50
	s_load_dwordx4 s[8:11], s[4:5], 0x0
	s_mov_b32 s26, s7
	s_mov_b32 s27, 0
	v_lshlrev_b32_e32 v3, 5, v1
	s_lshl_b64 s[30:31], s[26:27], 3
	s_mov_b32 s26, s27
	s_add_u32 s12, s12, s30
	s_addc_u32 s13, s13, s31
	v_mov_b32_e32 v5, s26
	s_load_dwordx2 s[28:29], s[12:13], 0x0
	s_add_u32 s12, s18, s30
	s_addc_u32 s13, s19, s31
	v_add_lshl_u32 v4, v3, v0, 3
	v_mov_b32_e32 v6, s27
	v_lshlrev_b32_e32 v2, 3, v0
	s_waitcnt lgkmcnt(0)
	s_add_u32 s0, s0, s30
	s_addc_u32 s1, s1, s31
	s_load_dwordx2 s[18:19], s[12:13], 0x0
	s_load_dwordx2 s[12:13], s[0:1], 0x0
	v_cmp_gt_i32_e64 s0, s10, v1
	v_cmp_gt_i32_e32 vcc_lo, s10, v0
	ds_write2st64_b64 v4, v[5:6], v[5:6] offset1:16
	s_waitcnt lgkmcnt(0)
	s_barrier
	buffer_gl0_inv
	s_and_b32 s0, s0, vcc_lo
	s_and_saveexec_b32 s1, s0
	s_cbranch_execz .LBB158_3
; %bb.2:
	v_mad_u64_u32 v[5:6], null, s14, v1, 0
	v_mad_u64_u32 v[6:7], null, s15, v1, v[6:7]
	s_lshl_b64 s[14:15], s[16:17], 3
	v_lshlrev_b32_e32 v7, 3, v1
	s_add_u32 s0, s28, s14
	s_addc_u32 s7, s29, s15
	v_lshl_add_u32 v7, v0, 8, v7
	v_lshlrev_b64 v[5:6], 3, v[5:6]
	v_add_co_u32 v5, s0, s0, v5
	v_add_co_ci_u32_e64 v6, null, s7, v6, s0
	v_add_co_u32 v5, s0, v5, v2
	v_add_co_ci_u32_e64 v6, null, 0, v6, s0
	flat_load_dwordx2 v[5:6], v[5:6]
	s_waitcnt vmcnt(0) lgkmcnt(0)
	ds_write_b64 v7, v[5:6]
.LBB158_3:
	s_or_b32 exec_lo, exec_lo, s1
	s_add_i32 s0, s11, -1
	s_ashr_i32 s1, s0, 31
	s_lshr_b32 s1, s1, 27
	s_add_i32 s0, s0, s1
	s_and_b32 s1, s0, 0xffffffe0
	s_ashr_i32 s0, s0, 5
	s_sub_i32 s1, s11, s1
	s_cmp_ge_i32 s6, s0
	s_cselect_b32 s0, s1, 32
	s_lshl_b32 s1, s6, 5
	v_cmp_gt_i32_e64 s0, s0, v1
	s_ashr_i32 s6, s1, 31
	s_and_b32 s0, vcc_lo, s0
	s_and_saveexec_b32 s7, s0
	s_cbranch_execz .LBB158_5
; %bb.4:
	v_mad_u64_u32 v[5:6], null, s20, v1, 0
	s_lshl_b64 s[10:11], s[22:23], 3
	s_mul_i32 s14, s20, s6
	s_mul_hi_u32 s15, s20, s1
	s_add_u32 s17, s18, s10
	s_mul_i32 s16, s21, s1
	s_addc_u32 s18, s19, s11
	v_mad_u64_u32 v[6:7], null, s21, v1, v[6:7]
	s_add_i32 s11, s15, s14
	s_mul_i32 s10, s20, s1
	s_add_i32 s11, s11, s16
	v_add_nc_u32_e32 v7, 0x2000, v4
	s_lshl_b64 s[10:11], s[10:11], 3
	s_add_u32 s10, s17, s10
	v_lshlrev_b64 v[5:6], 3, v[5:6]
	s_addc_u32 s11, s18, s11
	v_add_co_u32 v5, vcc_lo, s10, v5
	v_add_co_ci_u32_e64 v6, null, s11, v6, vcc_lo
	v_add_co_u32 v5, vcc_lo, v5, v2
	v_add_co_ci_u32_e64 v6, null, 0, v6, vcc_lo
	flat_load_dwordx2 v[5:6], v[5:6]
	s_waitcnt vmcnt(0) lgkmcnt(0)
	ds_write_b64 v7, v[5:6]
.LBB158_5:
	s_or_b32 exec_lo, exec_lo, s7
	v_cmp_eq_u32_e32 vcc_lo, v1, v0
	s_cmpk_eq_i32 s9, 0x84
	s_cselect_b32 s7, -1, 0
	s_and_b32 s9, vcc_lo, s7
	s_and_saveexec_b32 s7, s9
; %bb.6:
	v_mov_b32_e32 v5, 0
	v_mov_b32_e32 v6, 0x3ff00000
	ds_write_b64 v4, v[5:6]
; %bb.7:
	s_or_b32 exec_lo, exec_lo, s7
	s_cmpk_lg_i32 s8, 0x7a
	s_waitcnt lgkmcnt(0)
	s_barrier
	buffer_gl0_inv
	s_cbranch_scc0 .LBB158_9
; %bb.8:
	v_cmp_lt_u32_e32 vcc_lo, v0, v1
	s_and_b32 s7, vcc_lo, exec_lo
	s_cbranch_execz .LBB158_10
	s_branch .LBB158_11
.LBB158_9:
	s_mov_b32 s7, 0
.LBB158_10:
	v_cmp_gt_u32_e32 vcc_lo, v0, v1
	s_andn2_b32 s7, s7, exec_lo
	s_and_b32 s8, vcc_lo, exec_lo
	s_or_b32 s7, s7, s8
.LBB158_11:
	s_and_saveexec_b32 s8, s7
; %bb.12:
	v_mov_b32_e32 v5, 0
	v_mov_b32_e32 v6, v5
	ds_write_b64 v4, v[5:6]
; %bb.13:
	s_or_b32 exec_lo, exec_lo, s8
	s_waitcnt lgkmcnt(0)
	s_barrier
	buffer_gl0_inv
	s_and_saveexec_b32 s7, s0
	s_cbranch_execz .LBB158_15
; %bb.14:
	v_lshlrev_b32_e32 v0, 3, v3
	v_add_nc_u32_e32 v17, 0x800, v2
	s_load_dwordx2 s[4:5], s[4:5], 0x60
	s_mul_i32 s0, s2, s6
	ds_read2_b64 v[3:6], v2 offset1:32
	ds_read_b128 v[7:10], v0 offset:8192
	ds_read_b128 v[11:14], v0 offset:8208
	s_mul_hi_u32 s6, s2, s1
	s_waitcnt lgkmcnt(0)
	s_lshl_b64 s[4:5], s[4:5], 3
	v_fma_f64 v[3:4], v[3:4], v[7:8], 0
	s_add_u32 s4, s12, s4
	s_addc_u32 s5, s13, s5
	s_add_i32 s0, s6, s0
	v_fma_f64 v[7:8], v[5:6], v[9:10], v[3:4]
	ds_read2_b64 v[3:6], v2 offset0:64 offset1:96
	s_waitcnt lgkmcnt(0)
	v_fma_f64 v[3:4], v[3:4], v[11:12], v[7:8]
	v_fma_f64 v[15:16], v[5:6], v[13:14], v[3:4]
	ds_read2_b64 v[3:6], v2 offset0:128 offset1:160
	ds_read_b128 v[7:10], v0 offset:8224
	ds_read_b128 v[11:14], v0 offset:8240
	s_waitcnt lgkmcnt(1)
	v_fma_f64 v[3:4], v[3:4], v[7:8], v[15:16]
	v_fma_f64 v[7:8], v[5:6], v[9:10], v[3:4]
	ds_read2_b64 v[3:6], v2 offset0:192 offset1:224
	s_waitcnt lgkmcnt(0)
	v_fma_f64 v[3:4], v[3:4], v[11:12], v[7:8]
	v_fma_f64 v[15:16], v[5:6], v[13:14], v[3:4]
	ds_read2_b64 v[3:6], v17 offset1:32
	ds_read_b128 v[7:10], v0 offset:8256
	ds_read_b128 v[11:14], v0 offset:8272
	s_waitcnt lgkmcnt(1)
	v_fma_f64 v[3:4], v[3:4], v[7:8], v[15:16]
	v_fma_f64 v[7:8], v[5:6], v[9:10], v[3:4]
	ds_read2_b64 v[3:6], v17 offset0:64 offset1:96
	s_waitcnt lgkmcnt(0)
	v_fma_f64 v[3:4], v[3:4], v[11:12], v[7:8]
	v_fma_f64 v[15:16], v[5:6], v[13:14], v[3:4]
	ds_read2_b64 v[3:6], v17 offset0:128 offset1:160
	ds_read_b128 v[7:10], v0 offset:8288
	ds_read_b128 v[11:14], v0 offset:8304
	s_waitcnt lgkmcnt(1)
	v_fma_f64 v[3:4], v[3:4], v[7:8], v[15:16]
	v_fma_f64 v[7:8], v[5:6], v[9:10], v[3:4]
	ds_read2_b64 v[3:6], v17 offset0:192 offset1:224
	v_add_nc_u32_e32 v17, 0x1000, v2
	s_waitcnt lgkmcnt(0)
	v_fma_f64 v[3:4], v[3:4], v[11:12], v[7:8]
	v_fma_f64 v[15:16], v[5:6], v[13:14], v[3:4]
	ds_read2_b64 v[3:6], v17 offset1:32
	ds_read_b128 v[7:10], v0 offset:8320
	ds_read_b128 v[11:14], v0 offset:8336
	s_waitcnt lgkmcnt(1)
	v_fma_f64 v[3:4], v[3:4], v[7:8], v[15:16]
	v_fma_f64 v[7:8], v[5:6], v[9:10], v[3:4]
	ds_read2_b64 v[3:6], v17 offset0:64 offset1:96
	s_waitcnt lgkmcnt(0)
	v_fma_f64 v[3:4], v[3:4], v[11:12], v[7:8]
	v_fma_f64 v[15:16], v[5:6], v[13:14], v[3:4]
	ds_read2_b64 v[3:6], v17 offset0:128 offset1:160
	ds_read_b128 v[7:10], v0 offset:8352
	ds_read_b128 v[11:14], v0 offset:8368
	s_waitcnt lgkmcnt(1)
	v_fma_f64 v[3:4], v[3:4], v[7:8], v[15:16]
	v_fma_f64 v[7:8], v[5:6], v[9:10], v[3:4]
	ds_read2_b64 v[3:6], v17 offset0:192 offset1:224
	v_add_nc_u32_e32 v17, 0x1800, v2
	s_waitcnt lgkmcnt(0)
	v_fma_f64 v[3:4], v[3:4], v[11:12], v[7:8]
	v_fma_f64 v[15:16], v[5:6], v[13:14], v[3:4]
	ds_read2_b64 v[3:6], v17 offset1:32
	ds_read_b128 v[7:10], v0 offset:8384
	ds_read_b128 v[11:14], v0 offset:8400
	s_waitcnt lgkmcnt(1)
	v_fma_f64 v[3:4], v[3:4], v[7:8], v[15:16]
	v_fma_f64 v[7:8], v[5:6], v[9:10], v[3:4]
	ds_read2_b64 v[3:6], v17 offset0:64 offset1:96
	s_waitcnt lgkmcnt(0)
	v_fma_f64 v[3:4], v[3:4], v[11:12], v[7:8]
	v_fma_f64 v[15:16], v[5:6], v[13:14], v[3:4]
	ds_read2_b64 v[3:6], v17 offset0:128 offset1:160
	ds_read_b128 v[7:10], v0 offset:8416
	ds_read_b128 v[11:14], v0 offset:8432
	s_waitcnt lgkmcnt(1)
	v_fma_f64 v[3:4], v[3:4], v[7:8], v[15:16]
	v_fma_f64 v[7:8], v[5:6], v[9:10], v[3:4]
	ds_read2_b64 v[3:6], v17 offset0:192 offset1:224
	s_waitcnt lgkmcnt(0)
	v_fma_f64 v[3:4], v[3:4], v[11:12], v[7:8]
	v_fma_f64 v[3:4], v[5:6], v[13:14], v[3:4]
	v_mad_u64_u32 v[5:6], null, s2, v1, 0
	s_mul_i32 s2, s2, s1
	v_mov_b32_e32 v0, v6
	v_mad_u64_u32 v[0:1], null, s3, v1, v[0:1]
	s_mul_i32 s3, s3, s1
	s_add_i32 s3, s0, s3
	s_lshl_b64 s[0:1], s[2:3], 3
	v_mov_b32_e32 v6, v0
	v_mul_f64 v[0:1], s[24:25], v[3:4]
	s_add_u32 s0, s4, s0
	s_addc_u32 s1, s5, s1
	v_lshlrev_b64 v[3:4], 3, v[5:6]
	v_add_co_u32 v3, vcc_lo, s0, v3
	v_add_co_ci_u32_e64 v4, null, s1, v4, vcc_lo
	v_add_co_u32 v2, vcc_lo, v3, v2
	v_add_co_ci_u32_e64 v3, null, 0, v4, vcc_lo
	flat_store_dwordx2 v[2:3], v[0:1]
.LBB158_15:
	s_endpgm
	.section	.rodata,"a",@progbits
	.p2align	6, 0x0
	.amdhsa_kernel _ZL23rocblas_trmm_lTx_kernelILi32ELb0EdPKdKS1_KPdEv13rocblas_fill_17rocblas_diagonal_iiT2_lPT3_llS9_llPT4_lli
		.amdhsa_group_segment_fixed_size 16384
		.amdhsa_private_segment_fixed_size 0
		.amdhsa_kernarg_size 108
		.amdhsa_user_sgpr_count 6
		.amdhsa_user_sgpr_private_segment_buffer 1
		.amdhsa_user_sgpr_dispatch_ptr 0
		.amdhsa_user_sgpr_queue_ptr 0
		.amdhsa_user_sgpr_kernarg_segment_ptr 1
		.amdhsa_user_sgpr_dispatch_id 0
		.amdhsa_user_sgpr_flat_scratch_init 0
		.amdhsa_user_sgpr_private_segment_size 0
		.amdhsa_wavefront_size32 1
		.amdhsa_uses_dynamic_stack 0
		.amdhsa_system_sgpr_private_segment_wavefront_offset 0
		.amdhsa_system_sgpr_workgroup_id_x 1
		.amdhsa_system_sgpr_workgroup_id_y 0
		.amdhsa_system_sgpr_workgroup_id_z 1
		.amdhsa_system_sgpr_workgroup_info 0
		.amdhsa_system_vgpr_workitem_id 1
		.amdhsa_next_free_vgpr 18
		.amdhsa_next_free_sgpr 32
		.amdhsa_reserve_vcc 1
		.amdhsa_reserve_flat_scratch 0
		.amdhsa_float_round_mode_32 0
		.amdhsa_float_round_mode_16_64 0
		.amdhsa_float_denorm_mode_32 3
		.amdhsa_float_denorm_mode_16_64 3
		.amdhsa_dx10_clamp 1
		.amdhsa_ieee_mode 1
		.amdhsa_fp16_overflow 0
		.amdhsa_workgroup_processor_mode 1
		.amdhsa_memory_ordered 1
		.amdhsa_forward_progress 1
		.amdhsa_shared_vgpr_count 0
		.amdhsa_exception_fp_ieee_invalid_op 0
		.amdhsa_exception_fp_denorm_src 0
		.amdhsa_exception_fp_ieee_div_zero 0
		.amdhsa_exception_fp_ieee_overflow 0
		.amdhsa_exception_fp_ieee_underflow 0
		.amdhsa_exception_fp_ieee_inexact 0
		.amdhsa_exception_int_div_zero 0
	.end_amdhsa_kernel
	.section	.text._ZL23rocblas_trmm_lTx_kernelILi32ELb0EdPKdKS1_KPdEv13rocblas_fill_17rocblas_diagonal_iiT2_lPT3_llS9_llPT4_lli,"axG",@progbits,_ZL23rocblas_trmm_lTx_kernelILi32ELb0EdPKdKS1_KPdEv13rocblas_fill_17rocblas_diagonal_iiT2_lPT3_llS9_llPT4_lli,comdat
.Lfunc_end158:
	.size	_ZL23rocblas_trmm_lTx_kernelILi32ELb0EdPKdKS1_KPdEv13rocblas_fill_17rocblas_diagonal_iiT2_lPT3_llS9_llPT4_lli, .Lfunc_end158-_ZL23rocblas_trmm_lTx_kernelILi32ELb0EdPKdKS1_KPdEv13rocblas_fill_17rocblas_diagonal_iiT2_lPT3_llS9_llPT4_lli
                                        ; -- End function
	.set _ZL23rocblas_trmm_lTx_kernelILi32ELb0EdPKdKS1_KPdEv13rocblas_fill_17rocblas_diagonal_iiT2_lPT3_llS9_llPT4_lli.num_vgpr, 18
	.set _ZL23rocblas_trmm_lTx_kernelILi32ELb0EdPKdKS1_KPdEv13rocblas_fill_17rocblas_diagonal_iiT2_lPT3_llS9_llPT4_lli.num_agpr, 0
	.set _ZL23rocblas_trmm_lTx_kernelILi32ELb0EdPKdKS1_KPdEv13rocblas_fill_17rocblas_diagonal_iiT2_lPT3_llS9_llPT4_lli.numbered_sgpr, 32
	.set _ZL23rocblas_trmm_lTx_kernelILi32ELb0EdPKdKS1_KPdEv13rocblas_fill_17rocblas_diagonal_iiT2_lPT3_llS9_llPT4_lli.num_named_barrier, 0
	.set _ZL23rocblas_trmm_lTx_kernelILi32ELb0EdPKdKS1_KPdEv13rocblas_fill_17rocblas_diagonal_iiT2_lPT3_llS9_llPT4_lli.private_seg_size, 0
	.set _ZL23rocblas_trmm_lTx_kernelILi32ELb0EdPKdKS1_KPdEv13rocblas_fill_17rocblas_diagonal_iiT2_lPT3_llS9_llPT4_lli.uses_vcc, 1
	.set _ZL23rocblas_trmm_lTx_kernelILi32ELb0EdPKdKS1_KPdEv13rocblas_fill_17rocblas_diagonal_iiT2_lPT3_llS9_llPT4_lli.uses_flat_scratch, 0
	.set _ZL23rocblas_trmm_lTx_kernelILi32ELb0EdPKdKS1_KPdEv13rocblas_fill_17rocblas_diagonal_iiT2_lPT3_llS9_llPT4_lli.has_dyn_sized_stack, 0
	.set _ZL23rocblas_trmm_lTx_kernelILi32ELb0EdPKdKS1_KPdEv13rocblas_fill_17rocblas_diagonal_iiT2_lPT3_llS9_llPT4_lli.has_recursion, 0
	.set _ZL23rocblas_trmm_lTx_kernelILi32ELb0EdPKdKS1_KPdEv13rocblas_fill_17rocblas_diagonal_iiT2_lPT3_llS9_llPT4_lli.has_indirect_call, 0
	.section	.AMDGPU.csdata,"",@progbits
; Kernel info:
; codeLenInByte = 1432
; TotalNumSgprs: 34
; NumVgprs: 18
; ScratchSize: 0
; MemoryBound: 0
; FloatMode: 240
; IeeeMode: 1
; LDSByteSize: 16384 bytes/workgroup (compile time only)
; SGPRBlocks: 0
; VGPRBlocks: 2
; NumSGPRsForWavesPerEU: 34
; NumVGPRsForWavesPerEU: 18
; Occupancy: 16
; WaveLimiterHint : 1
; COMPUTE_PGM_RSRC2:SCRATCH_EN: 0
; COMPUTE_PGM_RSRC2:USER_SGPR: 6
; COMPUTE_PGM_RSRC2:TRAP_HANDLER: 0
; COMPUTE_PGM_RSRC2:TGID_X_EN: 1
; COMPUTE_PGM_RSRC2:TGID_Y_EN: 0
; COMPUTE_PGM_RSRC2:TGID_Z_EN: 1
; COMPUTE_PGM_RSRC2:TIDIG_COMP_CNT: 1
	.section	.text._ZL23rocblas_trmm_lTx_kernelILi32ELb0EddKPKdKPdEv13rocblas_fill_17rocblas_diagonal_iiT2_lPT3_llS9_llPT4_lli,"axG",@progbits,_ZL23rocblas_trmm_lTx_kernelILi32ELb0EddKPKdKPdEv13rocblas_fill_17rocblas_diagonal_iiT2_lPT3_llS9_llPT4_lli,comdat
	.globl	_ZL23rocblas_trmm_lTx_kernelILi32ELb0EddKPKdKPdEv13rocblas_fill_17rocblas_diagonal_iiT2_lPT3_llS9_llPT4_lli ; -- Begin function _ZL23rocblas_trmm_lTx_kernelILi32ELb0EddKPKdKPdEv13rocblas_fill_17rocblas_diagonal_iiT2_lPT3_llS9_llPT4_lli
	.p2align	8
	.type	_ZL23rocblas_trmm_lTx_kernelILi32ELb0EddKPKdKPdEv13rocblas_fill_17rocblas_diagonal_iiT2_lPT3_llS9_llPT4_lli,@function
_ZL23rocblas_trmm_lTx_kernelILi32ELb0EddKPKdKPdEv13rocblas_fill_17rocblas_diagonal_iiT2_lPT3_llS9_llPT4_lli: ; @_ZL23rocblas_trmm_lTx_kernelILi32ELb0EddKPKdKPdEv13rocblas_fill_17rocblas_diagonal_iiT2_lPT3_llS9_llPT4_lli
; %bb.0:
	s_load_dwordx2 s[2:3], s[4:5], 0x10
	s_waitcnt lgkmcnt(0)
	v_cmp_eq_f64_e64 s1, s[2:3], 0
	s_and_b32 vcc_lo, exec_lo, s1
	s_cbranch_vccnz .LBB159_15
; %bb.1:
	s_load_dwordx16 s[8:23], s[4:5], 0x20
	s_mov_b32 s0, s7
	s_mov_b32 s1, 0
	s_load_dwordx4 s[24:27], s[4:5], 0x0
	s_lshl_b64 s[30:31], s[0:1], 3
	v_lshlrev_b32_e32 v3, 5, v1
	s_mov_b32 s0, s1
	v_mov_b32_e32 v6, s1
	v_mov_b32_e32 v5, s0
	v_lshlrev_b32_e32 v2, 3, v0
	v_add_lshl_u32 v4, v3, v0, 3
	s_waitcnt lgkmcnt(0)
	s_add_u32 s8, s8, s30
	s_addc_u32 s9, s9, s31
	s_add_u32 s14, s14, s30
	s_addc_u32 s15, s15, s31
	s_load_dwordx2 s[28:29], s[8:9], 0x0
	s_add_u32 s8, s20, s30
	s_addc_u32 s9, s21, s31
	s_load_dwordx2 s[14:15], s[14:15], 0x0
	s_load_dwordx2 s[8:9], s[8:9], 0x0
	v_cmp_gt_i32_e64 s0, s26, v1
	v_cmp_gt_i32_e32 vcc_lo, s26, v0
	ds_write2st64_b64 v4, v[5:6], v[5:6] offset1:16
	s_waitcnt lgkmcnt(0)
	s_barrier
	buffer_gl0_inv
	s_and_b32 s0, s0, vcc_lo
	s_and_saveexec_b32 s1, s0
	s_cbranch_execz .LBB159_3
; %bb.2:
	v_mad_u64_u32 v[5:6], null, s10, v1, 0
	v_mad_u64_u32 v[6:7], null, s11, v1, v[6:7]
	s_lshl_b64 s[10:11], s[12:13], 3
	v_lshlrev_b32_e32 v7, 3, v1
	s_add_u32 s0, s28, s10
	s_addc_u32 s7, s29, s11
	v_lshl_add_u32 v7, v0, 8, v7
	v_lshlrev_b64 v[5:6], 3, v[5:6]
	v_add_co_u32 v5, s0, s0, v5
	v_add_co_ci_u32_e64 v6, null, s7, v6, s0
	v_add_co_u32 v5, s0, v5, v2
	v_add_co_ci_u32_e64 v6, null, 0, v6, s0
	flat_load_dwordx2 v[5:6], v[5:6]
	s_waitcnt vmcnt(0) lgkmcnt(0)
	ds_write_b64 v7, v[5:6]
.LBB159_3:
	s_or_b32 exec_lo, exec_lo, s1
	s_add_i32 s0, s27, -1
	s_ashr_i32 s1, s0, 31
	s_lshr_b32 s1, s1, 27
	s_add_i32 s0, s0, s1
	s_and_b32 s1, s0, 0xffffffe0
	s_ashr_i32 s0, s0, 5
	s_sub_i32 s1, s27, s1
	s_cmp_ge_i32 s6, s0
	s_cselect_b32 s0, s1, 32
	s_lshl_b32 s1, s6, 5
	v_cmp_gt_i32_e64 s0, s0, v1
	s_ashr_i32 s6, s1, 31
	s_and_b32 s0, vcc_lo, s0
	s_and_saveexec_b32 s7, s0
	s_cbranch_execz .LBB159_5
; %bb.4:
	v_mad_u64_u32 v[5:6], null, s16, v1, 0
	s_lshl_b64 s[10:11], s[18:19], 3
	s_mul_i32 s12, s16, s6
	s_mul_hi_u32 s13, s16, s1
	s_add_u32 s14, s14, s10
	s_addc_u32 s15, s15, s11
	s_add_i32 s11, s13, s12
	v_mad_u64_u32 v[6:7], null, s17, v1, v[6:7]
	s_mul_i32 s17, s17, s1
	s_mul_i32 s10, s16, s1
	s_add_i32 s11, s11, s17
	v_add_nc_u32_e32 v7, 0x2000, v4
	s_lshl_b64 s[10:11], s[10:11], 3
	s_add_u32 s10, s14, s10
	v_lshlrev_b64 v[5:6], 3, v[5:6]
	s_addc_u32 s11, s15, s11
	v_add_co_u32 v5, vcc_lo, s10, v5
	v_add_co_ci_u32_e64 v6, null, s11, v6, vcc_lo
	v_add_co_u32 v5, vcc_lo, v5, v2
	v_add_co_ci_u32_e64 v6, null, 0, v6, vcc_lo
	flat_load_dwordx2 v[5:6], v[5:6]
	s_waitcnt vmcnt(0) lgkmcnt(0)
	ds_write_b64 v7, v[5:6]
.LBB159_5:
	s_or_b32 exec_lo, exec_lo, s7
	v_cmp_eq_u32_e32 vcc_lo, v1, v0
	s_cmpk_eq_i32 s25, 0x84
	s_cselect_b32 s7, -1, 0
	s_and_b32 s10, vcc_lo, s7
	s_and_saveexec_b32 s7, s10
; %bb.6:
	v_mov_b32_e32 v5, 0
	v_mov_b32_e32 v6, 0x3ff00000
	ds_write_b64 v4, v[5:6]
; %bb.7:
	s_or_b32 exec_lo, exec_lo, s7
	s_cmpk_lg_i32 s24, 0x7a
	s_waitcnt lgkmcnt(0)
	s_barrier
	buffer_gl0_inv
	s_cbranch_scc0 .LBB159_9
; %bb.8:
	v_cmp_lt_u32_e32 vcc_lo, v0, v1
	s_and_b32 s7, vcc_lo, exec_lo
	s_cbranch_execz .LBB159_10
	s_branch .LBB159_11
.LBB159_9:
	s_mov_b32 s7, 0
.LBB159_10:
	v_cmp_gt_u32_e32 vcc_lo, v0, v1
	s_andn2_b32 s7, s7, exec_lo
	s_and_b32 s10, vcc_lo, exec_lo
	s_or_b32 s7, s7, s10
.LBB159_11:
	s_and_saveexec_b32 s10, s7
; %bb.12:
	v_mov_b32_e32 v5, 0
	v_mov_b32_e32 v6, v5
	ds_write_b64 v4, v[5:6]
; %bb.13:
	s_or_b32 exec_lo, exec_lo, s10
	s_waitcnt lgkmcnt(0)
	s_barrier
	buffer_gl0_inv
	s_and_saveexec_b32 s7, s0
	s_cbranch_execz .LBB159_15
; %bb.14:
	v_lshlrev_b32_e32 v0, 3, v3
	v_add_nc_u32_e32 v17, 0x800, v2
	s_load_dwordx2 s[4:5], s[4:5], 0x60
	s_mul_i32 s0, s22, s6
	ds_read2_b64 v[3:6], v2 offset1:32
	ds_read_b128 v[7:10], v0 offset:8192
	ds_read_b128 v[11:14], v0 offset:8208
	s_mul_hi_u32 s6, s22, s1
	s_waitcnt lgkmcnt(0)
	s_lshl_b64 s[4:5], s[4:5], 3
	v_fma_f64 v[3:4], v[3:4], v[7:8], 0
	s_add_u32 s4, s8, s4
	s_addc_u32 s5, s9, s5
	s_add_i32 s0, s6, s0
	s_mul_i32 s6, s23, s1
	v_fma_f64 v[7:8], v[5:6], v[9:10], v[3:4]
	ds_read2_b64 v[3:6], v2 offset0:64 offset1:96
	s_waitcnt lgkmcnt(0)
	v_fma_f64 v[3:4], v[3:4], v[11:12], v[7:8]
	v_fma_f64 v[15:16], v[5:6], v[13:14], v[3:4]
	ds_read2_b64 v[3:6], v2 offset0:128 offset1:160
	ds_read_b128 v[7:10], v0 offset:8224
	ds_read_b128 v[11:14], v0 offset:8240
	s_waitcnt lgkmcnt(1)
	v_fma_f64 v[3:4], v[3:4], v[7:8], v[15:16]
	v_fma_f64 v[7:8], v[5:6], v[9:10], v[3:4]
	ds_read2_b64 v[3:6], v2 offset0:192 offset1:224
	s_waitcnt lgkmcnt(0)
	v_fma_f64 v[3:4], v[3:4], v[11:12], v[7:8]
	v_fma_f64 v[15:16], v[5:6], v[13:14], v[3:4]
	ds_read2_b64 v[3:6], v17 offset1:32
	ds_read_b128 v[7:10], v0 offset:8256
	ds_read_b128 v[11:14], v0 offset:8272
	s_waitcnt lgkmcnt(1)
	v_fma_f64 v[3:4], v[3:4], v[7:8], v[15:16]
	v_fma_f64 v[7:8], v[5:6], v[9:10], v[3:4]
	ds_read2_b64 v[3:6], v17 offset0:64 offset1:96
	s_waitcnt lgkmcnt(0)
	v_fma_f64 v[3:4], v[3:4], v[11:12], v[7:8]
	v_fma_f64 v[15:16], v[5:6], v[13:14], v[3:4]
	ds_read2_b64 v[3:6], v17 offset0:128 offset1:160
	ds_read_b128 v[7:10], v0 offset:8288
	ds_read_b128 v[11:14], v0 offset:8304
	s_waitcnt lgkmcnt(1)
	v_fma_f64 v[3:4], v[3:4], v[7:8], v[15:16]
	v_fma_f64 v[7:8], v[5:6], v[9:10], v[3:4]
	ds_read2_b64 v[3:6], v17 offset0:192 offset1:224
	v_add_nc_u32_e32 v17, 0x1000, v2
	s_waitcnt lgkmcnt(0)
	v_fma_f64 v[3:4], v[3:4], v[11:12], v[7:8]
	v_fma_f64 v[15:16], v[5:6], v[13:14], v[3:4]
	ds_read2_b64 v[3:6], v17 offset1:32
	ds_read_b128 v[7:10], v0 offset:8320
	ds_read_b128 v[11:14], v0 offset:8336
	s_waitcnt lgkmcnt(1)
	v_fma_f64 v[3:4], v[3:4], v[7:8], v[15:16]
	v_fma_f64 v[7:8], v[5:6], v[9:10], v[3:4]
	ds_read2_b64 v[3:6], v17 offset0:64 offset1:96
	s_waitcnt lgkmcnt(0)
	v_fma_f64 v[3:4], v[3:4], v[11:12], v[7:8]
	v_fma_f64 v[15:16], v[5:6], v[13:14], v[3:4]
	ds_read2_b64 v[3:6], v17 offset0:128 offset1:160
	ds_read_b128 v[7:10], v0 offset:8352
	ds_read_b128 v[11:14], v0 offset:8368
	s_waitcnt lgkmcnt(1)
	v_fma_f64 v[3:4], v[3:4], v[7:8], v[15:16]
	v_fma_f64 v[7:8], v[5:6], v[9:10], v[3:4]
	ds_read2_b64 v[3:6], v17 offset0:192 offset1:224
	v_add_nc_u32_e32 v17, 0x1800, v2
	s_waitcnt lgkmcnt(0)
	v_fma_f64 v[3:4], v[3:4], v[11:12], v[7:8]
	v_fma_f64 v[15:16], v[5:6], v[13:14], v[3:4]
	ds_read2_b64 v[3:6], v17 offset1:32
	ds_read_b128 v[7:10], v0 offset:8384
	ds_read_b128 v[11:14], v0 offset:8400
	s_waitcnt lgkmcnt(1)
	v_fma_f64 v[3:4], v[3:4], v[7:8], v[15:16]
	v_fma_f64 v[7:8], v[5:6], v[9:10], v[3:4]
	ds_read2_b64 v[3:6], v17 offset0:64 offset1:96
	s_waitcnt lgkmcnt(0)
	v_fma_f64 v[3:4], v[3:4], v[11:12], v[7:8]
	v_fma_f64 v[15:16], v[5:6], v[13:14], v[3:4]
	ds_read2_b64 v[3:6], v17 offset0:128 offset1:160
	ds_read_b128 v[7:10], v0 offset:8416
	ds_read_b128 v[11:14], v0 offset:8432
	s_waitcnt lgkmcnt(1)
	v_fma_f64 v[3:4], v[3:4], v[7:8], v[15:16]
	v_fma_f64 v[7:8], v[5:6], v[9:10], v[3:4]
	ds_read2_b64 v[3:6], v17 offset0:192 offset1:224
	s_waitcnt lgkmcnt(0)
	v_fma_f64 v[3:4], v[3:4], v[11:12], v[7:8]
	v_fma_f64 v[3:4], v[5:6], v[13:14], v[3:4]
	v_mad_u64_u32 v[5:6], null, s22, v1, 0
	v_mov_b32_e32 v0, v6
	v_mad_u64_u32 v[0:1], null, s23, v1, v[0:1]
	v_mov_b32_e32 v6, v0
	v_mul_f64 v[0:1], s[2:3], v[3:4]
	s_add_i32 s3, s0, s6
	s_mul_i32 s2, s22, s1
	v_lshlrev_b64 v[3:4], 3, v[5:6]
	s_lshl_b64 s[0:1], s[2:3], 3
	s_add_u32 s0, s4, s0
	s_addc_u32 s1, s5, s1
	v_add_co_u32 v3, vcc_lo, s0, v3
	v_add_co_ci_u32_e64 v4, null, s1, v4, vcc_lo
	v_add_co_u32 v2, vcc_lo, v3, v2
	v_add_co_ci_u32_e64 v3, null, 0, v4, vcc_lo
	flat_store_dwordx2 v[2:3], v[0:1]
.LBB159_15:
	s_endpgm
	.section	.rodata,"a",@progbits
	.p2align	6, 0x0
	.amdhsa_kernel _ZL23rocblas_trmm_lTx_kernelILi32ELb0EddKPKdKPdEv13rocblas_fill_17rocblas_diagonal_iiT2_lPT3_llS9_llPT4_lli
		.amdhsa_group_segment_fixed_size 16384
		.amdhsa_private_segment_fixed_size 0
		.amdhsa_kernarg_size 108
		.amdhsa_user_sgpr_count 6
		.amdhsa_user_sgpr_private_segment_buffer 1
		.amdhsa_user_sgpr_dispatch_ptr 0
		.amdhsa_user_sgpr_queue_ptr 0
		.amdhsa_user_sgpr_kernarg_segment_ptr 1
		.amdhsa_user_sgpr_dispatch_id 0
		.amdhsa_user_sgpr_flat_scratch_init 0
		.amdhsa_user_sgpr_private_segment_size 0
		.amdhsa_wavefront_size32 1
		.amdhsa_uses_dynamic_stack 0
		.amdhsa_system_sgpr_private_segment_wavefront_offset 0
		.amdhsa_system_sgpr_workgroup_id_x 1
		.amdhsa_system_sgpr_workgroup_id_y 0
		.amdhsa_system_sgpr_workgroup_id_z 1
		.amdhsa_system_sgpr_workgroup_info 0
		.amdhsa_system_vgpr_workitem_id 1
		.amdhsa_next_free_vgpr 18
		.amdhsa_next_free_sgpr 32
		.amdhsa_reserve_vcc 1
		.amdhsa_reserve_flat_scratch 0
		.amdhsa_float_round_mode_32 0
		.amdhsa_float_round_mode_16_64 0
		.amdhsa_float_denorm_mode_32 3
		.amdhsa_float_denorm_mode_16_64 3
		.amdhsa_dx10_clamp 1
		.amdhsa_ieee_mode 1
		.amdhsa_fp16_overflow 0
		.amdhsa_workgroup_processor_mode 1
		.amdhsa_memory_ordered 1
		.amdhsa_forward_progress 1
		.amdhsa_shared_vgpr_count 0
		.amdhsa_exception_fp_ieee_invalid_op 0
		.amdhsa_exception_fp_denorm_src 0
		.amdhsa_exception_fp_ieee_div_zero 0
		.amdhsa_exception_fp_ieee_overflow 0
		.amdhsa_exception_fp_ieee_underflow 0
		.amdhsa_exception_fp_ieee_inexact 0
		.amdhsa_exception_int_div_zero 0
	.end_amdhsa_kernel
	.section	.text._ZL23rocblas_trmm_lTx_kernelILi32ELb0EddKPKdKPdEv13rocblas_fill_17rocblas_diagonal_iiT2_lPT3_llS9_llPT4_lli,"axG",@progbits,_ZL23rocblas_trmm_lTx_kernelILi32ELb0EddKPKdKPdEv13rocblas_fill_17rocblas_diagonal_iiT2_lPT3_llS9_llPT4_lli,comdat
.Lfunc_end159:
	.size	_ZL23rocblas_trmm_lTx_kernelILi32ELb0EddKPKdKPdEv13rocblas_fill_17rocblas_diagonal_iiT2_lPT3_llS9_llPT4_lli, .Lfunc_end159-_ZL23rocblas_trmm_lTx_kernelILi32ELb0EddKPKdKPdEv13rocblas_fill_17rocblas_diagonal_iiT2_lPT3_llS9_llPT4_lli
                                        ; -- End function
	.set _ZL23rocblas_trmm_lTx_kernelILi32ELb0EddKPKdKPdEv13rocblas_fill_17rocblas_diagonal_iiT2_lPT3_llS9_llPT4_lli.num_vgpr, 18
	.set _ZL23rocblas_trmm_lTx_kernelILi32ELb0EddKPKdKPdEv13rocblas_fill_17rocblas_diagonal_iiT2_lPT3_llS9_llPT4_lli.num_agpr, 0
	.set _ZL23rocblas_trmm_lTx_kernelILi32ELb0EddKPKdKPdEv13rocblas_fill_17rocblas_diagonal_iiT2_lPT3_llS9_llPT4_lli.numbered_sgpr, 32
	.set _ZL23rocblas_trmm_lTx_kernelILi32ELb0EddKPKdKPdEv13rocblas_fill_17rocblas_diagonal_iiT2_lPT3_llS9_llPT4_lli.num_named_barrier, 0
	.set _ZL23rocblas_trmm_lTx_kernelILi32ELb0EddKPKdKPdEv13rocblas_fill_17rocblas_diagonal_iiT2_lPT3_llS9_llPT4_lli.private_seg_size, 0
	.set _ZL23rocblas_trmm_lTx_kernelILi32ELb0EddKPKdKPdEv13rocblas_fill_17rocblas_diagonal_iiT2_lPT3_llS9_llPT4_lli.uses_vcc, 1
	.set _ZL23rocblas_trmm_lTx_kernelILi32ELb0EddKPKdKPdEv13rocblas_fill_17rocblas_diagonal_iiT2_lPT3_llS9_llPT4_lli.uses_flat_scratch, 0
	.set _ZL23rocblas_trmm_lTx_kernelILi32ELb0EddKPKdKPdEv13rocblas_fill_17rocblas_diagonal_iiT2_lPT3_llS9_llPT4_lli.has_dyn_sized_stack, 0
	.set _ZL23rocblas_trmm_lTx_kernelILi32ELb0EddKPKdKPdEv13rocblas_fill_17rocblas_diagonal_iiT2_lPT3_llS9_llPT4_lli.has_recursion, 0
	.set _ZL23rocblas_trmm_lTx_kernelILi32ELb0EddKPKdKPdEv13rocblas_fill_17rocblas_diagonal_iiT2_lPT3_llS9_llPT4_lli.has_indirect_call, 0
	.section	.AMDGPU.csdata,"",@progbits
; Kernel info:
; codeLenInByte = 1388
; TotalNumSgprs: 34
; NumVgprs: 18
; ScratchSize: 0
; MemoryBound: 0
; FloatMode: 240
; IeeeMode: 1
; LDSByteSize: 16384 bytes/workgroup (compile time only)
; SGPRBlocks: 0
; VGPRBlocks: 2
; NumSGPRsForWavesPerEU: 34
; NumVGPRsForWavesPerEU: 18
; Occupancy: 16
; WaveLimiterHint : 1
; COMPUTE_PGM_RSRC2:SCRATCH_EN: 0
; COMPUTE_PGM_RSRC2:USER_SGPR: 6
; COMPUTE_PGM_RSRC2:TRAP_HANDLER: 0
; COMPUTE_PGM_RSRC2:TGID_X_EN: 1
; COMPUTE_PGM_RSRC2:TGID_Y_EN: 0
; COMPUTE_PGM_RSRC2:TGID_Z_EN: 1
; COMPUTE_PGM_RSRC2:TIDIG_COMP_CNT: 1
	.section	.text._ZL23rocblas_trmm_lTx_kernelILi32ELb1EdPKdKS1_KPdEv13rocblas_fill_17rocblas_diagonal_iiT2_lPT3_llS9_llPT4_lli,"axG",@progbits,_ZL23rocblas_trmm_lTx_kernelILi32ELb1EdPKdKS1_KPdEv13rocblas_fill_17rocblas_diagonal_iiT2_lPT3_llS9_llPT4_lli,comdat
	.globl	_ZL23rocblas_trmm_lTx_kernelILi32ELb1EdPKdKS1_KPdEv13rocblas_fill_17rocblas_diagonal_iiT2_lPT3_llS9_llPT4_lli ; -- Begin function _ZL23rocblas_trmm_lTx_kernelILi32ELb1EdPKdKS1_KPdEv13rocblas_fill_17rocblas_diagonal_iiT2_lPT3_llS9_llPT4_lli
	.p2align	8
	.type	_ZL23rocblas_trmm_lTx_kernelILi32ELb1EdPKdKS1_KPdEv13rocblas_fill_17rocblas_diagonal_iiT2_lPT3_llS9_llPT4_lli,@function
_ZL23rocblas_trmm_lTx_kernelILi32ELb1EdPKdKS1_KPdEv13rocblas_fill_17rocblas_diagonal_iiT2_lPT3_llS9_llPT4_lli: ; @_ZL23rocblas_trmm_lTx_kernelILi32ELb1EdPKdKS1_KPdEv13rocblas_fill_17rocblas_diagonal_iiT2_lPT3_llS9_llPT4_lli
; %bb.0:
	s_load_dwordx16 s[8:23], s[4:5], 0x10
	s_waitcnt lgkmcnt(0)
	s_mul_i32 s0, s11, s7
	s_mul_hi_u32 s1, s10, s7
	s_add_i32 s1, s1, s0
	s_mul_i32 s0, s10, s7
	s_lshl_b64 s[0:1], s[0:1], 3
	s_add_u32 s0, s8, s0
	s_addc_u32 s1, s9, s1
	s_load_dwordx2 s[24:25], s[0:1], 0x0
	s_waitcnt lgkmcnt(0)
	v_cmp_eq_f64_e64 s0, s[24:25], 0
	s_and_b32 vcc_lo, exec_lo, s0
	s_cbranch_vccnz .LBB160_15
; %bb.1:
	s_clause 0x1
	s_load_dwordx4 s[0:3], s[4:5], 0x50
	s_load_dwordx4 s[8:11], s[4:5], 0x0
	s_mov_b32 s26, s7
	s_mov_b32 s27, 0
	v_lshlrev_b32_e32 v3, 5, v1
	s_lshl_b64 s[30:31], s[26:27], 3
	s_mov_b32 s26, s27
	s_add_u32 s12, s12, s30
	s_addc_u32 s13, s13, s31
	v_mov_b32_e32 v5, s26
	s_load_dwordx2 s[28:29], s[12:13], 0x0
	s_add_u32 s12, s18, s30
	s_addc_u32 s13, s19, s31
	v_add_lshl_u32 v4, v3, v0, 3
	v_mov_b32_e32 v6, s27
	v_lshlrev_b32_e32 v2, 3, v0
	s_waitcnt lgkmcnt(0)
	s_add_u32 s0, s0, s30
	s_addc_u32 s1, s1, s31
	s_load_dwordx2 s[18:19], s[12:13], 0x0
	s_load_dwordx2 s[12:13], s[0:1], 0x0
	v_cmp_gt_i32_e64 s0, s10, v1
	v_cmp_gt_i32_e32 vcc_lo, s10, v0
	ds_write2st64_b64 v4, v[5:6], v[5:6] offset1:16
	s_waitcnt lgkmcnt(0)
	s_barrier
	buffer_gl0_inv
	s_and_b32 s0, s0, vcc_lo
	s_and_saveexec_b32 s1, s0
	s_cbranch_execz .LBB160_3
; %bb.2:
	v_mad_u64_u32 v[5:6], null, s14, v1, 0
	v_mad_u64_u32 v[6:7], null, s15, v1, v[6:7]
	s_lshl_b64 s[14:15], s[16:17], 3
	v_lshlrev_b32_e32 v7, 3, v1
	s_add_u32 s0, s28, s14
	s_addc_u32 s7, s29, s15
	v_lshl_add_u32 v7, v0, 8, v7
	v_lshlrev_b64 v[5:6], 3, v[5:6]
	v_add_co_u32 v5, s0, s0, v5
	v_add_co_ci_u32_e64 v6, null, s7, v6, s0
	v_add_co_u32 v5, s0, v5, v2
	v_add_co_ci_u32_e64 v6, null, 0, v6, s0
	flat_load_dwordx2 v[5:6], v[5:6]
	s_waitcnt vmcnt(0) lgkmcnt(0)
	ds_write_b64 v7, v[5:6]
.LBB160_3:
	s_or_b32 exec_lo, exec_lo, s1
	s_add_i32 s0, s11, -1
	s_ashr_i32 s1, s0, 31
	s_lshr_b32 s1, s1, 27
	s_add_i32 s0, s0, s1
	s_and_b32 s1, s0, 0xffffffe0
	s_ashr_i32 s0, s0, 5
	s_sub_i32 s1, s11, s1
	s_cmp_ge_i32 s6, s0
	s_cselect_b32 s0, s1, 32
	s_lshl_b32 s1, s6, 5
	v_cmp_gt_i32_e64 s0, s0, v1
	s_ashr_i32 s6, s1, 31
	s_and_b32 s0, vcc_lo, s0
	s_and_saveexec_b32 s7, s0
	s_cbranch_execz .LBB160_5
; %bb.4:
	v_mad_u64_u32 v[5:6], null, s20, v1, 0
	s_lshl_b64 s[10:11], s[22:23], 3
	s_mul_i32 s14, s20, s6
	s_mul_hi_u32 s15, s20, s1
	s_add_u32 s17, s18, s10
	s_mul_i32 s16, s21, s1
	s_addc_u32 s18, s19, s11
	v_mad_u64_u32 v[6:7], null, s21, v1, v[6:7]
	s_add_i32 s11, s15, s14
	s_mul_i32 s10, s20, s1
	s_add_i32 s11, s11, s16
	v_add_nc_u32_e32 v7, 0x2000, v4
	s_lshl_b64 s[10:11], s[10:11], 3
	s_add_u32 s10, s17, s10
	v_lshlrev_b64 v[5:6], 3, v[5:6]
	s_addc_u32 s11, s18, s11
	v_add_co_u32 v5, vcc_lo, s10, v5
	v_add_co_ci_u32_e64 v6, null, s11, v6, vcc_lo
	v_add_co_u32 v5, vcc_lo, v5, v2
	v_add_co_ci_u32_e64 v6, null, 0, v6, vcc_lo
	flat_load_dwordx2 v[5:6], v[5:6]
	s_waitcnt vmcnt(0) lgkmcnt(0)
	ds_write_b64 v7, v[5:6]
.LBB160_5:
	s_or_b32 exec_lo, exec_lo, s7
	v_cmp_eq_u32_e32 vcc_lo, v1, v0
	s_cmpk_eq_i32 s9, 0x84
	s_cselect_b32 s7, -1, 0
	s_and_b32 s9, vcc_lo, s7
	s_and_saveexec_b32 s7, s9
; %bb.6:
	v_mov_b32_e32 v5, 0
	v_mov_b32_e32 v6, 0x3ff00000
	ds_write_b64 v4, v[5:6]
; %bb.7:
	s_or_b32 exec_lo, exec_lo, s7
	s_cmpk_lg_i32 s8, 0x7a
	s_waitcnt lgkmcnt(0)
	s_barrier
	buffer_gl0_inv
	s_cbranch_scc0 .LBB160_9
; %bb.8:
	v_cmp_lt_u32_e32 vcc_lo, v0, v1
	s_and_b32 s7, vcc_lo, exec_lo
	s_cbranch_execz .LBB160_10
	s_branch .LBB160_11
.LBB160_9:
	s_mov_b32 s7, 0
.LBB160_10:
	v_cmp_gt_u32_e32 vcc_lo, v0, v1
	s_andn2_b32 s7, s7, exec_lo
	s_and_b32 s8, vcc_lo, exec_lo
	s_or_b32 s7, s7, s8
.LBB160_11:
	s_and_saveexec_b32 s8, s7
; %bb.12:
	v_mov_b32_e32 v5, 0
	v_mov_b32_e32 v6, v5
	ds_write_b64 v4, v[5:6]
; %bb.13:
	s_or_b32 exec_lo, exec_lo, s8
	s_waitcnt lgkmcnt(0)
	s_barrier
	buffer_gl0_inv
	s_and_saveexec_b32 s7, s0
	s_cbranch_execz .LBB160_15
; %bb.14:
	v_lshlrev_b32_e32 v0, 3, v3
	v_add_nc_u32_e32 v17, 0x800, v2
	s_load_dwordx2 s[4:5], s[4:5], 0x60
	s_mul_i32 s0, s2, s6
	ds_read2_b64 v[3:6], v2 offset1:32
	ds_read_b128 v[7:10], v0 offset:8192
	ds_read_b128 v[11:14], v0 offset:8208
	s_mul_hi_u32 s6, s2, s1
	s_waitcnt lgkmcnt(0)
	s_lshl_b64 s[4:5], s[4:5], 3
	v_fma_f64 v[3:4], v[3:4], v[7:8], 0
	s_add_u32 s4, s12, s4
	s_addc_u32 s5, s13, s5
	s_add_i32 s0, s6, s0
	v_fma_f64 v[7:8], v[5:6], v[9:10], v[3:4]
	ds_read2_b64 v[3:6], v2 offset0:64 offset1:96
	s_waitcnt lgkmcnt(0)
	v_fma_f64 v[3:4], v[3:4], v[11:12], v[7:8]
	v_fma_f64 v[15:16], v[5:6], v[13:14], v[3:4]
	ds_read2_b64 v[3:6], v2 offset0:128 offset1:160
	ds_read_b128 v[7:10], v0 offset:8224
	ds_read_b128 v[11:14], v0 offset:8240
	s_waitcnt lgkmcnt(1)
	v_fma_f64 v[3:4], v[3:4], v[7:8], v[15:16]
	v_fma_f64 v[7:8], v[5:6], v[9:10], v[3:4]
	ds_read2_b64 v[3:6], v2 offset0:192 offset1:224
	s_waitcnt lgkmcnt(0)
	v_fma_f64 v[3:4], v[3:4], v[11:12], v[7:8]
	v_fma_f64 v[15:16], v[5:6], v[13:14], v[3:4]
	ds_read2_b64 v[3:6], v17 offset1:32
	ds_read_b128 v[7:10], v0 offset:8256
	ds_read_b128 v[11:14], v0 offset:8272
	s_waitcnt lgkmcnt(1)
	v_fma_f64 v[3:4], v[3:4], v[7:8], v[15:16]
	v_fma_f64 v[7:8], v[5:6], v[9:10], v[3:4]
	ds_read2_b64 v[3:6], v17 offset0:64 offset1:96
	s_waitcnt lgkmcnt(0)
	v_fma_f64 v[3:4], v[3:4], v[11:12], v[7:8]
	v_fma_f64 v[15:16], v[5:6], v[13:14], v[3:4]
	ds_read2_b64 v[3:6], v17 offset0:128 offset1:160
	ds_read_b128 v[7:10], v0 offset:8288
	ds_read_b128 v[11:14], v0 offset:8304
	s_waitcnt lgkmcnt(1)
	v_fma_f64 v[3:4], v[3:4], v[7:8], v[15:16]
	v_fma_f64 v[7:8], v[5:6], v[9:10], v[3:4]
	ds_read2_b64 v[3:6], v17 offset0:192 offset1:224
	v_add_nc_u32_e32 v17, 0x1000, v2
	s_waitcnt lgkmcnt(0)
	v_fma_f64 v[3:4], v[3:4], v[11:12], v[7:8]
	v_fma_f64 v[15:16], v[5:6], v[13:14], v[3:4]
	ds_read2_b64 v[3:6], v17 offset1:32
	ds_read_b128 v[7:10], v0 offset:8320
	ds_read_b128 v[11:14], v0 offset:8336
	s_waitcnt lgkmcnt(1)
	v_fma_f64 v[3:4], v[3:4], v[7:8], v[15:16]
	v_fma_f64 v[7:8], v[5:6], v[9:10], v[3:4]
	ds_read2_b64 v[3:6], v17 offset0:64 offset1:96
	s_waitcnt lgkmcnt(0)
	v_fma_f64 v[3:4], v[3:4], v[11:12], v[7:8]
	v_fma_f64 v[15:16], v[5:6], v[13:14], v[3:4]
	ds_read2_b64 v[3:6], v17 offset0:128 offset1:160
	ds_read_b128 v[7:10], v0 offset:8352
	ds_read_b128 v[11:14], v0 offset:8368
	s_waitcnt lgkmcnt(1)
	v_fma_f64 v[3:4], v[3:4], v[7:8], v[15:16]
	v_fma_f64 v[7:8], v[5:6], v[9:10], v[3:4]
	ds_read2_b64 v[3:6], v17 offset0:192 offset1:224
	v_add_nc_u32_e32 v17, 0x1800, v2
	s_waitcnt lgkmcnt(0)
	v_fma_f64 v[3:4], v[3:4], v[11:12], v[7:8]
	v_fma_f64 v[15:16], v[5:6], v[13:14], v[3:4]
	ds_read2_b64 v[3:6], v17 offset1:32
	ds_read_b128 v[7:10], v0 offset:8384
	ds_read_b128 v[11:14], v0 offset:8400
	s_waitcnt lgkmcnt(1)
	v_fma_f64 v[3:4], v[3:4], v[7:8], v[15:16]
	v_fma_f64 v[7:8], v[5:6], v[9:10], v[3:4]
	ds_read2_b64 v[3:6], v17 offset0:64 offset1:96
	s_waitcnt lgkmcnt(0)
	v_fma_f64 v[3:4], v[3:4], v[11:12], v[7:8]
	v_fma_f64 v[15:16], v[5:6], v[13:14], v[3:4]
	ds_read2_b64 v[3:6], v17 offset0:128 offset1:160
	ds_read_b128 v[7:10], v0 offset:8416
	ds_read_b128 v[11:14], v0 offset:8432
	s_waitcnt lgkmcnt(1)
	v_fma_f64 v[3:4], v[3:4], v[7:8], v[15:16]
	v_fma_f64 v[7:8], v[5:6], v[9:10], v[3:4]
	ds_read2_b64 v[3:6], v17 offset0:192 offset1:224
	s_waitcnt lgkmcnt(0)
	v_fma_f64 v[3:4], v[3:4], v[11:12], v[7:8]
	v_fma_f64 v[3:4], v[5:6], v[13:14], v[3:4]
	v_mad_u64_u32 v[5:6], null, s2, v1, 0
	s_mul_i32 s2, s2, s1
	v_mov_b32_e32 v0, v6
	v_mad_u64_u32 v[0:1], null, s3, v1, v[0:1]
	s_mul_i32 s3, s3, s1
	s_add_i32 s3, s0, s3
	s_lshl_b64 s[0:1], s[2:3], 3
	v_mov_b32_e32 v6, v0
	v_mul_f64 v[0:1], s[24:25], v[3:4]
	s_add_u32 s0, s4, s0
	s_addc_u32 s1, s5, s1
	v_lshlrev_b64 v[3:4], 3, v[5:6]
	v_add_co_u32 v3, vcc_lo, s0, v3
	v_add_co_ci_u32_e64 v4, null, s1, v4, vcc_lo
	v_add_co_u32 v2, vcc_lo, v3, v2
	v_add_co_ci_u32_e64 v3, null, 0, v4, vcc_lo
	flat_store_dwordx2 v[2:3], v[0:1]
.LBB160_15:
	s_endpgm
	.section	.rodata,"a",@progbits
	.p2align	6, 0x0
	.amdhsa_kernel _ZL23rocblas_trmm_lTx_kernelILi32ELb1EdPKdKS1_KPdEv13rocblas_fill_17rocblas_diagonal_iiT2_lPT3_llS9_llPT4_lli
		.amdhsa_group_segment_fixed_size 16384
		.amdhsa_private_segment_fixed_size 0
		.amdhsa_kernarg_size 108
		.amdhsa_user_sgpr_count 6
		.amdhsa_user_sgpr_private_segment_buffer 1
		.amdhsa_user_sgpr_dispatch_ptr 0
		.amdhsa_user_sgpr_queue_ptr 0
		.amdhsa_user_sgpr_kernarg_segment_ptr 1
		.amdhsa_user_sgpr_dispatch_id 0
		.amdhsa_user_sgpr_flat_scratch_init 0
		.amdhsa_user_sgpr_private_segment_size 0
		.amdhsa_wavefront_size32 1
		.amdhsa_uses_dynamic_stack 0
		.amdhsa_system_sgpr_private_segment_wavefront_offset 0
		.amdhsa_system_sgpr_workgroup_id_x 1
		.amdhsa_system_sgpr_workgroup_id_y 0
		.amdhsa_system_sgpr_workgroup_id_z 1
		.amdhsa_system_sgpr_workgroup_info 0
		.amdhsa_system_vgpr_workitem_id 1
		.amdhsa_next_free_vgpr 18
		.amdhsa_next_free_sgpr 32
		.amdhsa_reserve_vcc 1
		.amdhsa_reserve_flat_scratch 0
		.amdhsa_float_round_mode_32 0
		.amdhsa_float_round_mode_16_64 0
		.amdhsa_float_denorm_mode_32 3
		.amdhsa_float_denorm_mode_16_64 3
		.amdhsa_dx10_clamp 1
		.amdhsa_ieee_mode 1
		.amdhsa_fp16_overflow 0
		.amdhsa_workgroup_processor_mode 1
		.amdhsa_memory_ordered 1
		.amdhsa_forward_progress 1
		.amdhsa_shared_vgpr_count 0
		.amdhsa_exception_fp_ieee_invalid_op 0
		.amdhsa_exception_fp_denorm_src 0
		.amdhsa_exception_fp_ieee_div_zero 0
		.amdhsa_exception_fp_ieee_overflow 0
		.amdhsa_exception_fp_ieee_underflow 0
		.amdhsa_exception_fp_ieee_inexact 0
		.amdhsa_exception_int_div_zero 0
	.end_amdhsa_kernel
	.section	.text._ZL23rocblas_trmm_lTx_kernelILi32ELb1EdPKdKS1_KPdEv13rocblas_fill_17rocblas_diagonal_iiT2_lPT3_llS9_llPT4_lli,"axG",@progbits,_ZL23rocblas_trmm_lTx_kernelILi32ELb1EdPKdKS1_KPdEv13rocblas_fill_17rocblas_diagonal_iiT2_lPT3_llS9_llPT4_lli,comdat
.Lfunc_end160:
	.size	_ZL23rocblas_trmm_lTx_kernelILi32ELb1EdPKdKS1_KPdEv13rocblas_fill_17rocblas_diagonal_iiT2_lPT3_llS9_llPT4_lli, .Lfunc_end160-_ZL23rocblas_trmm_lTx_kernelILi32ELb1EdPKdKS1_KPdEv13rocblas_fill_17rocblas_diagonal_iiT2_lPT3_llS9_llPT4_lli
                                        ; -- End function
	.set _ZL23rocblas_trmm_lTx_kernelILi32ELb1EdPKdKS1_KPdEv13rocblas_fill_17rocblas_diagonal_iiT2_lPT3_llS9_llPT4_lli.num_vgpr, 18
	.set _ZL23rocblas_trmm_lTx_kernelILi32ELb1EdPKdKS1_KPdEv13rocblas_fill_17rocblas_diagonal_iiT2_lPT3_llS9_llPT4_lli.num_agpr, 0
	.set _ZL23rocblas_trmm_lTx_kernelILi32ELb1EdPKdKS1_KPdEv13rocblas_fill_17rocblas_diagonal_iiT2_lPT3_llS9_llPT4_lli.numbered_sgpr, 32
	.set _ZL23rocblas_trmm_lTx_kernelILi32ELb1EdPKdKS1_KPdEv13rocblas_fill_17rocblas_diagonal_iiT2_lPT3_llS9_llPT4_lli.num_named_barrier, 0
	.set _ZL23rocblas_trmm_lTx_kernelILi32ELb1EdPKdKS1_KPdEv13rocblas_fill_17rocblas_diagonal_iiT2_lPT3_llS9_llPT4_lli.private_seg_size, 0
	.set _ZL23rocblas_trmm_lTx_kernelILi32ELb1EdPKdKS1_KPdEv13rocblas_fill_17rocblas_diagonal_iiT2_lPT3_llS9_llPT4_lli.uses_vcc, 1
	.set _ZL23rocblas_trmm_lTx_kernelILi32ELb1EdPKdKS1_KPdEv13rocblas_fill_17rocblas_diagonal_iiT2_lPT3_llS9_llPT4_lli.uses_flat_scratch, 0
	.set _ZL23rocblas_trmm_lTx_kernelILi32ELb1EdPKdKS1_KPdEv13rocblas_fill_17rocblas_diagonal_iiT2_lPT3_llS9_llPT4_lli.has_dyn_sized_stack, 0
	.set _ZL23rocblas_trmm_lTx_kernelILi32ELb1EdPKdKS1_KPdEv13rocblas_fill_17rocblas_diagonal_iiT2_lPT3_llS9_llPT4_lli.has_recursion, 0
	.set _ZL23rocblas_trmm_lTx_kernelILi32ELb1EdPKdKS1_KPdEv13rocblas_fill_17rocblas_diagonal_iiT2_lPT3_llS9_llPT4_lli.has_indirect_call, 0
	.section	.AMDGPU.csdata,"",@progbits
; Kernel info:
; codeLenInByte = 1432
; TotalNumSgprs: 34
; NumVgprs: 18
; ScratchSize: 0
; MemoryBound: 0
; FloatMode: 240
; IeeeMode: 1
; LDSByteSize: 16384 bytes/workgroup (compile time only)
; SGPRBlocks: 0
; VGPRBlocks: 2
; NumSGPRsForWavesPerEU: 34
; NumVGPRsForWavesPerEU: 18
; Occupancy: 16
; WaveLimiterHint : 1
; COMPUTE_PGM_RSRC2:SCRATCH_EN: 0
; COMPUTE_PGM_RSRC2:USER_SGPR: 6
; COMPUTE_PGM_RSRC2:TRAP_HANDLER: 0
; COMPUTE_PGM_RSRC2:TGID_X_EN: 1
; COMPUTE_PGM_RSRC2:TGID_Y_EN: 0
; COMPUTE_PGM_RSRC2:TGID_Z_EN: 1
; COMPUTE_PGM_RSRC2:TIDIG_COMP_CNT: 1
	.section	.text._ZL23rocblas_trmm_lTx_kernelILi32ELb1EddKPKdKPdEv13rocblas_fill_17rocblas_diagonal_iiT2_lPT3_llS9_llPT4_lli,"axG",@progbits,_ZL23rocblas_trmm_lTx_kernelILi32ELb1EddKPKdKPdEv13rocblas_fill_17rocblas_diagonal_iiT2_lPT3_llS9_llPT4_lli,comdat
	.globl	_ZL23rocblas_trmm_lTx_kernelILi32ELb1EddKPKdKPdEv13rocblas_fill_17rocblas_diagonal_iiT2_lPT3_llS9_llPT4_lli ; -- Begin function _ZL23rocblas_trmm_lTx_kernelILi32ELb1EddKPKdKPdEv13rocblas_fill_17rocblas_diagonal_iiT2_lPT3_llS9_llPT4_lli
	.p2align	8
	.type	_ZL23rocblas_trmm_lTx_kernelILi32ELb1EddKPKdKPdEv13rocblas_fill_17rocblas_diagonal_iiT2_lPT3_llS9_llPT4_lli,@function
_ZL23rocblas_trmm_lTx_kernelILi32ELb1EddKPKdKPdEv13rocblas_fill_17rocblas_diagonal_iiT2_lPT3_llS9_llPT4_lli: ; @_ZL23rocblas_trmm_lTx_kernelILi32ELb1EddKPKdKPdEv13rocblas_fill_17rocblas_diagonal_iiT2_lPT3_llS9_llPT4_lli
; %bb.0:
	s_load_dwordx2 s[2:3], s[4:5], 0x10
	s_waitcnt lgkmcnt(0)
	v_cmp_eq_f64_e64 s1, s[2:3], 0
	s_and_b32 vcc_lo, exec_lo, s1
	s_cbranch_vccnz .LBB161_15
; %bb.1:
	s_load_dwordx16 s[8:23], s[4:5], 0x20
	s_mov_b32 s0, s7
	s_mov_b32 s1, 0
	s_load_dwordx4 s[24:27], s[4:5], 0x0
	s_lshl_b64 s[30:31], s[0:1], 3
	v_lshlrev_b32_e32 v3, 5, v1
	s_mov_b32 s0, s1
	v_mov_b32_e32 v6, s1
	v_mov_b32_e32 v5, s0
	v_lshlrev_b32_e32 v2, 3, v0
	v_add_lshl_u32 v4, v3, v0, 3
	s_waitcnt lgkmcnt(0)
	s_add_u32 s8, s8, s30
	s_addc_u32 s9, s9, s31
	s_add_u32 s14, s14, s30
	s_addc_u32 s15, s15, s31
	s_load_dwordx2 s[28:29], s[8:9], 0x0
	s_add_u32 s8, s20, s30
	s_addc_u32 s9, s21, s31
	s_load_dwordx2 s[14:15], s[14:15], 0x0
	s_load_dwordx2 s[8:9], s[8:9], 0x0
	v_cmp_gt_i32_e64 s0, s26, v1
	v_cmp_gt_i32_e32 vcc_lo, s26, v0
	ds_write2st64_b64 v4, v[5:6], v[5:6] offset1:16
	s_waitcnt lgkmcnt(0)
	s_barrier
	buffer_gl0_inv
	s_and_b32 s0, s0, vcc_lo
	s_and_saveexec_b32 s1, s0
	s_cbranch_execz .LBB161_3
; %bb.2:
	v_mad_u64_u32 v[5:6], null, s10, v1, 0
	v_mad_u64_u32 v[6:7], null, s11, v1, v[6:7]
	s_lshl_b64 s[10:11], s[12:13], 3
	v_lshlrev_b32_e32 v7, 3, v1
	s_add_u32 s0, s28, s10
	s_addc_u32 s7, s29, s11
	v_lshl_add_u32 v7, v0, 8, v7
	v_lshlrev_b64 v[5:6], 3, v[5:6]
	v_add_co_u32 v5, s0, s0, v5
	v_add_co_ci_u32_e64 v6, null, s7, v6, s0
	v_add_co_u32 v5, s0, v5, v2
	v_add_co_ci_u32_e64 v6, null, 0, v6, s0
	flat_load_dwordx2 v[5:6], v[5:6]
	s_waitcnt vmcnt(0) lgkmcnt(0)
	ds_write_b64 v7, v[5:6]
.LBB161_3:
	s_or_b32 exec_lo, exec_lo, s1
	s_add_i32 s0, s27, -1
	s_ashr_i32 s1, s0, 31
	s_lshr_b32 s1, s1, 27
	s_add_i32 s0, s0, s1
	s_and_b32 s1, s0, 0xffffffe0
	s_ashr_i32 s0, s0, 5
	s_sub_i32 s1, s27, s1
	s_cmp_ge_i32 s6, s0
	s_cselect_b32 s0, s1, 32
	s_lshl_b32 s1, s6, 5
	v_cmp_gt_i32_e64 s0, s0, v1
	s_ashr_i32 s6, s1, 31
	s_and_b32 s0, vcc_lo, s0
	s_and_saveexec_b32 s7, s0
	s_cbranch_execz .LBB161_5
; %bb.4:
	v_mad_u64_u32 v[5:6], null, s16, v1, 0
	s_lshl_b64 s[10:11], s[18:19], 3
	s_mul_i32 s12, s16, s6
	s_mul_hi_u32 s13, s16, s1
	s_add_u32 s14, s14, s10
	s_addc_u32 s15, s15, s11
	s_add_i32 s11, s13, s12
	v_mad_u64_u32 v[6:7], null, s17, v1, v[6:7]
	s_mul_i32 s17, s17, s1
	s_mul_i32 s10, s16, s1
	s_add_i32 s11, s11, s17
	v_add_nc_u32_e32 v7, 0x2000, v4
	s_lshl_b64 s[10:11], s[10:11], 3
	s_add_u32 s10, s14, s10
	v_lshlrev_b64 v[5:6], 3, v[5:6]
	s_addc_u32 s11, s15, s11
	v_add_co_u32 v5, vcc_lo, s10, v5
	v_add_co_ci_u32_e64 v6, null, s11, v6, vcc_lo
	v_add_co_u32 v5, vcc_lo, v5, v2
	v_add_co_ci_u32_e64 v6, null, 0, v6, vcc_lo
	flat_load_dwordx2 v[5:6], v[5:6]
	s_waitcnt vmcnt(0) lgkmcnt(0)
	ds_write_b64 v7, v[5:6]
.LBB161_5:
	s_or_b32 exec_lo, exec_lo, s7
	v_cmp_eq_u32_e32 vcc_lo, v1, v0
	s_cmpk_eq_i32 s25, 0x84
	s_cselect_b32 s7, -1, 0
	s_and_b32 s10, vcc_lo, s7
	s_and_saveexec_b32 s7, s10
; %bb.6:
	v_mov_b32_e32 v5, 0
	v_mov_b32_e32 v6, 0x3ff00000
	ds_write_b64 v4, v[5:6]
; %bb.7:
	s_or_b32 exec_lo, exec_lo, s7
	s_cmpk_lg_i32 s24, 0x7a
	s_waitcnt lgkmcnt(0)
	s_barrier
	buffer_gl0_inv
	s_cbranch_scc0 .LBB161_9
; %bb.8:
	v_cmp_lt_u32_e32 vcc_lo, v0, v1
	s_and_b32 s7, vcc_lo, exec_lo
	s_cbranch_execz .LBB161_10
	s_branch .LBB161_11
.LBB161_9:
	s_mov_b32 s7, 0
.LBB161_10:
	v_cmp_gt_u32_e32 vcc_lo, v0, v1
	s_andn2_b32 s7, s7, exec_lo
	s_and_b32 s10, vcc_lo, exec_lo
	s_or_b32 s7, s7, s10
.LBB161_11:
	s_and_saveexec_b32 s10, s7
; %bb.12:
	v_mov_b32_e32 v5, 0
	v_mov_b32_e32 v6, v5
	ds_write_b64 v4, v[5:6]
; %bb.13:
	s_or_b32 exec_lo, exec_lo, s10
	s_waitcnt lgkmcnt(0)
	s_barrier
	buffer_gl0_inv
	s_and_saveexec_b32 s7, s0
	s_cbranch_execz .LBB161_15
; %bb.14:
	v_lshlrev_b32_e32 v0, 3, v3
	v_add_nc_u32_e32 v17, 0x800, v2
	s_load_dwordx2 s[4:5], s[4:5], 0x60
	s_mul_i32 s0, s22, s6
	ds_read2_b64 v[3:6], v2 offset1:32
	ds_read_b128 v[7:10], v0 offset:8192
	ds_read_b128 v[11:14], v0 offset:8208
	s_mul_hi_u32 s6, s22, s1
	s_waitcnt lgkmcnt(0)
	s_lshl_b64 s[4:5], s[4:5], 3
	v_fma_f64 v[3:4], v[3:4], v[7:8], 0
	s_add_u32 s4, s8, s4
	s_addc_u32 s5, s9, s5
	s_add_i32 s0, s6, s0
	s_mul_i32 s6, s23, s1
	v_fma_f64 v[7:8], v[5:6], v[9:10], v[3:4]
	ds_read2_b64 v[3:6], v2 offset0:64 offset1:96
	s_waitcnt lgkmcnt(0)
	v_fma_f64 v[3:4], v[3:4], v[11:12], v[7:8]
	v_fma_f64 v[15:16], v[5:6], v[13:14], v[3:4]
	ds_read2_b64 v[3:6], v2 offset0:128 offset1:160
	ds_read_b128 v[7:10], v0 offset:8224
	ds_read_b128 v[11:14], v0 offset:8240
	s_waitcnt lgkmcnt(1)
	v_fma_f64 v[3:4], v[3:4], v[7:8], v[15:16]
	v_fma_f64 v[7:8], v[5:6], v[9:10], v[3:4]
	ds_read2_b64 v[3:6], v2 offset0:192 offset1:224
	s_waitcnt lgkmcnt(0)
	v_fma_f64 v[3:4], v[3:4], v[11:12], v[7:8]
	v_fma_f64 v[15:16], v[5:6], v[13:14], v[3:4]
	ds_read2_b64 v[3:6], v17 offset1:32
	ds_read_b128 v[7:10], v0 offset:8256
	ds_read_b128 v[11:14], v0 offset:8272
	s_waitcnt lgkmcnt(1)
	v_fma_f64 v[3:4], v[3:4], v[7:8], v[15:16]
	v_fma_f64 v[7:8], v[5:6], v[9:10], v[3:4]
	ds_read2_b64 v[3:6], v17 offset0:64 offset1:96
	s_waitcnt lgkmcnt(0)
	v_fma_f64 v[3:4], v[3:4], v[11:12], v[7:8]
	v_fma_f64 v[15:16], v[5:6], v[13:14], v[3:4]
	ds_read2_b64 v[3:6], v17 offset0:128 offset1:160
	ds_read_b128 v[7:10], v0 offset:8288
	ds_read_b128 v[11:14], v0 offset:8304
	s_waitcnt lgkmcnt(1)
	v_fma_f64 v[3:4], v[3:4], v[7:8], v[15:16]
	v_fma_f64 v[7:8], v[5:6], v[9:10], v[3:4]
	ds_read2_b64 v[3:6], v17 offset0:192 offset1:224
	v_add_nc_u32_e32 v17, 0x1000, v2
	s_waitcnt lgkmcnt(0)
	v_fma_f64 v[3:4], v[3:4], v[11:12], v[7:8]
	v_fma_f64 v[15:16], v[5:6], v[13:14], v[3:4]
	ds_read2_b64 v[3:6], v17 offset1:32
	ds_read_b128 v[7:10], v0 offset:8320
	ds_read_b128 v[11:14], v0 offset:8336
	s_waitcnt lgkmcnt(1)
	v_fma_f64 v[3:4], v[3:4], v[7:8], v[15:16]
	v_fma_f64 v[7:8], v[5:6], v[9:10], v[3:4]
	ds_read2_b64 v[3:6], v17 offset0:64 offset1:96
	s_waitcnt lgkmcnt(0)
	v_fma_f64 v[3:4], v[3:4], v[11:12], v[7:8]
	v_fma_f64 v[15:16], v[5:6], v[13:14], v[3:4]
	ds_read2_b64 v[3:6], v17 offset0:128 offset1:160
	ds_read_b128 v[7:10], v0 offset:8352
	ds_read_b128 v[11:14], v0 offset:8368
	s_waitcnt lgkmcnt(1)
	v_fma_f64 v[3:4], v[3:4], v[7:8], v[15:16]
	v_fma_f64 v[7:8], v[5:6], v[9:10], v[3:4]
	ds_read2_b64 v[3:6], v17 offset0:192 offset1:224
	v_add_nc_u32_e32 v17, 0x1800, v2
	s_waitcnt lgkmcnt(0)
	v_fma_f64 v[3:4], v[3:4], v[11:12], v[7:8]
	v_fma_f64 v[15:16], v[5:6], v[13:14], v[3:4]
	ds_read2_b64 v[3:6], v17 offset1:32
	ds_read_b128 v[7:10], v0 offset:8384
	ds_read_b128 v[11:14], v0 offset:8400
	s_waitcnt lgkmcnt(1)
	v_fma_f64 v[3:4], v[3:4], v[7:8], v[15:16]
	v_fma_f64 v[7:8], v[5:6], v[9:10], v[3:4]
	ds_read2_b64 v[3:6], v17 offset0:64 offset1:96
	s_waitcnt lgkmcnt(0)
	v_fma_f64 v[3:4], v[3:4], v[11:12], v[7:8]
	v_fma_f64 v[15:16], v[5:6], v[13:14], v[3:4]
	ds_read2_b64 v[3:6], v17 offset0:128 offset1:160
	ds_read_b128 v[7:10], v0 offset:8416
	ds_read_b128 v[11:14], v0 offset:8432
	s_waitcnt lgkmcnt(1)
	v_fma_f64 v[3:4], v[3:4], v[7:8], v[15:16]
	v_fma_f64 v[7:8], v[5:6], v[9:10], v[3:4]
	ds_read2_b64 v[3:6], v17 offset0:192 offset1:224
	s_waitcnt lgkmcnt(0)
	v_fma_f64 v[3:4], v[3:4], v[11:12], v[7:8]
	v_fma_f64 v[3:4], v[5:6], v[13:14], v[3:4]
	v_mad_u64_u32 v[5:6], null, s22, v1, 0
	v_mov_b32_e32 v0, v6
	v_mad_u64_u32 v[0:1], null, s23, v1, v[0:1]
	v_mov_b32_e32 v6, v0
	v_mul_f64 v[0:1], s[2:3], v[3:4]
	s_add_i32 s3, s0, s6
	s_mul_i32 s2, s22, s1
	v_lshlrev_b64 v[3:4], 3, v[5:6]
	s_lshl_b64 s[0:1], s[2:3], 3
	s_add_u32 s0, s4, s0
	s_addc_u32 s1, s5, s1
	v_add_co_u32 v3, vcc_lo, s0, v3
	v_add_co_ci_u32_e64 v4, null, s1, v4, vcc_lo
	v_add_co_u32 v2, vcc_lo, v3, v2
	v_add_co_ci_u32_e64 v3, null, 0, v4, vcc_lo
	flat_store_dwordx2 v[2:3], v[0:1]
.LBB161_15:
	s_endpgm
	.section	.rodata,"a",@progbits
	.p2align	6, 0x0
	.amdhsa_kernel _ZL23rocblas_trmm_lTx_kernelILi32ELb1EddKPKdKPdEv13rocblas_fill_17rocblas_diagonal_iiT2_lPT3_llS9_llPT4_lli
		.amdhsa_group_segment_fixed_size 16384
		.amdhsa_private_segment_fixed_size 0
		.amdhsa_kernarg_size 108
		.amdhsa_user_sgpr_count 6
		.amdhsa_user_sgpr_private_segment_buffer 1
		.amdhsa_user_sgpr_dispatch_ptr 0
		.amdhsa_user_sgpr_queue_ptr 0
		.amdhsa_user_sgpr_kernarg_segment_ptr 1
		.amdhsa_user_sgpr_dispatch_id 0
		.amdhsa_user_sgpr_flat_scratch_init 0
		.amdhsa_user_sgpr_private_segment_size 0
		.amdhsa_wavefront_size32 1
		.amdhsa_uses_dynamic_stack 0
		.amdhsa_system_sgpr_private_segment_wavefront_offset 0
		.amdhsa_system_sgpr_workgroup_id_x 1
		.amdhsa_system_sgpr_workgroup_id_y 0
		.amdhsa_system_sgpr_workgroup_id_z 1
		.amdhsa_system_sgpr_workgroup_info 0
		.amdhsa_system_vgpr_workitem_id 1
		.amdhsa_next_free_vgpr 18
		.amdhsa_next_free_sgpr 32
		.amdhsa_reserve_vcc 1
		.amdhsa_reserve_flat_scratch 0
		.amdhsa_float_round_mode_32 0
		.amdhsa_float_round_mode_16_64 0
		.amdhsa_float_denorm_mode_32 3
		.amdhsa_float_denorm_mode_16_64 3
		.amdhsa_dx10_clamp 1
		.amdhsa_ieee_mode 1
		.amdhsa_fp16_overflow 0
		.amdhsa_workgroup_processor_mode 1
		.amdhsa_memory_ordered 1
		.amdhsa_forward_progress 1
		.amdhsa_shared_vgpr_count 0
		.amdhsa_exception_fp_ieee_invalid_op 0
		.amdhsa_exception_fp_denorm_src 0
		.amdhsa_exception_fp_ieee_div_zero 0
		.amdhsa_exception_fp_ieee_overflow 0
		.amdhsa_exception_fp_ieee_underflow 0
		.amdhsa_exception_fp_ieee_inexact 0
		.amdhsa_exception_int_div_zero 0
	.end_amdhsa_kernel
	.section	.text._ZL23rocblas_trmm_lTx_kernelILi32ELb1EddKPKdKPdEv13rocblas_fill_17rocblas_diagonal_iiT2_lPT3_llS9_llPT4_lli,"axG",@progbits,_ZL23rocblas_trmm_lTx_kernelILi32ELb1EddKPKdKPdEv13rocblas_fill_17rocblas_diagonal_iiT2_lPT3_llS9_llPT4_lli,comdat
.Lfunc_end161:
	.size	_ZL23rocblas_trmm_lTx_kernelILi32ELb1EddKPKdKPdEv13rocblas_fill_17rocblas_diagonal_iiT2_lPT3_llS9_llPT4_lli, .Lfunc_end161-_ZL23rocblas_trmm_lTx_kernelILi32ELb1EddKPKdKPdEv13rocblas_fill_17rocblas_diagonal_iiT2_lPT3_llS9_llPT4_lli
                                        ; -- End function
	.set _ZL23rocblas_trmm_lTx_kernelILi32ELb1EddKPKdKPdEv13rocblas_fill_17rocblas_diagonal_iiT2_lPT3_llS9_llPT4_lli.num_vgpr, 18
	.set _ZL23rocblas_trmm_lTx_kernelILi32ELb1EddKPKdKPdEv13rocblas_fill_17rocblas_diagonal_iiT2_lPT3_llS9_llPT4_lli.num_agpr, 0
	.set _ZL23rocblas_trmm_lTx_kernelILi32ELb1EddKPKdKPdEv13rocblas_fill_17rocblas_diagonal_iiT2_lPT3_llS9_llPT4_lli.numbered_sgpr, 32
	.set _ZL23rocblas_trmm_lTx_kernelILi32ELb1EddKPKdKPdEv13rocblas_fill_17rocblas_diagonal_iiT2_lPT3_llS9_llPT4_lli.num_named_barrier, 0
	.set _ZL23rocblas_trmm_lTx_kernelILi32ELb1EddKPKdKPdEv13rocblas_fill_17rocblas_diagonal_iiT2_lPT3_llS9_llPT4_lli.private_seg_size, 0
	.set _ZL23rocblas_trmm_lTx_kernelILi32ELb1EddKPKdKPdEv13rocblas_fill_17rocblas_diagonal_iiT2_lPT3_llS9_llPT4_lli.uses_vcc, 1
	.set _ZL23rocblas_trmm_lTx_kernelILi32ELb1EddKPKdKPdEv13rocblas_fill_17rocblas_diagonal_iiT2_lPT3_llS9_llPT4_lli.uses_flat_scratch, 0
	.set _ZL23rocblas_trmm_lTx_kernelILi32ELb1EddKPKdKPdEv13rocblas_fill_17rocblas_diagonal_iiT2_lPT3_llS9_llPT4_lli.has_dyn_sized_stack, 0
	.set _ZL23rocblas_trmm_lTx_kernelILi32ELb1EddKPKdKPdEv13rocblas_fill_17rocblas_diagonal_iiT2_lPT3_llS9_llPT4_lli.has_recursion, 0
	.set _ZL23rocblas_trmm_lTx_kernelILi32ELb1EddKPKdKPdEv13rocblas_fill_17rocblas_diagonal_iiT2_lPT3_llS9_llPT4_lli.has_indirect_call, 0
	.section	.AMDGPU.csdata,"",@progbits
; Kernel info:
; codeLenInByte = 1388
; TotalNumSgprs: 34
; NumVgprs: 18
; ScratchSize: 0
; MemoryBound: 0
; FloatMode: 240
; IeeeMode: 1
; LDSByteSize: 16384 bytes/workgroup (compile time only)
; SGPRBlocks: 0
; VGPRBlocks: 2
; NumSGPRsForWavesPerEU: 34
; NumVGPRsForWavesPerEU: 18
; Occupancy: 16
; WaveLimiterHint : 1
; COMPUTE_PGM_RSRC2:SCRATCH_EN: 0
; COMPUTE_PGM_RSRC2:USER_SGPR: 6
; COMPUTE_PGM_RSRC2:TRAP_HANDLER: 0
; COMPUTE_PGM_RSRC2:TGID_X_EN: 1
; COMPUTE_PGM_RSRC2:TGID_Y_EN: 0
; COMPUTE_PGM_RSRC2:TGID_Z_EN: 1
; COMPUTE_PGM_RSRC2:TIDIG_COMP_CNT: 1
	.section	.text._ZL23rocblas_trmm_rNx_kernelILi32EdPKdKS1_KPdEv13rocblas_fill_17rocblas_diagonal_iiT1_lPT2_llS9_llPT3_lli,"axG",@progbits,_ZL23rocblas_trmm_rNx_kernelILi32EdPKdKS1_KPdEv13rocblas_fill_17rocblas_diagonal_iiT1_lPT2_llS9_llPT3_lli,comdat
	.globl	_ZL23rocblas_trmm_rNx_kernelILi32EdPKdKS1_KPdEv13rocblas_fill_17rocblas_diagonal_iiT1_lPT2_llS9_llPT3_lli ; -- Begin function _ZL23rocblas_trmm_rNx_kernelILi32EdPKdKS1_KPdEv13rocblas_fill_17rocblas_diagonal_iiT1_lPT2_llS9_llPT3_lli
	.p2align	8
	.type	_ZL23rocblas_trmm_rNx_kernelILi32EdPKdKS1_KPdEv13rocblas_fill_17rocblas_diagonal_iiT1_lPT2_llS9_llPT3_lli,@function
_ZL23rocblas_trmm_rNx_kernelILi32EdPKdKS1_KPdEv13rocblas_fill_17rocblas_diagonal_iiT1_lPT2_llS9_llPT3_lli: ; @_ZL23rocblas_trmm_rNx_kernelILi32EdPKdKS1_KPdEv13rocblas_fill_17rocblas_diagonal_iiT1_lPT2_llS9_llPT3_lli
; %bb.0:
	s_load_dwordx16 s[8:23], s[4:5], 0x10
	s_waitcnt lgkmcnt(0)
	s_mul_i32 s0, s11, s7
	s_mul_hi_u32 s1, s10, s7
	s_add_i32 s1, s1, s0
	s_mul_i32 s0, s10, s7
	s_lshl_b64 s[0:1], s[0:1], 3
	s_add_u32 s0, s8, s0
	s_addc_u32 s1, s9, s1
	s_load_dwordx2 s[24:25], s[0:1], 0x0
	s_waitcnt lgkmcnt(0)
	v_cmp_eq_f64_e64 s0, s[24:25], 0
	s_and_b32 vcc_lo, exec_lo, s0
	s_cbranch_vccnz .LBB162_15
; %bb.1:
	s_clause 0x1
	s_load_dwordx4 s[0:3], s[4:5], 0x50
	s_load_dwordx4 s[8:11], s[4:5], 0x0
	s_mov_b32 s28, s7
	s_mov_b32 s29, 0
	v_lshlrev_b32_e32 v3, 5, v1
	s_lshl_b64 s[30:31], s[28:29], 3
	s_mov_b32 s28, s29
	s_add_u32 s18, s18, s30
	s_addc_u32 s19, s19, s31
	v_mov_b32_e32 v5, s28
	v_add_lshl_u32 v4, v3, v0, 3
	v_mov_b32_e32 v6, s29
	v_lshlrev_b32_e32 v2, 3, v0
	s_waitcnt lgkmcnt(0)
	s_add_u32 s0, s0, s30
	s_addc_u32 s1, s1, s31
	s_load_dwordx2 s[26:27], s[18:19], 0x0
	s_load_dwordx2 s[18:19], s[0:1], 0x0
	v_cmp_gt_i32_e32 vcc_lo, s11, v1
	v_cmp_gt_i32_e64 s0, s11, v0
	ds_write2st64_b64 v4, v[5:6], v[5:6] offset1:16
	s_and_b32 s0, vcc_lo, s0
	s_and_saveexec_b32 s1, s0
	s_cbranch_execz .LBB162_3
; %bb.2:
	s_add_u32 s12, s12, s30
	s_addc_u32 s13, s13, s31
	v_mad_u64_u32 v[5:6], null, s14, v1, 0
	s_load_dwordx2 s[12:13], s[12:13], 0x0
	v_mad_u64_u32 v[6:7], null, s15, v1, v[6:7]
	s_lshl_b64 s[14:15], s[16:17], 3
	v_lshlrev_b64 v[5:6], 3, v[5:6]
	s_waitcnt lgkmcnt(0)
	s_add_u32 s0, s12, s14
	s_addc_u32 s7, s13, s15
	v_add_co_u32 v5, s0, s0, v5
	v_add_co_ci_u32_e64 v6, null, s7, v6, s0
	v_add_co_u32 v5, s0, v5, v2
	v_add_co_ci_u32_e64 v6, null, 0, v6, s0
	flat_load_dwordx2 v[5:6], v[5:6]
	s_waitcnt vmcnt(0) lgkmcnt(0)
	ds_write_b64 v4, v[5:6]
.LBB162_3:
	s_or_b32 exec_lo, exec_lo, s1
	s_add_i32 s0, s10, -1
	s_ashr_i32 s1, s0, 31
	s_lshr_b32 s1, s1, 27
	s_add_i32 s0, s0, s1
	s_and_b32 s1, s0, 0xffffffe0
	s_ashr_i32 s0, s0, 5
	s_sub_i32 s1, s10, s1
	s_cmp_ge_i32 s6, s0
	s_cselect_b32 s0, s1, 32
	s_lshl_b32 s6, s6, 5
	v_cmp_gt_i32_e64 s0, s0, v0
	s_ashr_i32 s7, s6, 31
	s_and_b32 s0, vcc_lo, s0
	s_and_saveexec_b32 s1, s0
	s_cbranch_execz .LBB162_5
; %bb.4:
	v_mad_u64_u32 v[5:6], null, s20, v1, 0
	s_lshl_b64 s[10:11], s[22:23], 3
	s_waitcnt lgkmcnt(0)
	s_add_u32 s12, s26, s10
	s_addc_u32 s13, s27, s11
	s_lshl_b64 s[10:11], s[6:7], 3
	s_add_u32 s10, s12, s10
	v_mad_u64_u32 v[6:7], null, s21, v1, v[6:7]
	s_addc_u32 s11, s13, s11
	v_add_nc_u32_e32 v7, 0x2000, v4
	v_lshlrev_b64 v[5:6], 3, v[5:6]
	v_add_co_u32 v5, vcc_lo, s10, v5
	v_add_co_ci_u32_e64 v6, null, s11, v6, vcc_lo
	v_add_co_u32 v5, vcc_lo, v5, v2
	v_add_co_ci_u32_e64 v6, null, 0, v6, vcc_lo
	flat_load_dwordx2 v[5:6], v[5:6]
	s_waitcnt vmcnt(0) lgkmcnt(0)
	ds_write_b64 v7, v[5:6]
.LBB162_5:
	s_or_b32 exec_lo, exec_lo, s1
	v_cmp_eq_u32_e32 vcc_lo, v1, v0
	s_cmpk_eq_i32 s9, 0x84
	s_cselect_b32 s1, -1, 0
	s_and_b32 s9, vcc_lo, s1
	s_and_saveexec_b32 s1, s9
; %bb.6:
	v_mov_b32_e32 v5, 0
	v_mov_b32_e32 v6, 0x3ff00000
	ds_write_b64 v4, v[5:6]
; %bb.7:
	s_or_b32 exec_lo, exec_lo, s1
	s_cmpk_lg_i32 s8, 0x79
	s_cbranch_scc0 .LBB162_9
; %bb.8:
	v_cmp_lt_u32_e32 vcc_lo, v0, v1
	s_and_b32 s1, vcc_lo, exec_lo
	s_cbranch_execz .LBB162_10
	s_branch .LBB162_11
.LBB162_9:
	s_mov_b32 s1, 0
.LBB162_10:
	v_cmp_gt_u32_e32 vcc_lo, v0, v1
	s_andn2_b32 s1, s1, exec_lo
	s_and_b32 s8, vcc_lo, exec_lo
	s_or_b32 s1, s1, s8
.LBB162_11:
	s_and_saveexec_b32 s8, s1
; %bb.12:
	v_mov_b32_e32 v5, 0
	v_mov_b32_e32 v6, v5
	ds_write_b64 v4, v[5:6]
; %bb.13:
	s_or_b32 exec_lo, exec_lo, s8
	s_waitcnt lgkmcnt(0)
	s_barrier
	buffer_gl0_inv
	s_and_saveexec_b32 s1, s0
	s_cbranch_execz .LBB162_15
; %bb.14:
	v_add_nc_u32_e32 v0, 0x2000, v2
	v_lshlrev_b32_e32 v17, 3, v3
	s_load_dwordx2 s[0:1], s[4:5], 0x60
	ds_read2_b64 v[3:6], v0 offset1:32
	ds_read_b128 v[7:10], v17
	ds_read_b128 v[11:14], v17 offset:16
	s_waitcnt lgkmcnt(0)
	s_lshl_b64 s[0:1], s[0:1], 3
	v_fma_f64 v[3:4], v[3:4], v[7:8], 0
	v_fma_f64 v[7:8], v[5:6], v[9:10], v[3:4]
	ds_read2_b64 v[3:6], v0 offset0:64 offset1:96
	s_waitcnt lgkmcnt(0)
	v_fma_f64 v[3:4], v[3:4], v[11:12], v[7:8]
	v_fma_f64 v[15:16], v[5:6], v[13:14], v[3:4]
	ds_read2_b64 v[3:6], v0 offset0:128 offset1:160
	ds_read_b128 v[7:10], v17 offset:32
	ds_read_b128 v[11:14], v17 offset:48
	s_waitcnt lgkmcnt(1)
	v_fma_f64 v[3:4], v[3:4], v[7:8], v[15:16]
	v_fma_f64 v[7:8], v[5:6], v[9:10], v[3:4]
	ds_read2_b64 v[3:6], v0 offset0:192 offset1:224
	v_add_nc_u32_e32 v0, 0x2800, v2
	s_waitcnt lgkmcnt(0)
	v_fma_f64 v[3:4], v[3:4], v[11:12], v[7:8]
	v_fma_f64 v[15:16], v[5:6], v[13:14], v[3:4]
	ds_read2_b64 v[3:6], v0 offset1:32
	ds_read_b128 v[7:10], v17 offset:64
	ds_read_b128 v[11:14], v17 offset:80
	s_waitcnt lgkmcnt(1)
	v_fma_f64 v[3:4], v[3:4], v[7:8], v[15:16]
	v_fma_f64 v[7:8], v[5:6], v[9:10], v[3:4]
	ds_read2_b64 v[3:6], v0 offset0:64 offset1:96
	s_waitcnt lgkmcnt(0)
	v_fma_f64 v[3:4], v[3:4], v[11:12], v[7:8]
	v_fma_f64 v[15:16], v[5:6], v[13:14], v[3:4]
	ds_read2_b64 v[3:6], v0 offset0:128 offset1:160
	ds_read_b128 v[7:10], v17 offset:96
	ds_read_b128 v[11:14], v17 offset:112
	s_waitcnt lgkmcnt(1)
	v_fma_f64 v[3:4], v[3:4], v[7:8], v[15:16]
	v_fma_f64 v[7:8], v[5:6], v[9:10], v[3:4]
	ds_read2_b64 v[3:6], v0 offset0:192 offset1:224
	v_add_nc_u32_e32 v0, 0x3000, v2
	s_waitcnt lgkmcnt(0)
	v_fma_f64 v[3:4], v[3:4], v[11:12], v[7:8]
	v_fma_f64 v[15:16], v[5:6], v[13:14], v[3:4]
	ds_read2_b64 v[3:6], v0 offset1:32
	ds_read_b128 v[7:10], v17 offset:128
	ds_read_b128 v[11:14], v17 offset:144
	s_waitcnt lgkmcnt(1)
	;; [unrolled: 21-line block ×3, first 2 shown]
	v_fma_f64 v[3:4], v[3:4], v[7:8], v[15:16]
	v_fma_f64 v[7:8], v[5:6], v[9:10], v[3:4]
	ds_read2_b64 v[3:6], v0 offset0:64 offset1:96
	s_waitcnt lgkmcnt(0)
	v_fma_f64 v[3:4], v[3:4], v[11:12], v[7:8]
	v_fma_f64 v[15:16], v[5:6], v[13:14], v[3:4]
	ds_read2_b64 v[3:6], v0 offset0:128 offset1:160
	ds_read_b128 v[7:10], v17 offset:224
	ds_read_b128 v[11:14], v17 offset:240
	s_waitcnt lgkmcnt(1)
	v_fma_f64 v[3:4], v[3:4], v[7:8], v[15:16]
	v_fma_f64 v[7:8], v[5:6], v[9:10], v[3:4]
	ds_read2_b64 v[3:6], v0 offset0:192 offset1:224
	s_waitcnt lgkmcnt(0)
	v_fma_f64 v[3:4], v[3:4], v[11:12], v[7:8]
	v_fma_f64 v[3:4], v[5:6], v[13:14], v[3:4]
	v_mad_u64_u32 v[5:6], null, s2, v1, 0
	s_add_u32 s2, s18, s0
	v_mov_b32_e32 v0, v6
	v_mad_u64_u32 v[0:1], null, s3, v1, v[0:1]
	s_addc_u32 s3, s19, s1
	s_lshl_b64 s[0:1], s[6:7], 3
	s_add_u32 s0, s2, s0
	s_addc_u32 s1, s3, s1
	v_mov_b32_e32 v6, v0
	v_mul_f64 v[0:1], s[24:25], v[3:4]
	v_lshlrev_b64 v[3:4], 3, v[5:6]
	v_add_co_u32 v3, vcc_lo, s0, v3
	v_add_co_ci_u32_e64 v4, null, s1, v4, vcc_lo
	v_add_co_u32 v2, vcc_lo, v3, v2
	v_add_co_ci_u32_e64 v3, null, 0, v4, vcc_lo
	flat_store_dwordx2 v[2:3], v[0:1]
.LBB162_15:
	s_endpgm
	.section	.rodata,"a",@progbits
	.p2align	6, 0x0
	.amdhsa_kernel _ZL23rocblas_trmm_rNx_kernelILi32EdPKdKS1_KPdEv13rocblas_fill_17rocblas_diagonal_iiT1_lPT2_llS9_llPT3_lli
		.amdhsa_group_segment_fixed_size 16384
		.amdhsa_private_segment_fixed_size 0
		.amdhsa_kernarg_size 108
		.amdhsa_user_sgpr_count 6
		.amdhsa_user_sgpr_private_segment_buffer 1
		.amdhsa_user_sgpr_dispatch_ptr 0
		.amdhsa_user_sgpr_queue_ptr 0
		.amdhsa_user_sgpr_kernarg_segment_ptr 1
		.amdhsa_user_sgpr_dispatch_id 0
		.amdhsa_user_sgpr_flat_scratch_init 0
		.amdhsa_user_sgpr_private_segment_size 0
		.amdhsa_wavefront_size32 1
		.amdhsa_uses_dynamic_stack 0
		.amdhsa_system_sgpr_private_segment_wavefront_offset 0
		.amdhsa_system_sgpr_workgroup_id_x 1
		.amdhsa_system_sgpr_workgroup_id_y 0
		.amdhsa_system_sgpr_workgroup_id_z 1
		.amdhsa_system_sgpr_workgroup_info 0
		.amdhsa_system_vgpr_workitem_id 1
		.amdhsa_next_free_vgpr 18
		.amdhsa_next_free_sgpr 32
		.amdhsa_reserve_vcc 1
		.amdhsa_reserve_flat_scratch 0
		.amdhsa_float_round_mode_32 0
		.amdhsa_float_round_mode_16_64 0
		.amdhsa_float_denorm_mode_32 3
		.amdhsa_float_denorm_mode_16_64 3
		.amdhsa_dx10_clamp 1
		.amdhsa_ieee_mode 1
		.amdhsa_fp16_overflow 0
		.amdhsa_workgroup_processor_mode 1
		.amdhsa_memory_ordered 1
		.amdhsa_forward_progress 1
		.amdhsa_shared_vgpr_count 0
		.amdhsa_exception_fp_ieee_invalid_op 0
		.amdhsa_exception_fp_denorm_src 0
		.amdhsa_exception_fp_ieee_div_zero 0
		.amdhsa_exception_fp_ieee_overflow 0
		.amdhsa_exception_fp_ieee_underflow 0
		.amdhsa_exception_fp_ieee_inexact 0
		.amdhsa_exception_int_div_zero 0
	.end_amdhsa_kernel
	.section	.text._ZL23rocblas_trmm_rNx_kernelILi32EdPKdKS1_KPdEv13rocblas_fill_17rocblas_diagonal_iiT1_lPT2_llS9_llPT3_lli,"axG",@progbits,_ZL23rocblas_trmm_rNx_kernelILi32EdPKdKS1_KPdEv13rocblas_fill_17rocblas_diagonal_iiT1_lPT2_llS9_llPT3_lli,comdat
.Lfunc_end162:
	.size	_ZL23rocblas_trmm_rNx_kernelILi32EdPKdKS1_KPdEv13rocblas_fill_17rocblas_diagonal_iiT1_lPT2_llS9_llPT3_lli, .Lfunc_end162-_ZL23rocblas_trmm_rNx_kernelILi32EdPKdKS1_KPdEv13rocblas_fill_17rocblas_diagonal_iiT1_lPT2_llS9_llPT3_lli
                                        ; -- End function
	.set _ZL23rocblas_trmm_rNx_kernelILi32EdPKdKS1_KPdEv13rocblas_fill_17rocblas_diagonal_iiT1_lPT2_llS9_llPT3_lli.num_vgpr, 18
	.set _ZL23rocblas_trmm_rNx_kernelILi32EdPKdKS1_KPdEv13rocblas_fill_17rocblas_diagonal_iiT1_lPT2_llS9_llPT3_lli.num_agpr, 0
	.set _ZL23rocblas_trmm_rNx_kernelILi32EdPKdKS1_KPdEv13rocblas_fill_17rocblas_diagonal_iiT1_lPT2_llS9_llPT3_lli.numbered_sgpr, 32
	.set _ZL23rocblas_trmm_rNx_kernelILi32EdPKdKS1_KPdEv13rocblas_fill_17rocblas_diagonal_iiT1_lPT2_llS9_llPT3_lli.num_named_barrier, 0
	.set _ZL23rocblas_trmm_rNx_kernelILi32EdPKdKS1_KPdEv13rocblas_fill_17rocblas_diagonal_iiT1_lPT2_llS9_llPT3_lli.private_seg_size, 0
	.set _ZL23rocblas_trmm_rNx_kernelILi32EdPKdKS1_KPdEv13rocblas_fill_17rocblas_diagonal_iiT1_lPT2_llS9_llPT3_lli.uses_vcc, 1
	.set _ZL23rocblas_trmm_rNx_kernelILi32EdPKdKS1_KPdEv13rocblas_fill_17rocblas_diagonal_iiT1_lPT2_llS9_llPT3_lli.uses_flat_scratch, 0
	.set _ZL23rocblas_trmm_rNx_kernelILi32EdPKdKS1_KPdEv13rocblas_fill_17rocblas_diagonal_iiT1_lPT2_llS9_llPT3_lli.has_dyn_sized_stack, 0
	.set _ZL23rocblas_trmm_rNx_kernelILi32EdPKdKS1_KPdEv13rocblas_fill_17rocblas_diagonal_iiT1_lPT2_llS9_llPT3_lli.has_recursion, 0
	.set _ZL23rocblas_trmm_rNx_kernelILi32EdPKdKS1_KPdEv13rocblas_fill_17rocblas_diagonal_iiT1_lPT2_llS9_llPT3_lli.has_indirect_call, 0
	.section	.AMDGPU.csdata,"",@progbits
; Kernel info:
; codeLenInByte = 1356
; TotalNumSgprs: 34
; NumVgprs: 18
; ScratchSize: 0
; MemoryBound: 0
; FloatMode: 240
; IeeeMode: 1
; LDSByteSize: 16384 bytes/workgroup (compile time only)
; SGPRBlocks: 0
; VGPRBlocks: 2
; NumSGPRsForWavesPerEU: 34
; NumVGPRsForWavesPerEU: 18
; Occupancy: 16
; WaveLimiterHint : 1
; COMPUTE_PGM_RSRC2:SCRATCH_EN: 0
; COMPUTE_PGM_RSRC2:USER_SGPR: 6
; COMPUTE_PGM_RSRC2:TRAP_HANDLER: 0
; COMPUTE_PGM_RSRC2:TGID_X_EN: 1
; COMPUTE_PGM_RSRC2:TGID_Y_EN: 0
; COMPUTE_PGM_RSRC2:TGID_Z_EN: 1
; COMPUTE_PGM_RSRC2:TIDIG_COMP_CNT: 1
	.section	.text._ZL23rocblas_trmm_rNx_kernelILi32EddKPKdKPdEv13rocblas_fill_17rocblas_diagonal_iiT1_lPT2_llS9_llPT3_lli,"axG",@progbits,_ZL23rocblas_trmm_rNx_kernelILi32EddKPKdKPdEv13rocblas_fill_17rocblas_diagonal_iiT1_lPT2_llS9_llPT3_lli,comdat
	.globl	_ZL23rocblas_trmm_rNx_kernelILi32EddKPKdKPdEv13rocblas_fill_17rocblas_diagonal_iiT1_lPT2_llS9_llPT3_lli ; -- Begin function _ZL23rocblas_trmm_rNx_kernelILi32EddKPKdKPdEv13rocblas_fill_17rocblas_diagonal_iiT1_lPT2_llS9_llPT3_lli
	.p2align	8
	.type	_ZL23rocblas_trmm_rNx_kernelILi32EddKPKdKPdEv13rocblas_fill_17rocblas_diagonal_iiT1_lPT2_llS9_llPT3_lli,@function
_ZL23rocblas_trmm_rNx_kernelILi32EddKPKdKPdEv13rocblas_fill_17rocblas_diagonal_iiT1_lPT2_llS9_llPT3_lli: ; @_ZL23rocblas_trmm_rNx_kernelILi32EddKPKdKPdEv13rocblas_fill_17rocblas_diagonal_iiT1_lPT2_llS9_llPT3_lli
; %bb.0:
	s_load_dwordx2 s[2:3], s[4:5], 0x10
	s_waitcnt lgkmcnt(0)
	v_cmp_eq_f64_e64 s0, s[2:3], 0
	s_and_b32 vcc_lo, exec_lo, s0
	s_cbranch_vccnz .LBB163_15
; %bb.1:
	s_load_dwordx16 s[8:23], s[4:5], 0x20
	s_mov_b32 s30, s7
	s_mov_b32 s31, 0
	s_load_dwordx4 s[24:27], s[4:5], 0x0
	s_lshl_b64 s[28:29], s[30:31], 3
	v_lshlrev_b32_e32 v3, 5, v1
	s_mov_b32 s30, s31
	v_lshlrev_b32_e32 v2, 3, v0
	v_mov_b32_e32 v5, s30
	v_mov_b32_e32 v6, s31
	v_add_lshl_u32 v4, v3, v0, 3
	s_waitcnt lgkmcnt(0)
	s_add_u32 s0, s14, s28
	s_addc_u32 s1, s15, s29
	s_add_u32 s14, s20, s28
	s_addc_u32 s15, s21, s29
	s_load_dwordx2 s[20:21], s[0:1], 0x0
	s_load_dwordx2 s[14:15], s[14:15], 0x0
	v_cmp_gt_i32_e32 vcc_lo, s27, v1
	v_cmp_gt_i32_e64 s0, s27, v0
	ds_write2st64_b64 v4, v[5:6], v[5:6] offset1:16
	s_and_b32 s0, vcc_lo, s0
	s_and_saveexec_b32 s1, s0
	s_cbranch_execz .LBB163_3
; %bb.2:
	s_add_u32 s8, s8, s28
	s_addc_u32 s9, s9, s29
	v_mad_u64_u32 v[5:6], null, s10, v1, 0
	s_load_dwordx2 s[8:9], s[8:9], 0x0
	v_mad_u64_u32 v[6:7], null, s11, v1, v[6:7]
	s_lshl_b64 s[10:11], s[12:13], 3
	v_lshlrev_b64 v[5:6], 3, v[5:6]
	s_waitcnt lgkmcnt(0)
	s_add_u32 s0, s8, s10
	s_addc_u32 s7, s9, s11
	v_add_co_u32 v5, s0, s0, v5
	v_add_co_ci_u32_e64 v6, null, s7, v6, s0
	v_add_co_u32 v5, s0, v5, v2
	v_add_co_ci_u32_e64 v6, null, 0, v6, s0
	flat_load_dwordx2 v[5:6], v[5:6]
	s_waitcnt vmcnt(0) lgkmcnt(0)
	ds_write_b64 v4, v[5:6]
.LBB163_3:
	s_or_b32 exec_lo, exec_lo, s1
	s_add_i32 s0, s26, -1
	s_ashr_i32 s1, s0, 31
	s_lshr_b32 s1, s1, 27
	s_add_i32 s0, s0, s1
	s_and_b32 s1, s0, 0xffffffe0
	s_ashr_i32 s0, s0, 5
	s_sub_i32 s1, s26, s1
	s_cmp_ge_i32 s6, s0
	s_cselect_b32 s0, s1, 32
	s_lshl_b32 s6, s6, 5
	v_cmp_gt_i32_e64 s0, s0, v0
	s_ashr_i32 s7, s6, 31
	s_and_b32 s0, vcc_lo, s0
	s_and_saveexec_b32 s1, s0
	s_cbranch_execz .LBB163_5
; %bb.4:
	v_mad_u64_u32 v[5:6], null, s16, v1, 0
	s_lshl_b64 s[8:9], s[18:19], 3
	s_waitcnt lgkmcnt(0)
	s_add_u32 s10, s20, s8
	s_addc_u32 s11, s21, s9
	s_lshl_b64 s[8:9], s[6:7], 3
	s_add_u32 s8, s10, s8
	v_mad_u64_u32 v[6:7], null, s17, v1, v[6:7]
	s_addc_u32 s9, s11, s9
	v_add_nc_u32_e32 v7, 0x2000, v4
	v_lshlrev_b64 v[5:6], 3, v[5:6]
	v_add_co_u32 v5, vcc_lo, s8, v5
	v_add_co_ci_u32_e64 v6, null, s9, v6, vcc_lo
	v_add_co_u32 v5, vcc_lo, v5, v2
	v_add_co_ci_u32_e64 v6, null, 0, v6, vcc_lo
	flat_load_dwordx2 v[5:6], v[5:6]
	s_waitcnt vmcnt(0) lgkmcnt(0)
	ds_write_b64 v7, v[5:6]
.LBB163_5:
	s_or_b32 exec_lo, exec_lo, s1
	v_cmp_eq_u32_e32 vcc_lo, v1, v0
	s_cmpk_eq_i32 s25, 0x84
	s_cselect_b32 s1, -1, 0
	s_and_b32 s8, vcc_lo, s1
	s_and_saveexec_b32 s1, s8
; %bb.6:
	v_mov_b32_e32 v5, 0
	v_mov_b32_e32 v6, 0x3ff00000
	ds_write_b64 v4, v[5:6]
; %bb.7:
	s_or_b32 exec_lo, exec_lo, s1
	s_cmpk_lg_i32 s24, 0x79
	s_cbranch_scc0 .LBB163_9
; %bb.8:
	v_cmp_lt_u32_e32 vcc_lo, v0, v1
	s_and_b32 s1, vcc_lo, exec_lo
	s_cbranch_execz .LBB163_10
	s_branch .LBB163_11
.LBB163_9:
	s_mov_b32 s1, 0
.LBB163_10:
	v_cmp_gt_u32_e32 vcc_lo, v0, v1
	s_andn2_b32 s1, s1, exec_lo
	s_and_b32 s8, vcc_lo, exec_lo
	s_or_b32 s1, s1, s8
.LBB163_11:
	s_and_saveexec_b32 s8, s1
; %bb.12:
	v_mov_b32_e32 v5, 0
	v_mov_b32_e32 v6, v5
	ds_write_b64 v4, v[5:6]
; %bb.13:
	s_or_b32 exec_lo, exec_lo, s8
	s_waitcnt lgkmcnt(0)
	s_barrier
	buffer_gl0_inv
	s_and_saveexec_b32 s1, s0
	s_cbranch_execz .LBB163_15
; %bb.14:
	v_add_nc_u32_e32 v0, 0x2000, v2
	v_lshlrev_b32_e32 v17, 3, v3
	s_load_dwordx2 s[0:1], s[4:5], 0x60
	ds_read2_b64 v[3:6], v0 offset1:32
	ds_read_b128 v[7:10], v17
	ds_read_b128 v[11:14], v17 offset:16
	s_waitcnt lgkmcnt(0)
	s_lshl_b64 s[0:1], s[0:1], 3
	v_fma_f64 v[3:4], v[3:4], v[7:8], 0
	v_fma_f64 v[7:8], v[5:6], v[9:10], v[3:4]
	ds_read2_b64 v[3:6], v0 offset0:64 offset1:96
	s_waitcnt lgkmcnt(0)
	v_fma_f64 v[3:4], v[3:4], v[11:12], v[7:8]
	v_fma_f64 v[15:16], v[5:6], v[13:14], v[3:4]
	ds_read2_b64 v[3:6], v0 offset0:128 offset1:160
	ds_read_b128 v[7:10], v17 offset:32
	ds_read_b128 v[11:14], v17 offset:48
	s_waitcnt lgkmcnt(1)
	v_fma_f64 v[3:4], v[3:4], v[7:8], v[15:16]
	v_fma_f64 v[7:8], v[5:6], v[9:10], v[3:4]
	ds_read2_b64 v[3:6], v0 offset0:192 offset1:224
	v_add_nc_u32_e32 v0, 0x2800, v2
	s_waitcnt lgkmcnt(0)
	v_fma_f64 v[3:4], v[3:4], v[11:12], v[7:8]
	v_fma_f64 v[15:16], v[5:6], v[13:14], v[3:4]
	ds_read2_b64 v[3:6], v0 offset1:32
	ds_read_b128 v[7:10], v17 offset:64
	ds_read_b128 v[11:14], v17 offset:80
	s_waitcnt lgkmcnt(1)
	v_fma_f64 v[3:4], v[3:4], v[7:8], v[15:16]
	v_fma_f64 v[7:8], v[5:6], v[9:10], v[3:4]
	ds_read2_b64 v[3:6], v0 offset0:64 offset1:96
	s_waitcnt lgkmcnt(0)
	v_fma_f64 v[3:4], v[3:4], v[11:12], v[7:8]
	v_fma_f64 v[15:16], v[5:6], v[13:14], v[3:4]
	ds_read2_b64 v[3:6], v0 offset0:128 offset1:160
	ds_read_b128 v[7:10], v17 offset:96
	ds_read_b128 v[11:14], v17 offset:112
	s_waitcnt lgkmcnt(1)
	v_fma_f64 v[3:4], v[3:4], v[7:8], v[15:16]
	v_fma_f64 v[7:8], v[5:6], v[9:10], v[3:4]
	ds_read2_b64 v[3:6], v0 offset0:192 offset1:224
	v_add_nc_u32_e32 v0, 0x3000, v2
	s_waitcnt lgkmcnt(0)
	v_fma_f64 v[3:4], v[3:4], v[11:12], v[7:8]
	v_fma_f64 v[15:16], v[5:6], v[13:14], v[3:4]
	ds_read2_b64 v[3:6], v0 offset1:32
	ds_read_b128 v[7:10], v17 offset:128
	ds_read_b128 v[11:14], v17 offset:144
	s_waitcnt lgkmcnt(1)
	;; [unrolled: 21-line block ×3, first 2 shown]
	v_fma_f64 v[3:4], v[3:4], v[7:8], v[15:16]
	v_fma_f64 v[7:8], v[5:6], v[9:10], v[3:4]
	ds_read2_b64 v[3:6], v0 offset0:64 offset1:96
	s_waitcnt lgkmcnt(0)
	v_fma_f64 v[3:4], v[3:4], v[11:12], v[7:8]
	v_fma_f64 v[15:16], v[5:6], v[13:14], v[3:4]
	ds_read2_b64 v[3:6], v0 offset0:128 offset1:160
	ds_read_b128 v[7:10], v17 offset:224
	ds_read_b128 v[11:14], v17 offset:240
	s_waitcnt lgkmcnt(1)
	v_fma_f64 v[3:4], v[3:4], v[7:8], v[15:16]
	v_fma_f64 v[7:8], v[5:6], v[9:10], v[3:4]
	ds_read2_b64 v[3:6], v0 offset0:192 offset1:224
	s_waitcnt lgkmcnt(0)
	v_fma_f64 v[3:4], v[3:4], v[11:12], v[7:8]
	v_fma_f64 v[3:4], v[5:6], v[13:14], v[3:4]
	v_mad_u64_u32 v[5:6], null, s22, v1, 0
	v_mov_b32_e32 v0, v6
	v_mad_u64_u32 v[0:1], null, s23, v1, v[0:1]
	v_mov_b32_e32 v6, v0
	v_mul_f64 v[0:1], s[2:3], v[3:4]
	s_add_u32 s2, s14, s0
	s_addc_u32 s3, s15, s1
	s_lshl_b64 s[0:1], s[6:7], 3
	v_lshlrev_b64 v[3:4], 3, v[5:6]
	s_add_u32 s0, s2, s0
	s_addc_u32 s1, s3, s1
	v_add_co_u32 v3, vcc_lo, s0, v3
	v_add_co_ci_u32_e64 v4, null, s1, v4, vcc_lo
	v_add_co_u32 v2, vcc_lo, v3, v2
	v_add_co_ci_u32_e64 v3, null, 0, v4, vcc_lo
	flat_store_dwordx2 v[2:3], v[0:1]
.LBB163_15:
	s_endpgm
	.section	.rodata,"a",@progbits
	.p2align	6, 0x0
	.amdhsa_kernel _ZL23rocblas_trmm_rNx_kernelILi32EddKPKdKPdEv13rocblas_fill_17rocblas_diagonal_iiT1_lPT2_llS9_llPT3_lli
		.amdhsa_group_segment_fixed_size 16384
		.amdhsa_private_segment_fixed_size 0
		.amdhsa_kernarg_size 108
		.amdhsa_user_sgpr_count 6
		.amdhsa_user_sgpr_private_segment_buffer 1
		.amdhsa_user_sgpr_dispatch_ptr 0
		.amdhsa_user_sgpr_queue_ptr 0
		.amdhsa_user_sgpr_kernarg_segment_ptr 1
		.amdhsa_user_sgpr_dispatch_id 0
		.amdhsa_user_sgpr_flat_scratch_init 0
		.amdhsa_user_sgpr_private_segment_size 0
		.amdhsa_wavefront_size32 1
		.amdhsa_uses_dynamic_stack 0
		.amdhsa_system_sgpr_private_segment_wavefront_offset 0
		.amdhsa_system_sgpr_workgroup_id_x 1
		.amdhsa_system_sgpr_workgroup_id_y 0
		.amdhsa_system_sgpr_workgroup_id_z 1
		.amdhsa_system_sgpr_workgroup_info 0
		.amdhsa_system_vgpr_workitem_id 1
		.amdhsa_next_free_vgpr 18
		.amdhsa_next_free_sgpr 32
		.amdhsa_reserve_vcc 1
		.amdhsa_reserve_flat_scratch 0
		.amdhsa_float_round_mode_32 0
		.amdhsa_float_round_mode_16_64 0
		.amdhsa_float_denorm_mode_32 3
		.amdhsa_float_denorm_mode_16_64 3
		.amdhsa_dx10_clamp 1
		.amdhsa_ieee_mode 1
		.amdhsa_fp16_overflow 0
		.amdhsa_workgroup_processor_mode 1
		.amdhsa_memory_ordered 1
		.amdhsa_forward_progress 1
		.amdhsa_shared_vgpr_count 0
		.amdhsa_exception_fp_ieee_invalid_op 0
		.amdhsa_exception_fp_denorm_src 0
		.amdhsa_exception_fp_ieee_div_zero 0
		.amdhsa_exception_fp_ieee_overflow 0
		.amdhsa_exception_fp_ieee_underflow 0
		.amdhsa_exception_fp_ieee_inexact 0
		.amdhsa_exception_int_div_zero 0
	.end_amdhsa_kernel
	.section	.text._ZL23rocblas_trmm_rNx_kernelILi32EddKPKdKPdEv13rocblas_fill_17rocblas_diagonal_iiT1_lPT2_llS9_llPT3_lli,"axG",@progbits,_ZL23rocblas_trmm_rNx_kernelILi32EddKPKdKPdEv13rocblas_fill_17rocblas_diagonal_iiT1_lPT2_llS9_llPT3_lli,comdat
.Lfunc_end163:
	.size	_ZL23rocblas_trmm_rNx_kernelILi32EddKPKdKPdEv13rocblas_fill_17rocblas_diagonal_iiT1_lPT2_llS9_llPT3_lli, .Lfunc_end163-_ZL23rocblas_trmm_rNx_kernelILi32EddKPKdKPdEv13rocblas_fill_17rocblas_diagonal_iiT1_lPT2_llS9_llPT3_lli
                                        ; -- End function
	.set _ZL23rocblas_trmm_rNx_kernelILi32EddKPKdKPdEv13rocblas_fill_17rocblas_diagonal_iiT1_lPT2_llS9_llPT3_lli.num_vgpr, 18
	.set _ZL23rocblas_trmm_rNx_kernelILi32EddKPKdKPdEv13rocblas_fill_17rocblas_diagonal_iiT1_lPT2_llS9_llPT3_lli.num_agpr, 0
	.set _ZL23rocblas_trmm_rNx_kernelILi32EddKPKdKPdEv13rocblas_fill_17rocblas_diagonal_iiT1_lPT2_llS9_llPT3_lli.numbered_sgpr, 32
	.set _ZL23rocblas_trmm_rNx_kernelILi32EddKPKdKPdEv13rocblas_fill_17rocblas_diagonal_iiT1_lPT2_llS9_llPT3_lli.num_named_barrier, 0
	.set _ZL23rocblas_trmm_rNx_kernelILi32EddKPKdKPdEv13rocblas_fill_17rocblas_diagonal_iiT1_lPT2_llS9_llPT3_lli.private_seg_size, 0
	.set _ZL23rocblas_trmm_rNx_kernelILi32EddKPKdKPdEv13rocblas_fill_17rocblas_diagonal_iiT1_lPT2_llS9_llPT3_lli.uses_vcc, 1
	.set _ZL23rocblas_trmm_rNx_kernelILi32EddKPKdKPdEv13rocblas_fill_17rocblas_diagonal_iiT1_lPT2_llS9_llPT3_lli.uses_flat_scratch, 0
	.set _ZL23rocblas_trmm_rNx_kernelILi32EddKPKdKPdEv13rocblas_fill_17rocblas_diagonal_iiT1_lPT2_llS9_llPT3_lli.has_dyn_sized_stack, 0
	.set _ZL23rocblas_trmm_rNx_kernelILi32EddKPKdKPdEv13rocblas_fill_17rocblas_diagonal_iiT1_lPT2_llS9_llPT3_lli.has_recursion, 0
	.set _ZL23rocblas_trmm_rNx_kernelILi32EddKPKdKPdEv13rocblas_fill_17rocblas_diagonal_iiT1_lPT2_llS9_llPT3_lli.has_indirect_call, 0
	.section	.AMDGPU.csdata,"",@progbits
; Kernel info:
; codeLenInByte = 1312
; TotalNumSgprs: 34
; NumVgprs: 18
; ScratchSize: 0
; MemoryBound: 0
; FloatMode: 240
; IeeeMode: 1
; LDSByteSize: 16384 bytes/workgroup (compile time only)
; SGPRBlocks: 0
; VGPRBlocks: 2
; NumSGPRsForWavesPerEU: 34
; NumVGPRsForWavesPerEU: 18
; Occupancy: 16
; WaveLimiterHint : 1
; COMPUTE_PGM_RSRC2:SCRATCH_EN: 0
; COMPUTE_PGM_RSRC2:USER_SGPR: 6
; COMPUTE_PGM_RSRC2:TRAP_HANDLER: 0
; COMPUTE_PGM_RSRC2:TGID_X_EN: 1
; COMPUTE_PGM_RSRC2:TGID_Y_EN: 0
; COMPUTE_PGM_RSRC2:TGID_Z_EN: 1
; COMPUTE_PGM_RSRC2:TIDIG_COMP_CNT: 1
	.section	.text._ZL23rocblas_trmm_rTx_kernelILi32ELb0EdPKdKS1_KPdEv13rocblas_fill_17rocblas_diagonal_iiT2_lPT3_llS9_llPT4_lli,"axG",@progbits,_ZL23rocblas_trmm_rTx_kernelILi32ELb0EdPKdKS1_KPdEv13rocblas_fill_17rocblas_diagonal_iiT2_lPT3_llS9_llPT4_lli,comdat
	.globl	_ZL23rocblas_trmm_rTx_kernelILi32ELb0EdPKdKS1_KPdEv13rocblas_fill_17rocblas_diagonal_iiT2_lPT3_llS9_llPT4_lli ; -- Begin function _ZL23rocblas_trmm_rTx_kernelILi32ELb0EdPKdKS1_KPdEv13rocblas_fill_17rocblas_diagonal_iiT2_lPT3_llS9_llPT4_lli
	.p2align	8
	.type	_ZL23rocblas_trmm_rTx_kernelILi32ELb0EdPKdKS1_KPdEv13rocblas_fill_17rocblas_diagonal_iiT2_lPT3_llS9_llPT4_lli,@function
_ZL23rocblas_trmm_rTx_kernelILi32ELb0EdPKdKS1_KPdEv13rocblas_fill_17rocblas_diagonal_iiT2_lPT3_llS9_llPT4_lli: ; @_ZL23rocblas_trmm_rTx_kernelILi32ELb0EdPKdKS1_KPdEv13rocblas_fill_17rocblas_diagonal_iiT2_lPT3_llS9_llPT4_lli
; %bb.0:
	s_load_dwordx16 s[8:23], s[4:5], 0x10
	s_waitcnt lgkmcnt(0)
	s_mul_i32 s0, s11, s7
	s_mul_hi_u32 s1, s10, s7
	s_add_i32 s1, s1, s0
	s_mul_i32 s0, s10, s7
	s_lshl_b64 s[0:1], s[0:1], 3
	s_add_u32 s0, s8, s0
	s_addc_u32 s1, s9, s1
	s_load_dwordx2 s[24:25], s[0:1], 0x0
	s_waitcnt lgkmcnt(0)
	v_cmp_eq_f64_e64 s0, s[24:25], 0
	s_and_b32 vcc_lo, exec_lo, s0
	s_cbranch_vccnz .LBB164_15
; %bb.1:
	s_clause 0x1
	s_load_dwordx4 s[0:3], s[4:5], 0x50
	s_load_dwordx4 s[8:11], s[4:5], 0x0
	s_mov_b32 s28, s7
	s_mov_b32 s29, 0
	v_lshlrev_b32_e32 v2, 5, v1
	s_lshl_b64 s[30:31], s[28:29], 3
	s_mov_b32 s28, s29
	s_add_u32 s18, s18, s30
	s_addc_u32 s19, s19, s31
	v_mov_b32_e32 v4, s28
	v_add_lshl_u32 v3, v2, v0, 3
	v_mov_b32_e32 v5, s29
	v_lshlrev_b32_e32 v2, 3, v0
	s_waitcnt lgkmcnt(0)
	s_add_u32 s0, s0, s30
	s_addc_u32 s1, s1, s31
	s_load_dwordx2 s[26:27], s[18:19], 0x0
	s_load_dwordx2 s[18:19], s[0:1], 0x0
	v_cmp_gt_i32_e32 vcc_lo, s11, v1
	v_cmp_gt_i32_e64 s0, s11, v0
	ds_write2st64_b64 v3, v[4:5], v[4:5] offset1:16
	s_and_b32 s0, vcc_lo, s0
	s_and_saveexec_b32 s1, s0
	s_cbranch_execz .LBB164_3
; %bb.2:
	s_add_u32 s12, s12, s30
	s_addc_u32 s13, s13, s31
	v_mad_u64_u32 v[4:5], null, s14, v1, 0
	s_load_dwordx2 s[12:13], s[12:13], 0x0
	v_mad_u64_u32 v[5:6], null, s15, v1, v[5:6]
	s_lshl_b64 s[14:15], s[16:17], 3
	v_lshlrev_b64 v[4:5], 3, v[4:5]
	s_waitcnt lgkmcnt(0)
	s_add_u32 s0, s12, s14
	s_addc_u32 s7, s13, s15
	v_add_co_u32 v4, s0, s0, v4
	v_add_co_ci_u32_e64 v5, null, s7, v5, s0
	v_add_co_u32 v4, s0, v4, v2
	v_add_co_ci_u32_e64 v5, null, 0, v5, s0
	flat_load_dwordx2 v[4:5], v[4:5]
	s_waitcnt vmcnt(0) lgkmcnt(0)
	ds_write_b64 v3, v[4:5]
.LBB164_3:
	s_or_b32 exec_lo, exec_lo, s1
	s_add_i32 s0, s10, -1
	s_ashr_i32 s1, s0, 31
	s_lshr_b32 s1, s1, 27
	s_add_i32 s0, s0, s1
	s_and_b32 s1, s0, 0xffffffe0
	s_ashr_i32 s0, s0, 5
	s_sub_i32 s1, s10, s1
	s_cmp_ge_i32 s6, s0
	s_cselect_b32 s0, s1, 32
	s_lshl_b32 s6, s6, 5
	v_cmp_gt_i32_e64 s0, s0, v0
	s_ashr_i32 s7, s6, 31
	s_and_b32 s0, vcc_lo, s0
	s_and_saveexec_b32 s1, s0
	s_cbranch_execz .LBB164_5
; %bb.4:
	v_mad_u64_u32 v[4:5], null, s20, v1, 0
	s_lshl_b64 s[10:11], s[22:23], 3
	s_waitcnt lgkmcnt(0)
	s_add_u32 s12, s26, s10
	s_addc_u32 s13, s27, s11
	s_lshl_b64 s[10:11], s[6:7], 3
	s_add_u32 s10, s12, s10
	v_mad_u64_u32 v[5:6], null, s21, v1, v[5:6]
	s_addc_u32 s11, s13, s11
	v_add_nc_u32_e32 v6, 0x2000, v3
	v_lshlrev_b64 v[4:5], 3, v[4:5]
	v_add_co_u32 v4, vcc_lo, s10, v4
	v_add_co_ci_u32_e64 v5, null, s11, v5, vcc_lo
	v_add_co_u32 v4, vcc_lo, v4, v2
	v_add_co_ci_u32_e64 v5, null, 0, v5, vcc_lo
	flat_load_dwordx2 v[4:5], v[4:5]
	s_waitcnt vmcnt(0) lgkmcnt(0)
	ds_write_b64 v6, v[4:5]
.LBB164_5:
	s_or_b32 exec_lo, exec_lo, s1
	v_cmp_eq_u32_e32 vcc_lo, v1, v0
	s_cmpk_eq_i32 s9, 0x84
	s_cselect_b32 s1, -1, 0
	s_and_b32 s9, vcc_lo, s1
	s_and_saveexec_b32 s1, s9
; %bb.6:
	v_mov_b32_e32 v4, 0
	v_mov_b32_e32 v5, 0x3ff00000
	ds_write_b64 v3, v[4:5]
; %bb.7:
	s_or_b32 exec_lo, exec_lo, s1
	s_cmpk_lg_i32 s8, 0x79
	s_cbranch_scc0 .LBB164_9
; %bb.8:
	v_cmp_lt_u32_e32 vcc_lo, v0, v1
	s_and_b32 s1, vcc_lo, exec_lo
	s_cbranch_execz .LBB164_10
	s_branch .LBB164_11
.LBB164_9:
	s_mov_b32 s1, 0
.LBB164_10:
	v_cmp_gt_u32_e32 vcc_lo, v0, v1
	s_andn2_b32 s1, s1, exec_lo
	s_and_b32 s8, vcc_lo, exec_lo
	s_or_b32 s1, s1, s8
.LBB164_11:
	s_and_saveexec_b32 s8, s1
; %bb.12:
	v_mov_b32_e32 v4, 0
	v_mov_b32_e32 v5, v4
	ds_write_b64 v3, v[4:5]
; %bb.13:
	s_or_b32 exec_lo, exec_lo, s8
	s_waitcnt lgkmcnt(0)
	s_barrier
	buffer_gl0_inv
	s_and_saveexec_b32 s1, s0
	s_cbranch_execz .LBB164_15
; %bb.14:
	v_add_nc_u32_e32 v0, 0x2000, v2
	v_lshlrev_b32_e32 v13, 3, v1
	s_load_dwordx2 s[0:1], s[4:5], 0x60
	ds_read2_b64 v[3:6], v0 offset1:32
	ds_read2_b64 v[7:10], v13 offset1:32
	v_add_nc_u32_e32 v14, 0x800, v13
	s_waitcnt lgkmcnt(0)
	s_lshl_b64 s[0:1], s[0:1], 3
	v_fma_f64 v[3:4], v[3:4], v[7:8], 0
	v_fma_f64 v[11:12], v[5:6], v[9:10], v[3:4]
	ds_read2_b64 v[3:6], v0 offset0:64 offset1:96
	ds_read2_b64 v[7:10], v13 offset0:64 offset1:96
	s_waitcnt lgkmcnt(0)
	v_fma_f64 v[3:4], v[3:4], v[7:8], v[11:12]
	v_fma_f64 v[11:12], v[5:6], v[9:10], v[3:4]
	ds_read2_b64 v[3:6], v0 offset0:128 offset1:160
	ds_read2_b64 v[7:10], v13 offset0:128 offset1:160
	s_waitcnt lgkmcnt(0)
	v_fma_f64 v[3:4], v[3:4], v[7:8], v[11:12]
	v_fma_f64 v[11:12], v[5:6], v[9:10], v[3:4]
	ds_read2_b64 v[3:6], v0 offset0:192 offset1:224
	ds_read2_b64 v[7:10], v13 offset0:192 offset1:224
	v_add_nc_u32_e32 v0, 0x2800, v2
	s_waitcnt lgkmcnt(0)
	v_fma_f64 v[3:4], v[3:4], v[7:8], v[11:12]
	v_fma_f64 v[11:12], v[5:6], v[9:10], v[3:4]
	ds_read2_b64 v[3:6], v0 offset1:32
	ds_read2_b64 v[7:10], v14 offset1:32
	s_waitcnt lgkmcnt(0)
	v_fma_f64 v[3:4], v[3:4], v[7:8], v[11:12]
	v_fma_f64 v[11:12], v[5:6], v[9:10], v[3:4]
	ds_read2_b64 v[3:6], v0 offset0:64 offset1:96
	ds_read2_b64 v[7:10], v14 offset0:64 offset1:96
	s_waitcnt lgkmcnt(0)
	v_fma_f64 v[3:4], v[3:4], v[7:8], v[11:12]
	v_fma_f64 v[11:12], v[5:6], v[9:10], v[3:4]
	ds_read2_b64 v[3:6], v0 offset0:128 offset1:160
	ds_read2_b64 v[7:10], v14 offset0:128 offset1:160
	;; [unrolled: 5-line block ×3, first 2 shown]
	v_add_nc_u32_e32 v0, 0x3000, v2
	v_add_nc_u32_e32 v14, 0x1000, v13
	;; [unrolled: 1-line block ×3, first 2 shown]
	s_waitcnt lgkmcnt(0)
	v_fma_f64 v[3:4], v[3:4], v[7:8], v[11:12]
	v_fma_f64 v[11:12], v[5:6], v[9:10], v[3:4]
	ds_read2_b64 v[3:6], v0 offset1:32
	ds_read2_b64 v[7:10], v14 offset1:32
	s_waitcnt lgkmcnt(0)
	v_fma_f64 v[3:4], v[3:4], v[7:8], v[11:12]
	v_fma_f64 v[11:12], v[5:6], v[9:10], v[3:4]
	ds_read2_b64 v[3:6], v0 offset0:64 offset1:96
	ds_read2_b64 v[7:10], v14 offset0:64 offset1:96
	s_waitcnt lgkmcnt(0)
	v_fma_f64 v[3:4], v[3:4], v[7:8], v[11:12]
	v_fma_f64 v[11:12], v[5:6], v[9:10], v[3:4]
	ds_read2_b64 v[3:6], v0 offset0:128 offset1:160
	ds_read2_b64 v[7:10], v14 offset0:128 offset1:160
	;; [unrolled: 5-line block ×3, first 2 shown]
	v_add_nc_u32_e32 v0, 0x3800, v2
	s_waitcnt lgkmcnt(0)
	v_fma_f64 v[3:4], v[3:4], v[7:8], v[11:12]
	v_fma_f64 v[11:12], v[5:6], v[9:10], v[3:4]
	ds_read2_b64 v[3:6], v0 offset1:32
	ds_read2_b64 v[7:10], v13 offset1:32
	s_waitcnt lgkmcnt(0)
	v_fma_f64 v[3:4], v[3:4], v[7:8], v[11:12]
	v_fma_f64 v[11:12], v[5:6], v[9:10], v[3:4]
	ds_read2_b64 v[3:6], v0 offset0:64 offset1:96
	ds_read2_b64 v[7:10], v13 offset0:64 offset1:96
	s_waitcnt lgkmcnt(0)
	v_fma_f64 v[3:4], v[3:4], v[7:8], v[11:12]
	v_fma_f64 v[11:12], v[5:6], v[9:10], v[3:4]
	ds_read2_b64 v[3:6], v0 offset0:128 offset1:160
	ds_read2_b64 v[7:10], v13 offset0:128 offset1:160
	;; [unrolled: 5-line block ×3, first 2 shown]
	s_waitcnt lgkmcnt(0)
	v_fma_f64 v[3:4], v[3:4], v[7:8], v[11:12]
	v_fma_f64 v[3:4], v[5:6], v[9:10], v[3:4]
	v_mad_u64_u32 v[5:6], null, s2, v1, 0
	s_add_u32 s2, s18, s0
	v_mov_b32_e32 v0, v6
	v_mad_u64_u32 v[0:1], null, s3, v1, v[0:1]
	s_addc_u32 s3, s19, s1
	s_lshl_b64 s[0:1], s[6:7], 3
	s_add_u32 s0, s2, s0
	s_addc_u32 s1, s3, s1
	v_mov_b32_e32 v6, v0
	v_mul_f64 v[0:1], s[24:25], v[3:4]
	v_lshlrev_b64 v[3:4], 3, v[5:6]
	v_add_co_u32 v3, vcc_lo, s0, v3
	v_add_co_ci_u32_e64 v4, null, s1, v4, vcc_lo
	v_add_co_u32 v2, vcc_lo, v3, v2
	v_add_co_ci_u32_e64 v3, null, 0, v4, vcc_lo
	flat_store_dwordx2 v[2:3], v[0:1]
.LBB164_15:
	s_endpgm
	.section	.rodata,"a",@progbits
	.p2align	6, 0x0
	.amdhsa_kernel _ZL23rocblas_trmm_rTx_kernelILi32ELb0EdPKdKS1_KPdEv13rocblas_fill_17rocblas_diagonal_iiT2_lPT3_llS9_llPT4_lli
		.amdhsa_group_segment_fixed_size 16384
		.amdhsa_private_segment_fixed_size 0
		.amdhsa_kernarg_size 108
		.amdhsa_user_sgpr_count 6
		.amdhsa_user_sgpr_private_segment_buffer 1
		.amdhsa_user_sgpr_dispatch_ptr 0
		.amdhsa_user_sgpr_queue_ptr 0
		.amdhsa_user_sgpr_kernarg_segment_ptr 1
		.amdhsa_user_sgpr_dispatch_id 0
		.amdhsa_user_sgpr_flat_scratch_init 0
		.amdhsa_user_sgpr_private_segment_size 0
		.amdhsa_wavefront_size32 1
		.amdhsa_uses_dynamic_stack 0
		.amdhsa_system_sgpr_private_segment_wavefront_offset 0
		.amdhsa_system_sgpr_workgroup_id_x 1
		.amdhsa_system_sgpr_workgroup_id_y 0
		.amdhsa_system_sgpr_workgroup_id_z 1
		.amdhsa_system_sgpr_workgroup_info 0
		.amdhsa_system_vgpr_workitem_id 1
		.amdhsa_next_free_vgpr 15
		.amdhsa_next_free_sgpr 32
		.amdhsa_reserve_vcc 1
		.amdhsa_reserve_flat_scratch 0
		.amdhsa_float_round_mode_32 0
		.amdhsa_float_round_mode_16_64 0
		.amdhsa_float_denorm_mode_32 3
		.amdhsa_float_denorm_mode_16_64 3
		.amdhsa_dx10_clamp 1
		.amdhsa_ieee_mode 1
		.amdhsa_fp16_overflow 0
		.amdhsa_workgroup_processor_mode 1
		.amdhsa_memory_ordered 1
		.amdhsa_forward_progress 1
		.amdhsa_shared_vgpr_count 0
		.amdhsa_exception_fp_ieee_invalid_op 0
		.amdhsa_exception_fp_denorm_src 0
		.amdhsa_exception_fp_ieee_div_zero 0
		.amdhsa_exception_fp_ieee_overflow 0
		.amdhsa_exception_fp_ieee_underflow 0
		.amdhsa_exception_fp_ieee_inexact 0
		.amdhsa_exception_int_div_zero 0
	.end_amdhsa_kernel
	.section	.text._ZL23rocblas_trmm_rTx_kernelILi32ELb0EdPKdKS1_KPdEv13rocblas_fill_17rocblas_diagonal_iiT2_lPT3_llS9_llPT4_lli,"axG",@progbits,_ZL23rocblas_trmm_rTx_kernelILi32ELb0EdPKdKS1_KPdEv13rocblas_fill_17rocblas_diagonal_iiT2_lPT3_llS9_llPT4_lli,comdat
.Lfunc_end164:
	.size	_ZL23rocblas_trmm_rTx_kernelILi32ELb0EdPKdKS1_KPdEv13rocblas_fill_17rocblas_diagonal_iiT2_lPT3_llS9_llPT4_lli, .Lfunc_end164-_ZL23rocblas_trmm_rTx_kernelILi32ELb0EdPKdKS1_KPdEv13rocblas_fill_17rocblas_diagonal_iiT2_lPT3_llS9_llPT4_lli
                                        ; -- End function
	.set _ZL23rocblas_trmm_rTx_kernelILi32ELb0EdPKdKS1_KPdEv13rocblas_fill_17rocblas_diagonal_iiT2_lPT3_llS9_llPT4_lli.num_vgpr, 15
	.set _ZL23rocblas_trmm_rTx_kernelILi32ELb0EdPKdKS1_KPdEv13rocblas_fill_17rocblas_diagonal_iiT2_lPT3_llS9_llPT4_lli.num_agpr, 0
	.set _ZL23rocblas_trmm_rTx_kernelILi32ELb0EdPKdKS1_KPdEv13rocblas_fill_17rocblas_diagonal_iiT2_lPT3_llS9_llPT4_lli.numbered_sgpr, 32
	.set _ZL23rocblas_trmm_rTx_kernelILi32ELb0EdPKdKS1_KPdEv13rocblas_fill_17rocblas_diagonal_iiT2_lPT3_llS9_llPT4_lli.num_named_barrier, 0
	.set _ZL23rocblas_trmm_rTx_kernelILi32ELb0EdPKdKS1_KPdEv13rocblas_fill_17rocblas_diagonal_iiT2_lPT3_llS9_llPT4_lli.private_seg_size, 0
	.set _ZL23rocblas_trmm_rTx_kernelILi32ELb0EdPKdKS1_KPdEv13rocblas_fill_17rocblas_diagonal_iiT2_lPT3_llS9_llPT4_lli.uses_vcc, 1
	.set _ZL23rocblas_trmm_rTx_kernelILi32ELb0EdPKdKS1_KPdEv13rocblas_fill_17rocblas_diagonal_iiT2_lPT3_llS9_llPT4_lli.uses_flat_scratch, 0
	.set _ZL23rocblas_trmm_rTx_kernelILi32ELb0EdPKdKS1_KPdEv13rocblas_fill_17rocblas_diagonal_iiT2_lPT3_llS9_llPT4_lli.has_dyn_sized_stack, 0
	.set _ZL23rocblas_trmm_rTx_kernelILi32ELb0EdPKdKS1_KPdEv13rocblas_fill_17rocblas_diagonal_iiT2_lPT3_llS9_llPT4_lli.has_recursion, 0
	.set _ZL23rocblas_trmm_rTx_kernelILi32ELb0EdPKdKS1_KPdEv13rocblas_fill_17rocblas_diagonal_iiT2_lPT3_llS9_llPT4_lli.has_indirect_call, 0
	.section	.AMDGPU.csdata,"",@progbits
; Kernel info:
; codeLenInByte = 1380
; TotalNumSgprs: 34
; NumVgprs: 15
; ScratchSize: 0
; MemoryBound: 1
; FloatMode: 240
; IeeeMode: 1
; LDSByteSize: 16384 bytes/workgroup (compile time only)
; SGPRBlocks: 0
; VGPRBlocks: 1
; NumSGPRsForWavesPerEU: 34
; NumVGPRsForWavesPerEU: 15
; Occupancy: 16
; WaveLimiterHint : 1
; COMPUTE_PGM_RSRC2:SCRATCH_EN: 0
; COMPUTE_PGM_RSRC2:USER_SGPR: 6
; COMPUTE_PGM_RSRC2:TRAP_HANDLER: 0
; COMPUTE_PGM_RSRC2:TGID_X_EN: 1
; COMPUTE_PGM_RSRC2:TGID_Y_EN: 0
; COMPUTE_PGM_RSRC2:TGID_Z_EN: 1
; COMPUTE_PGM_RSRC2:TIDIG_COMP_CNT: 1
	.section	.text._ZL23rocblas_trmm_rTx_kernelILi32ELb0EddKPKdKPdEv13rocblas_fill_17rocblas_diagonal_iiT2_lPT3_llS9_llPT4_lli,"axG",@progbits,_ZL23rocblas_trmm_rTx_kernelILi32ELb0EddKPKdKPdEv13rocblas_fill_17rocblas_diagonal_iiT2_lPT3_llS9_llPT4_lli,comdat
	.globl	_ZL23rocblas_trmm_rTx_kernelILi32ELb0EddKPKdKPdEv13rocblas_fill_17rocblas_diagonal_iiT2_lPT3_llS9_llPT4_lli ; -- Begin function _ZL23rocblas_trmm_rTx_kernelILi32ELb0EddKPKdKPdEv13rocblas_fill_17rocblas_diagonal_iiT2_lPT3_llS9_llPT4_lli
	.p2align	8
	.type	_ZL23rocblas_trmm_rTx_kernelILi32ELb0EddKPKdKPdEv13rocblas_fill_17rocblas_diagonal_iiT2_lPT3_llS9_llPT4_lli,@function
_ZL23rocblas_trmm_rTx_kernelILi32ELb0EddKPKdKPdEv13rocblas_fill_17rocblas_diagonal_iiT2_lPT3_llS9_llPT4_lli: ; @_ZL23rocblas_trmm_rTx_kernelILi32ELb0EddKPKdKPdEv13rocblas_fill_17rocblas_diagonal_iiT2_lPT3_llS9_llPT4_lli
; %bb.0:
	s_load_dwordx2 s[2:3], s[4:5], 0x10
	s_waitcnt lgkmcnt(0)
	v_cmp_eq_f64_e64 s0, s[2:3], 0
	s_and_b32 vcc_lo, exec_lo, s0
	s_cbranch_vccnz .LBB165_15
; %bb.1:
	s_load_dwordx16 s[8:23], s[4:5], 0x20
	s_mov_b32 s30, s7
	s_mov_b32 s31, 0
	s_load_dwordx4 s[24:27], s[4:5], 0x0
	s_lshl_b64 s[28:29], s[30:31], 3
	v_lshlrev_b32_e32 v2, 5, v1
	s_mov_b32 s30, s31
	v_mov_b32_e32 v4, s30
	v_mov_b32_e32 v5, s31
	v_add_lshl_u32 v3, v2, v0, 3
	v_lshlrev_b32_e32 v2, 3, v0
	s_waitcnt lgkmcnt(0)
	s_add_u32 s0, s14, s28
	s_addc_u32 s1, s15, s29
	s_add_u32 s14, s20, s28
	s_addc_u32 s15, s21, s29
	s_load_dwordx2 s[20:21], s[0:1], 0x0
	s_load_dwordx2 s[14:15], s[14:15], 0x0
	v_cmp_gt_i32_e32 vcc_lo, s27, v1
	v_cmp_gt_i32_e64 s0, s27, v0
	ds_write2st64_b64 v3, v[4:5], v[4:5] offset1:16
	s_and_b32 s0, vcc_lo, s0
	s_and_saveexec_b32 s1, s0
	s_cbranch_execz .LBB165_3
; %bb.2:
	s_add_u32 s8, s8, s28
	s_addc_u32 s9, s9, s29
	v_mad_u64_u32 v[4:5], null, s10, v1, 0
	s_load_dwordx2 s[8:9], s[8:9], 0x0
	v_mad_u64_u32 v[5:6], null, s11, v1, v[5:6]
	s_lshl_b64 s[10:11], s[12:13], 3
	v_lshlrev_b64 v[4:5], 3, v[4:5]
	s_waitcnt lgkmcnt(0)
	s_add_u32 s0, s8, s10
	s_addc_u32 s7, s9, s11
	v_add_co_u32 v4, s0, s0, v4
	v_add_co_ci_u32_e64 v5, null, s7, v5, s0
	v_add_co_u32 v4, s0, v4, v2
	v_add_co_ci_u32_e64 v5, null, 0, v5, s0
	flat_load_dwordx2 v[4:5], v[4:5]
	s_waitcnt vmcnt(0) lgkmcnt(0)
	ds_write_b64 v3, v[4:5]
.LBB165_3:
	s_or_b32 exec_lo, exec_lo, s1
	s_add_i32 s0, s26, -1
	s_ashr_i32 s1, s0, 31
	s_lshr_b32 s1, s1, 27
	s_add_i32 s0, s0, s1
	s_and_b32 s1, s0, 0xffffffe0
	s_ashr_i32 s0, s0, 5
	s_sub_i32 s1, s26, s1
	s_cmp_ge_i32 s6, s0
	s_cselect_b32 s0, s1, 32
	s_lshl_b32 s6, s6, 5
	v_cmp_gt_i32_e64 s0, s0, v0
	s_ashr_i32 s7, s6, 31
	s_and_b32 s0, vcc_lo, s0
	s_and_saveexec_b32 s1, s0
	s_cbranch_execz .LBB165_5
; %bb.4:
	v_mad_u64_u32 v[4:5], null, s16, v1, 0
	s_lshl_b64 s[8:9], s[18:19], 3
	s_waitcnt lgkmcnt(0)
	s_add_u32 s10, s20, s8
	s_addc_u32 s11, s21, s9
	s_lshl_b64 s[8:9], s[6:7], 3
	s_add_u32 s8, s10, s8
	v_mad_u64_u32 v[5:6], null, s17, v1, v[5:6]
	s_addc_u32 s9, s11, s9
	v_add_nc_u32_e32 v6, 0x2000, v3
	v_lshlrev_b64 v[4:5], 3, v[4:5]
	v_add_co_u32 v4, vcc_lo, s8, v4
	v_add_co_ci_u32_e64 v5, null, s9, v5, vcc_lo
	v_add_co_u32 v4, vcc_lo, v4, v2
	v_add_co_ci_u32_e64 v5, null, 0, v5, vcc_lo
	flat_load_dwordx2 v[4:5], v[4:5]
	s_waitcnt vmcnt(0) lgkmcnt(0)
	ds_write_b64 v6, v[4:5]
.LBB165_5:
	s_or_b32 exec_lo, exec_lo, s1
	v_cmp_eq_u32_e32 vcc_lo, v1, v0
	s_cmpk_eq_i32 s25, 0x84
	s_cselect_b32 s1, -1, 0
	s_and_b32 s8, vcc_lo, s1
	s_and_saveexec_b32 s1, s8
; %bb.6:
	v_mov_b32_e32 v4, 0
	v_mov_b32_e32 v5, 0x3ff00000
	ds_write_b64 v3, v[4:5]
; %bb.7:
	s_or_b32 exec_lo, exec_lo, s1
	s_cmpk_lg_i32 s24, 0x79
	s_cbranch_scc0 .LBB165_9
; %bb.8:
	v_cmp_lt_u32_e32 vcc_lo, v0, v1
	s_and_b32 s1, vcc_lo, exec_lo
	s_cbranch_execz .LBB165_10
	s_branch .LBB165_11
.LBB165_9:
	s_mov_b32 s1, 0
.LBB165_10:
	v_cmp_gt_u32_e32 vcc_lo, v0, v1
	s_andn2_b32 s1, s1, exec_lo
	s_and_b32 s8, vcc_lo, exec_lo
	s_or_b32 s1, s1, s8
.LBB165_11:
	s_and_saveexec_b32 s8, s1
; %bb.12:
	v_mov_b32_e32 v4, 0
	v_mov_b32_e32 v5, v4
	ds_write_b64 v3, v[4:5]
; %bb.13:
	s_or_b32 exec_lo, exec_lo, s8
	s_waitcnt lgkmcnt(0)
	s_barrier
	buffer_gl0_inv
	s_and_saveexec_b32 s1, s0
	s_cbranch_execz .LBB165_15
; %bb.14:
	v_add_nc_u32_e32 v0, 0x2000, v2
	v_lshlrev_b32_e32 v13, 3, v1
	s_load_dwordx2 s[0:1], s[4:5], 0x60
	ds_read2_b64 v[3:6], v0 offset1:32
	ds_read2_b64 v[7:10], v13 offset1:32
	v_add_nc_u32_e32 v14, 0x800, v13
	s_waitcnt lgkmcnt(0)
	s_lshl_b64 s[0:1], s[0:1], 3
	v_fma_f64 v[3:4], v[3:4], v[7:8], 0
	v_fma_f64 v[11:12], v[5:6], v[9:10], v[3:4]
	ds_read2_b64 v[3:6], v0 offset0:64 offset1:96
	ds_read2_b64 v[7:10], v13 offset0:64 offset1:96
	s_waitcnt lgkmcnt(0)
	v_fma_f64 v[3:4], v[3:4], v[7:8], v[11:12]
	v_fma_f64 v[11:12], v[5:6], v[9:10], v[3:4]
	ds_read2_b64 v[3:6], v0 offset0:128 offset1:160
	ds_read2_b64 v[7:10], v13 offset0:128 offset1:160
	s_waitcnt lgkmcnt(0)
	v_fma_f64 v[3:4], v[3:4], v[7:8], v[11:12]
	v_fma_f64 v[11:12], v[5:6], v[9:10], v[3:4]
	ds_read2_b64 v[3:6], v0 offset0:192 offset1:224
	ds_read2_b64 v[7:10], v13 offset0:192 offset1:224
	v_add_nc_u32_e32 v0, 0x2800, v2
	s_waitcnt lgkmcnt(0)
	v_fma_f64 v[3:4], v[3:4], v[7:8], v[11:12]
	v_fma_f64 v[11:12], v[5:6], v[9:10], v[3:4]
	ds_read2_b64 v[3:6], v0 offset1:32
	ds_read2_b64 v[7:10], v14 offset1:32
	s_waitcnt lgkmcnt(0)
	v_fma_f64 v[3:4], v[3:4], v[7:8], v[11:12]
	v_fma_f64 v[11:12], v[5:6], v[9:10], v[3:4]
	ds_read2_b64 v[3:6], v0 offset0:64 offset1:96
	ds_read2_b64 v[7:10], v14 offset0:64 offset1:96
	s_waitcnt lgkmcnt(0)
	v_fma_f64 v[3:4], v[3:4], v[7:8], v[11:12]
	v_fma_f64 v[11:12], v[5:6], v[9:10], v[3:4]
	ds_read2_b64 v[3:6], v0 offset0:128 offset1:160
	ds_read2_b64 v[7:10], v14 offset0:128 offset1:160
	;; [unrolled: 5-line block ×3, first 2 shown]
	v_add_nc_u32_e32 v0, 0x3000, v2
	v_add_nc_u32_e32 v14, 0x1000, v13
	;; [unrolled: 1-line block ×3, first 2 shown]
	s_waitcnt lgkmcnt(0)
	v_fma_f64 v[3:4], v[3:4], v[7:8], v[11:12]
	v_fma_f64 v[11:12], v[5:6], v[9:10], v[3:4]
	ds_read2_b64 v[3:6], v0 offset1:32
	ds_read2_b64 v[7:10], v14 offset1:32
	s_waitcnt lgkmcnt(0)
	v_fma_f64 v[3:4], v[3:4], v[7:8], v[11:12]
	v_fma_f64 v[11:12], v[5:6], v[9:10], v[3:4]
	ds_read2_b64 v[3:6], v0 offset0:64 offset1:96
	ds_read2_b64 v[7:10], v14 offset0:64 offset1:96
	s_waitcnt lgkmcnt(0)
	v_fma_f64 v[3:4], v[3:4], v[7:8], v[11:12]
	v_fma_f64 v[11:12], v[5:6], v[9:10], v[3:4]
	ds_read2_b64 v[3:6], v0 offset0:128 offset1:160
	ds_read2_b64 v[7:10], v14 offset0:128 offset1:160
	;; [unrolled: 5-line block ×3, first 2 shown]
	v_add_nc_u32_e32 v0, 0x3800, v2
	s_waitcnt lgkmcnt(0)
	v_fma_f64 v[3:4], v[3:4], v[7:8], v[11:12]
	v_fma_f64 v[11:12], v[5:6], v[9:10], v[3:4]
	ds_read2_b64 v[3:6], v0 offset1:32
	ds_read2_b64 v[7:10], v13 offset1:32
	s_waitcnt lgkmcnt(0)
	v_fma_f64 v[3:4], v[3:4], v[7:8], v[11:12]
	v_fma_f64 v[11:12], v[5:6], v[9:10], v[3:4]
	ds_read2_b64 v[3:6], v0 offset0:64 offset1:96
	ds_read2_b64 v[7:10], v13 offset0:64 offset1:96
	s_waitcnt lgkmcnt(0)
	v_fma_f64 v[3:4], v[3:4], v[7:8], v[11:12]
	v_fma_f64 v[11:12], v[5:6], v[9:10], v[3:4]
	ds_read2_b64 v[3:6], v0 offset0:128 offset1:160
	ds_read2_b64 v[7:10], v13 offset0:128 offset1:160
	;; [unrolled: 5-line block ×3, first 2 shown]
	s_waitcnt lgkmcnt(0)
	v_fma_f64 v[3:4], v[3:4], v[7:8], v[11:12]
	v_fma_f64 v[3:4], v[5:6], v[9:10], v[3:4]
	v_mad_u64_u32 v[5:6], null, s22, v1, 0
	v_mov_b32_e32 v0, v6
	v_mad_u64_u32 v[0:1], null, s23, v1, v[0:1]
	v_mov_b32_e32 v6, v0
	v_mul_f64 v[0:1], s[2:3], v[3:4]
	s_add_u32 s2, s14, s0
	s_addc_u32 s3, s15, s1
	s_lshl_b64 s[0:1], s[6:7], 3
	v_lshlrev_b64 v[3:4], 3, v[5:6]
	s_add_u32 s0, s2, s0
	s_addc_u32 s1, s3, s1
	v_add_co_u32 v3, vcc_lo, s0, v3
	v_add_co_ci_u32_e64 v4, null, s1, v4, vcc_lo
	v_add_co_u32 v2, vcc_lo, v3, v2
	v_add_co_ci_u32_e64 v3, null, 0, v4, vcc_lo
	flat_store_dwordx2 v[2:3], v[0:1]
.LBB165_15:
	s_endpgm
	.section	.rodata,"a",@progbits
	.p2align	6, 0x0
	.amdhsa_kernel _ZL23rocblas_trmm_rTx_kernelILi32ELb0EddKPKdKPdEv13rocblas_fill_17rocblas_diagonal_iiT2_lPT3_llS9_llPT4_lli
		.amdhsa_group_segment_fixed_size 16384
		.amdhsa_private_segment_fixed_size 0
		.amdhsa_kernarg_size 108
		.amdhsa_user_sgpr_count 6
		.amdhsa_user_sgpr_private_segment_buffer 1
		.amdhsa_user_sgpr_dispatch_ptr 0
		.amdhsa_user_sgpr_queue_ptr 0
		.amdhsa_user_sgpr_kernarg_segment_ptr 1
		.amdhsa_user_sgpr_dispatch_id 0
		.amdhsa_user_sgpr_flat_scratch_init 0
		.amdhsa_user_sgpr_private_segment_size 0
		.amdhsa_wavefront_size32 1
		.amdhsa_uses_dynamic_stack 0
		.amdhsa_system_sgpr_private_segment_wavefront_offset 0
		.amdhsa_system_sgpr_workgroup_id_x 1
		.amdhsa_system_sgpr_workgroup_id_y 0
		.amdhsa_system_sgpr_workgroup_id_z 1
		.amdhsa_system_sgpr_workgroup_info 0
		.amdhsa_system_vgpr_workitem_id 1
		.amdhsa_next_free_vgpr 15
		.amdhsa_next_free_sgpr 32
		.amdhsa_reserve_vcc 1
		.amdhsa_reserve_flat_scratch 0
		.amdhsa_float_round_mode_32 0
		.amdhsa_float_round_mode_16_64 0
		.amdhsa_float_denorm_mode_32 3
		.amdhsa_float_denorm_mode_16_64 3
		.amdhsa_dx10_clamp 1
		.amdhsa_ieee_mode 1
		.amdhsa_fp16_overflow 0
		.amdhsa_workgroup_processor_mode 1
		.amdhsa_memory_ordered 1
		.amdhsa_forward_progress 1
		.amdhsa_shared_vgpr_count 0
		.amdhsa_exception_fp_ieee_invalid_op 0
		.amdhsa_exception_fp_denorm_src 0
		.amdhsa_exception_fp_ieee_div_zero 0
		.amdhsa_exception_fp_ieee_overflow 0
		.amdhsa_exception_fp_ieee_underflow 0
		.amdhsa_exception_fp_ieee_inexact 0
		.amdhsa_exception_int_div_zero 0
	.end_amdhsa_kernel
	.section	.text._ZL23rocblas_trmm_rTx_kernelILi32ELb0EddKPKdKPdEv13rocblas_fill_17rocblas_diagonal_iiT2_lPT3_llS9_llPT4_lli,"axG",@progbits,_ZL23rocblas_trmm_rTx_kernelILi32ELb0EddKPKdKPdEv13rocblas_fill_17rocblas_diagonal_iiT2_lPT3_llS9_llPT4_lli,comdat
.Lfunc_end165:
	.size	_ZL23rocblas_trmm_rTx_kernelILi32ELb0EddKPKdKPdEv13rocblas_fill_17rocblas_diagonal_iiT2_lPT3_llS9_llPT4_lli, .Lfunc_end165-_ZL23rocblas_trmm_rTx_kernelILi32ELb0EddKPKdKPdEv13rocblas_fill_17rocblas_diagonal_iiT2_lPT3_llS9_llPT4_lli
                                        ; -- End function
	.set _ZL23rocblas_trmm_rTx_kernelILi32ELb0EddKPKdKPdEv13rocblas_fill_17rocblas_diagonal_iiT2_lPT3_llS9_llPT4_lli.num_vgpr, 15
	.set _ZL23rocblas_trmm_rTx_kernelILi32ELb0EddKPKdKPdEv13rocblas_fill_17rocblas_diagonal_iiT2_lPT3_llS9_llPT4_lli.num_agpr, 0
	.set _ZL23rocblas_trmm_rTx_kernelILi32ELb0EddKPKdKPdEv13rocblas_fill_17rocblas_diagonal_iiT2_lPT3_llS9_llPT4_lli.numbered_sgpr, 32
	.set _ZL23rocblas_trmm_rTx_kernelILi32ELb0EddKPKdKPdEv13rocblas_fill_17rocblas_diagonal_iiT2_lPT3_llS9_llPT4_lli.num_named_barrier, 0
	.set _ZL23rocblas_trmm_rTx_kernelILi32ELb0EddKPKdKPdEv13rocblas_fill_17rocblas_diagonal_iiT2_lPT3_llS9_llPT4_lli.private_seg_size, 0
	.set _ZL23rocblas_trmm_rTx_kernelILi32ELb0EddKPKdKPdEv13rocblas_fill_17rocblas_diagonal_iiT2_lPT3_llS9_llPT4_lli.uses_vcc, 1
	.set _ZL23rocblas_trmm_rTx_kernelILi32ELb0EddKPKdKPdEv13rocblas_fill_17rocblas_diagonal_iiT2_lPT3_llS9_llPT4_lli.uses_flat_scratch, 0
	.set _ZL23rocblas_trmm_rTx_kernelILi32ELb0EddKPKdKPdEv13rocblas_fill_17rocblas_diagonal_iiT2_lPT3_llS9_llPT4_lli.has_dyn_sized_stack, 0
	.set _ZL23rocblas_trmm_rTx_kernelILi32ELb0EddKPKdKPdEv13rocblas_fill_17rocblas_diagonal_iiT2_lPT3_llS9_llPT4_lli.has_recursion, 0
	.set _ZL23rocblas_trmm_rTx_kernelILi32ELb0EddKPKdKPdEv13rocblas_fill_17rocblas_diagonal_iiT2_lPT3_llS9_llPT4_lli.has_indirect_call, 0
	.section	.AMDGPU.csdata,"",@progbits
; Kernel info:
; codeLenInByte = 1336
; TotalNumSgprs: 34
; NumVgprs: 15
; ScratchSize: 0
; MemoryBound: 1
; FloatMode: 240
; IeeeMode: 1
; LDSByteSize: 16384 bytes/workgroup (compile time only)
; SGPRBlocks: 0
; VGPRBlocks: 1
; NumSGPRsForWavesPerEU: 34
; NumVGPRsForWavesPerEU: 15
; Occupancy: 16
; WaveLimiterHint : 1
; COMPUTE_PGM_RSRC2:SCRATCH_EN: 0
; COMPUTE_PGM_RSRC2:USER_SGPR: 6
; COMPUTE_PGM_RSRC2:TRAP_HANDLER: 0
; COMPUTE_PGM_RSRC2:TGID_X_EN: 1
; COMPUTE_PGM_RSRC2:TGID_Y_EN: 0
; COMPUTE_PGM_RSRC2:TGID_Z_EN: 1
; COMPUTE_PGM_RSRC2:TIDIG_COMP_CNT: 1
	.section	.text._ZL23rocblas_trmm_rTx_kernelILi32ELb1EdPKdKS1_KPdEv13rocblas_fill_17rocblas_diagonal_iiT2_lPT3_llS9_llPT4_lli,"axG",@progbits,_ZL23rocblas_trmm_rTx_kernelILi32ELb1EdPKdKS1_KPdEv13rocblas_fill_17rocblas_diagonal_iiT2_lPT3_llS9_llPT4_lli,comdat
	.globl	_ZL23rocblas_trmm_rTx_kernelILi32ELb1EdPKdKS1_KPdEv13rocblas_fill_17rocblas_diagonal_iiT2_lPT3_llS9_llPT4_lli ; -- Begin function _ZL23rocblas_trmm_rTx_kernelILi32ELb1EdPKdKS1_KPdEv13rocblas_fill_17rocblas_diagonal_iiT2_lPT3_llS9_llPT4_lli
	.p2align	8
	.type	_ZL23rocblas_trmm_rTx_kernelILi32ELb1EdPKdKS1_KPdEv13rocblas_fill_17rocblas_diagonal_iiT2_lPT3_llS9_llPT4_lli,@function
_ZL23rocblas_trmm_rTx_kernelILi32ELb1EdPKdKS1_KPdEv13rocblas_fill_17rocblas_diagonal_iiT2_lPT3_llS9_llPT4_lli: ; @_ZL23rocblas_trmm_rTx_kernelILi32ELb1EdPKdKS1_KPdEv13rocblas_fill_17rocblas_diagonal_iiT2_lPT3_llS9_llPT4_lli
; %bb.0:
	s_load_dwordx16 s[8:23], s[4:5], 0x10
	s_waitcnt lgkmcnt(0)
	s_mul_i32 s0, s11, s7
	s_mul_hi_u32 s1, s10, s7
	s_add_i32 s1, s1, s0
	s_mul_i32 s0, s10, s7
	s_lshl_b64 s[0:1], s[0:1], 3
	s_add_u32 s0, s8, s0
	s_addc_u32 s1, s9, s1
	s_load_dwordx2 s[24:25], s[0:1], 0x0
	s_waitcnt lgkmcnt(0)
	v_cmp_eq_f64_e64 s0, s[24:25], 0
	s_and_b32 vcc_lo, exec_lo, s0
	s_cbranch_vccnz .LBB166_15
; %bb.1:
	s_clause 0x1
	s_load_dwordx4 s[0:3], s[4:5], 0x50
	s_load_dwordx4 s[8:11], s[4:5], 0x0
	s_mov_b32 s28, s7
	s_mov_b32 s29, 0
	v_lshlrev_b32_e32 v2, 5, v1
	s_lshl_b64 s[30:31], s[28:29], 3
	s_mov_b32 s28, s29
	s_add_u32 s18, s18, s30
	s_addc_u32 s19, s19, s31
	v_mov_b32_e32 v4, s28
	v_add_lshl_u32 v3, v2, v0, 3
	v_mov_b32_e32 v5, s29
	v_lshlrev_b32_e32 v2, 3, v0
	s_waitcnt lgkmcnt(0)
	s_add_u32 s0, s0, s30
	s_addc_u32 s1, s1, s31
	s_load_dwordx2 s[26:27], s[18:19], 0x0
	s_load_dwordx2 s[18:19], s[0:1], 0x0
	v_cmp_gt_i32_e32 vcc_lo, s11, v1
	v_cmp_gt_i32_e64 s0, s11, v0
	ds_write2st64_b64 v3, v[4:5], v[4:5] offset1:16
	s_and_b32 s0, vcc_lo, s0
	s_and_saveexec_b32 s1, s0
	s_cbranch_execz .LBB166_3
; %bb.2:
	s_add_u32 s12, s12, s30
	s_addc_u32 s13, s13, s31
	v_mad_u64_u32 v[4:5], null, s14, v1, 0
	s_load_dwordx2 s[12:13], s[12:13], 0x0
	v_mad_u64_u32 v[5:6], null, s15, v1, v[5:6]
	s_lshl_b64 s[14:15], s[16:17], 3
	v_lshlrev_b64 v[4:5], 3, v[4:5]
	s_waitcnt lgkmcnt(0)
	s_add_u32 s0, s12, s14
	s_addc_u32 s7, s13, s15
	v_add_co_u32 v4, s0, s0, v4
	v_add_co_ci_u32_e64 v5, null, s7, v5, s0
	v_add_co_u32 v4, s0, v4, v2
	v_add_co_ci_u32_e64 v5, null, 0, v5, s0
	flat_load_dwordx2 v[4:5], v[4:5]
	s_waitcnt vmcnt(0) lgkmcnt(0)
	ds_write_b64 v3, v[4:5]
.LBB166_3:
	s_or_b32 exec_lo, exec_lo, s1
	s_add_i32 s0, s10, -1
	s_ashr_i32 s1, s0, 31
	s_lshr_b32 s1, s1, 27
	s_add_i32 s0, s0, s1
	s_and_b32 s1, s0, 0xffffffe0
	s_ashr_i32 s0, s0, 5
	s_sub_i32 s1, s10, s1
	s_cmp_ge_i32 s6, s0
	s_cselect_b32 s0, s1, 32
	s_lshl_b32 s6, s6, 5
	v_cmp_gt_i32_e64 s0, s0, v0
	s_ashr_i32 s7, s6, 31
	s_and_b32 s0, vcc_lo, s0
	s_and_saveexec_b32 s1, s0
	s_cbranch_execz .LBB166_5
; %bb.4:
	v_mad_u64_u32 v[4:5], null, s20, v1, 0
	s_lshl_b64 s[10:11], s[22:23], 3
	s_waitcnt lgkmcnt(0)
	s_add_u32 s12, s26, s10
	s_addc_u32 s13, s27, s11
	s_lshl_b64 s[10:11], s[6:7], 3
	s_add_u32 s10, s12, s10
	v_mad_u64_u32 v[5:6], null, s21, v1, v[5:6]
	s_addc_u32 s11, s13, s11
	v_add_nc_u32_e32 v6, 0x2000, v3
	v_lshlrev_b64 v[4:5], 3, v[4:5]
	v_add_co_u32 v4, vcc_lo, s10, v4
	v_add_co_ci_u32_e64 v5, null, s11, v5, vcc_lo
	v_add_co_u32 v4, vcc_lo, v4, v2
	v_add_co_ci_u32_e64 v5, null, 0, v5, vcc_lo
	flat_load_dwordx2 v[4:5], v[4:5]
	s_waitcnt vmcnt(0) lgkmcnt(0)
	ds_write_b64 v6, v[4:5]
.LBB166_5:
	s_or_b32 exec_lo, exec_lo, s1
	v_cmp_eq_u32_e32 vcc_lo, v1, v0
	s_cmpk_eq_i32 s9, 0x84
	s_cselect_b32 s1, -1, 0
	s_and_b32 s9, vcc_lo, s1
	s_and_saveexec_b32 s1, s9
; %bb.6:
	v_mov_b32_e32 v4, 0
	v_mov_b32_e32 v5, 0x3ff00000
	ds_write_b64 v3, v[4:5]
; %bb.7:
	s_or_b32 exec_lo, exec_lo, s1
	s_cmpk_lg_i32 s8, 0x79
	s_cbranch_scc0 .LBB166_9
; %bb.8:
	v_cmp_lt_u32_e32 vcc_lo, v0, v1
	s_and_b32 s1, vcc_lo, exec_lo
	s_cbranch_execz .LBB166_10
	s_branch .LBB166_11
.LBB166_9:
	s_mov_b32 s1, 0
.LBB166_10:
	v_cmp_gt_u32_e32 vcc_lo, v0, v1
	s_andn2_b32 s1, s1, exec_lo
	s_and_b32 s8, vcc_lo, exec_lo
	s_or_b32 s1, s1, s8
.LBB166_11:
	s_and_saveexec_b32 s8, s1
; %bb.12:
	v_mov_b32_e32 v4, 0
	v_mov_b32_e32 v5, v4
	ds_write_b64 v3, v[4:5]
; %bb.13:
	s_or_b32 exec_lo, exec_lo, s8
	s_waitcnt lgkmcnt(0)
	s_barrier
	buffer_gl0_inv
	s_and_saveexec_b32 s1, s0
	s_cbranch_execz .LBB166_15
; %bb.14:
	v_add_nc_u32_e32 v0, 0x2000, v2
	v_lshlrev_b32_e32 v13, 3, v1
	s_load_dwordx2 s[0:1], s[4:5], 0x60
	ds_read2_b64 v[3:6], v0 offset1:32
	ds_read2_b64 v[7:10], v13 offset1:32
	v_add_nc_u32_e32 v14, 0x800, v13
	s_waitcnt lgkmcnt(0)
	s_lshl_b64 s[0:1], s[0:1], 3
	v_fma_f64 v[3:4], v[3:4], v[7:8], 0
	v_fma_f64 v[11:12], v[5:6], v[9:10], v[3:4]
	ds_read2_b64 v[3:6], v0 offset0:64 offset1:96
	ds_read2_b64 v[7:10], v13 offset0:64 offset1:96
	s_waitcnt lgkmcnt(0)
	v_fma_f64 v[3:4], v[3:4], v[7:8], v[11:12]
	v_fma_f64 v[11:12], v[5:6], v[9:10], v[3:4]
	ds_read2_b64 v[3:6], v0 offset0:128 offset1:160
	ds_read2_b64 v[7:10], v13 offset0:128 offset1:160
	s_waitcnt lgkmcnt(0)
	v_fma_f64 v[3:4], v[3:4], v[7:8], v[11:12]
	v_fma_f64 v[11:12], v[5:6], v[9:10], v[3:4]
	ds_read2_b64 v[3:6], v0 offset0:192 offset1:224
	ds_read2_b64 v[7:10], v13 offset0:192 offset1:224
	v_add_nc_u32_e32 v0, 0x2800, v2
	s_waitcnt lgkmcnt(0)
	v_fma_f64 v[3:4], v[3:4], v[7:8], v[11:12]
	v_fma_f64 v[11:12], v[5:6], v[9:10], v[3:4]
	ds_read2_b64 v[3:6], v0 offset1:32
	ds_read2_b64 v[7:10], v14 offset1:32
	s_waitcnt lgkmcnt(0)
	v_fma_f64 v[3:4], v[3:4], v[7:8], v[11:12]
	v_fma_f64 v[11:12], v[5:6], v[9:10], v[3:4]
	ds_read2_b64 v[3:6], v0 offset0:64 offset1:96
	ds_read2_b64 v[7:10], v14 offset0:64 offset1:96
	s_waitcnt lgkmcnt(0)
	v_fma_f64 v[3:4], v[3:4], v[7:8], v[11:12]
	v_fma_f64 v[11:12], v[5:6], v[9:10], v[3:4]
	ds_read2_b64 v[3:6], v0 offset0:128 offset1:160
	ds_read2_b64 v[7:10], v14 offset0:128 offset1:160
	;; [unrolled: 5-line block ×3, first 2 shown]
	v_add_nc_u32_e32 v0, 0x3000, v2
	v_add_nc_u32_e32 v14, 0x1000, v13
	;; [unrolled: 1-line block ×3, first 2 shown]
	s_waitcnt lgkmcnt(0)
	v_fma_f64 v[3:4], v[3:4], v[7:8], v[11:12]
	v_fma_f64 v[11:12], v[5:6], v[9:10], v[3:4]
	ds_read2_b64 v[3:6], v0 offset1:32
	ds_read2_b64 v[7:10], v14 offset1:32
	s_waitcnt lgkmcnt(0)
	v_fma_f64 v[3:4], v[3:4], v[7:8], v[11:12]
	v_fma_f64 v[11:12], v[5:6], v[9:10], v[3:4]
	ds_read2_b64 v[3:6], v0 offset0:64 offset1:96
	ds_read2_b64 v[7:10], v14 offset0:64 offset1:96
	s_waitcnt lgkmcnt(0)
	v_fma_f64 v[3:4], v[3:4], v[7:8], v[11:12]
	v_fma_f64 v[11:12], v[5:6], v[9:10], v[3:4]
	ds_read2_b64 v[3:6], v0 offset0:128 offset1:160
	ds_read2_b64 v[7:10], v14 offset0:128 offset1:160
	;; [unrolled: 5-line block ×3, first 2 shown]
	v_add_nc_u32_e32 v0, 0x3800, v2
	s_waitcnt lgkmcnt(0)
	v_fma_f64 v[3:4], v[3:4], v[7:8], v[11:12]
	v_fma_f64 v[11:12], v[5:6], v[9:10], v[3:4]
	ds_read2_b64 v[3:6], v0 offset1:32
	ds_read2_b64 v[7:10], v13 offset1:32
	s_waitcnt lgkmcnt(0)
	v_fma_f64 v[3:4], v[3:4], v[7:8], v[11:12]
	v_fma_f64 v[11:12], v[5:6], v[9:10], v[3:4]
	ds_read2_b64 v[3:6], v0 offset0:64 offset1:96
	ds_read2_b64 v[7:10], v13 offset0:64 offset1:96
	s_waitcnt lgkmcnt(0)
	v_fma_f64 v[3:4], v[3:4], v[7:8], v[11:12]
	v_fma_f64 v[11:12], v[5:6], v[9:10], v[3:4]
	ds_read2_b64 v[3:6], v0 offset0:128 offset1:160
	ds_read2_b64 v[7:10], v13 offset0:128 offset1:160
	;; [unrolled: 5-line block ×3, first 2 shown]
	s_waitcnt lgkmcnt(0)
	v_fma_f64 v[3:4], v[3:4], v[7:8], v[11:12]
	v_fma_f64 v[3:4], v[5:6], v[9:10], v[3:4]
	v_mad_u64_u32 v[5:6], null, s2, v1, 0
	s_add_u32 s2, s18, s0
	v_mov_b32_e32 v0, v6
	v_mad_u64_u32 v[0:1], null, s3, v1, v[0:1]
	s_addc_u32 s3, s19, s1
	s_lshl_b64 s[0:1], s[6:7], 3
	s_add_u32 s0, s2, s0
	s_addc_u32 s1, s3, s1
	v_mov_b32_e32 v6, v0
	v_mul_f64 v[0:1], s[24:25], v[3:4]
	v_lshlrev_b64 v[3:4], 3, v[5:6]
	v_add_co_u32 v3, vcc_lo, s0, v3
	v_add_co_ci_u32_e64 v4, null, s1, v4, vcc_lo
	v_add_co_u32 v2, vcc_lo, v3, v2
	v_add_co_ci_u32_e64 v3, null, 0, v4, vcc_lo
	flat_store_dwordx2 v[2:3], v[0:1]
.LBB166_15:
	s_endpgm
	.section	.rodata,"a",@progbits
	.p2align	6, 0x0
	.amdhsa_kernel _ZL23rocblas_trmm_rTx_kernelILi32ELb1EdPKdKS1_KPdEv13rocblas_fill_17rocblas_diagonal_iiT2_lPT3_llS9_llPT4_lli
		.amdhsa_group_segment_fixed_size 16384
		.amdhsa_private_segment_fixed_size 0
		.amdhsa_kernarg_size 108
		.amdhsa_user_sgpr_count 6
		.amdhsa_user_sgpr_private_segment_buffer 1
		.amdhsa_user_sgpr_dispatch_ptr 0
		.amdhsa_user_sgpr_queue_ptr 0
		.amdhsa_user_sgpr_kernarg_segment_ptr 1
		.amdhsa_user_sgpr_dispatch_id 0
		.amdhsa_user_sgpr_flat_scratch_init 0
		.amdhsa_user_sgpr_private_segment_size 0
		.amdhsa_wavefront_size32 1
		.amdhsa_uses_dynamic_stack 0
		.amdhsa_system_sgpr_private_segment_wavefront_offset 0
		.amdhsa_system_sgpr_workgroup_id_x 1
		.amdhsa_system_sgpr_workgroup_id_y 0
		.amdhsa_system_sgpr_workgroup_id_z 1
		.amdhsa_system_sgpr_workgroup_info 0
		.amdhsa_system_vgpr_workitem_id 1
		.amdhsa_next_free_vgpr 15
		.amdhsa_next_free_sgpr 32
		.amdhsa_reserve_vcc 1
		.amdhsa_reserve_flat_scratch 0
		.amdhsa_float_round_mode_32 0
		.amdhsa_float_round_mode_16_64 0
		.amdhsa_float_denorm_mode_32 3
		.amdhsa_float_denorm_mode_16_64 3
		.amdhsa_dx10_clamp 1
		.amdhsa_ieee_mode 1
		.amdhsa_fp16_overflow 0
		.amdhsa_workgroup_processor_mode 1
		.amdhsa_memory_ordered 1
		.amdhsa_forward_progress 1
		.amdhsa_shared_vgpr_count 0
		.amdhsa_exception_fp_ieee_invalid_op 0
		.amdhsa_exception_fp_denorm_src 0
		.amdhsa_exception_fp_ieee_div_zero 0
		.amdhsa_exception_fp_ieee_overflow 0
		.amdhsa_exception_fp_ieee_underflow 0
		.amdhsa_exception_fp_ieee_inexact 0
		.amdhsa_exception_int_div_zero 0
	.end_amdhsa_kernel
	.section	.text._ZL23rocblas_trmm_rTx_kernelILi32ELb1EdPKdKS1_KPdEv13rocblas_fill_17rocblas_diagonal_iiT2_lPT3_llS9_llPT4_lli,"axG",@progbits,_ZL23rocblas_trmm_rTx_kernelILi32ELb1EdPKdKS1_KPdEv13rocblas_fill_17rocblas_diagonal_iiT2_lPT3_llS9_llPT4_lli,comdat
.Lfunc_end166:
	.size	_ZL23rocblas_trmm_rTx_kernelILi32ELb1EdPKdKS1_KPdEv13rocblas_fill_17rocblas_diagonal_iiT2_lPT3_llS9_llPT4_lli, .Lfunc_end166-_ZL23rocblas_trmm_rTx_kernelILi32ELb1EdPKdKS1_KPdEv13rocblas_fill_17rocblas_diagonal_iiT2_lPT3_llS9_llPT4_lli
                                        ; -- End function
	.set _ZL23rocblas_trmm_rTx_kernelILi32ELb1EdPKdKS1_KPdEv13rocblas_fill_17rocblas_diagonal_iiT2_lPT3_llS9_llPT4_lli.num_vgpr, 15
	.set _ZL23rocblas_trmm_rTx_kernelILi32ELb1EdPKdKS1_KPdEv13rocblas_fill_17rocblas_diagonal_iiT2_lPT3_llS9_llPT4_lli.num_agpr, 0
	.set _ZL23rocblas_trmm_rTx_kernelILi32ELb1EdPKdKS1_KPdEv13rocblas_fill_17rocblas_diagonal_iiT2_lPT3_llS9_llPT4_lli.numbered_sgpr, 32
	.set _ZL23rocblas_trmm_rTx_kernelILi32ELb1EdPKdKS1_KPdEv13rocblas_fill_17rocblas_diagonal_iiT2_lPT3_llS9_llPT4_lli.num_named_barrier, 0
	.set _ZL23rocblas_trmm_rTx_kernelILi32ELb1EdPKdKS1_KPdEv13rocblas_fill_17rocblas_diagonal_iiT2_lPT3_llS9_llPT4_lli.private_seg_size, 0
	.set _ZL23rocblas_trmm_rTx_kernelILi32ELb1EdPKdKS1_KPdEv13rocblas_fill_17rocblas_diagonal_iiT2_lPT3_llS9_llPT4_lli.uses_vcc, 1
	.set _ZL23rocblas_trmm_rTx_kernelILi32ELb1EdPKdKS1_KPdEv13rocblas_fill_17rocblas_diagonal_iiT2_lPT3_llS9_llPT4_lli.uses_flat_scratch, 0
	.set _ZL23rocblas_trmm_rTx_kernelILi32ELb1EdPKdKS1_KPdEv13rocblas_fill_17rocblas_diagonal_iiT2_lPT3_llS9_llPT4_lli.has_dyn_sized_stack, 0
	.set _ZL23rocblas_trmm_rTx_kernelILi32ELb1EdPKdKS1_KPdEv13rocblas_fill_17rocblas_diagonal_iiT2_lPT3_llS9_llPT4_lli.has_recursion, 0
	.set _ZL23rocblas_trmm_rTx_kernelILi32ELb1EdPKdKS1_KPdEv13rocblas_fill_17rocblas_diagonal_iiT2_lPT3_llS9_llPT4_lli.has_indirect_call, 0
	.section	.AMDGPU.csdata,"",@progbits
; Kernel info:
; codeLenInByte = 1380
; TotalNumSgprs: 34
; NumVgprs: 15
; ScratchSize: 0
; MemoryBound: 1
; FloatMode: 240
; IeeeMode: 1
; LDSByteSize: 16384 bytes/workgroup (compile time only)
; SGPRBlocks: 0
; VGPRBlocks: 1
; NumSGPRsForWavesPerEU: 34
; NumVGPRsForWavesPerEU: 15
; Occupancy: 16
; WaveLimiterHint : 1
; COMPUTE_PGM_RSRC2:SCRATCH_EN: 0
; COMPUTE_PGM_RSRC2:USER_SGPR: 6
; COMPUTE_PGM_RSRC2:TRAP_HANDLER: 0
; COMPUTE_PGM_RSRC2:TGID_X_EN: 1
; COMPUTE_PGM_RSRC2:TGID_Y_EN: 0
; COMPUTE_PGM_RSRC2:TGID_Z_EN: 1
; COMPUTE_PGM_RSRC2:TIDIG_COMP_CNT: 1
	.section	.text._ZL23rocblas_trmm_rTx_kernelILi32ELb1EddKPKdKPdEv13rocblas_fill_17rocblas_diagonal_iiT2_lPT3_llS9_llPT4_lli,"axG",@progbits,_ZL23rocblas_trmm_rTx_kernelILi32ELb1EddKPKdKPdEv13rocblas_fill_17rocblas_diagonal_iiT2_lPT3_llS9_llPT4_lli,comdat
	.globl	_ZL23rocblas_trmm_rTx_kernelILi32ELb1EddKPKdKPdEv13rocblas_fill_17rocblas_diagonal_iiT2_lPT3_llS9_llPT4_lli ; -- Begin function _ZL23rocblas_trmm_rTx_kernelILi32ELb1EddKPKdKPdEv13rocblas_fill_17rocblas_diagonal_iiT2_lPT3_llS9_llPT4_lli
	.p2align	8
	.type	_ZL23rocblas_trmm_rTx_kernelILi32ELb1EddKPKdKPdEv13rocblas_fill_17rocblas_diagonal_iiT2_lPT3_llS9_llPT4_lli,@function
_ZL23rocblas_trmm_rTx_kernelILi32ELb1EddKPKdKPdEv13rocblas_fill_17rocblas_diagonal_iiT2_lPT3_llS9_llPT4_lli: ; @_ZL23rocblas_trmm_rTx_kernelILi32ELb1EddKPKdKPdEv13rocblas_fill_17rocblas_diagonal_iiT2_lPT3_llS9_llPT4_lli
; %bb.0:
	s_load_dwordx2 s[2:3], s[4:5], 0x10
	s_waitcnt lgkmcnt(0)
	v_cmp_eq_f64_e64 s0, s[2:3], 0
	s_and_b32 vcc_lo, exec_lo, s0
	s_cbranch_vccnz .LBB167_15
; %bb.1:
	s_load_dwordx16 s[8:23], s[4:5], 0x20
	s_mov_b32 s30, s7
	s_mov_b32 s31, 0
	s_load_dwordx4 s[24:27], s[4:5], 0x0
	s_lshl_b64 s[28:29], s[30:31], 3
	v_lshlrev_b32_e32 v2, 5, v1
	s_mov_b32 s30, s31
	v_mov_b32_e32 v4, s30
	v_mov_b32_e32 v5, s31
	v_add_lshl_u32 v3, v2, v0, 3
	v_lshlrev_b32_e32 v2, 3, v0
	s_waitcnt lgkmcnt(0)
	s_add_u32 s0, s14, s28
	s_addc_u32 s1, s15, s29
	s_add_u32 s14, s20, s28
	s_addc_u32 s15, s21, s29
	s_load_dwordx2 s[20:21], s[0:1], 0x0
	s_load_dwordx2 s[14:15], s[14:15], 0x0
	v_cmp_gt_i32_e32 vcc_lo, s27, v1
	v_cmp_gt_i32_e64 s0, s27, v0
	ds_write2st64_b64 v3, v[4:5], v[4:5] offset1:16
	s_and_b32 s0, vcc_lo, s0
	s_and_saveexec_b32 s1, s0
	s_cbranch_execz .LBB167_3
; %bb.2:
	s_add_u32 s8, s8, s28
	s_addc_u32 s9, s9, s29
	v_mad_u64_u32 v[4:5], null, s10, v1, 0
	s_load_dwordx2 s[8:9], s[8:9], 0x0
	v_mad_u64_u32 v[5:6], null, s11, v1, v[5:6]
	s_lshl_b64 s[10:11], s[12:13], 3
	v_lshlrev_b64 v[4:5], 3, v[4:5]
	s_waitcnt lgkmcnt(0)
	s_add_u32 s0, s8, s10
	s_addc_u32 s7, s9, s11
	v_add_co_u32 v4, s0, s0, v4
	v_add_co_ci_u32_e64 v5, null, s7, v5, s0
	v_add_co_u32 v4, s0, v4, v2
	v_add_co_ci_u32_e64 v5, null, 0, v5, s0
	flat_load_dwordx2 v[4:5], v[4:5]
	s_waitcnt vmcnt(0) lgkmcnt(0)
	ds_write_b64 v3, v[4:5]
.LBB167_3:
	s_or_b32 exec_lo, exec_lo, s1
	s_add_i32 s0, s26, -1
	s_ashr_i32 s1, s0, 31
	s_lshr_b32 s1, s1, 27
	s_add_i32 s0, s0, s1
	s_and_b32 s1, s0, 0xffffffe0
	s_ashr_i32 s0, s0, 5
	s_sub_i32 s1, s26, s1
	s_cmp_ge_i32 s6, s0
	s_cselect_b32 s0, s1, 32
	s_lshl_b32 s6, s6, 5
	v_cmp_gt_i32_e64 s0, s0, v0
	s_ashr_i32 s7, s6, 31
	s_and_b32 s0, vcc_lo, s0
	s_and_saveexec_b32 s1, s0
	s_cbranch_execz .LBB167_5
; %bb.4:
	v_mad_u64_u32 v[4:5], null, s16, v1, 0
	s_lshl_b64 s[8:9], s[18:19], 3
	s_waitcnt lgkmcnt(0)
	s_add_u32 s10, s20, s8
	s_addc_u32 s11, s21, s9
	s_lshl_b64 s[8:9], s[6:7], 3
	s_add_u32 s8, s10, s8
	v_mad_u64_u32 v[5:6], null, s17, v1, v[5:6]
	s_addc_u32 s9, s11, s9
	v_add_nc_u32_e32 v6, 0x2000, v3
	v_lshlrev_b64 v[4:5], 3, v[4:5]
	v_add_co_u32 v4, vcc_lo, s8, v4
	v_add_co_ci_u32_e64 v5, null, s9, v5, vcc_lo
	v_add_co_u32 v4, vcc_lo, v4, v2
	v_add_co_ci_u32_e64 v5, null, 0, v5, vcc_lo
	flat_load_dwordx2 v[4:5], v[4:5]
	s_waitcnt vmcnt(0) lgkmcnt(0)
	ds_write_b64 v6, v[4:5]
.LBB167_5:
	s_or_b32 exec_lo, exec_lo, s1
	v_cmp_eq_u32_e32 vcc_lo, v1, v0
	s_cmpk_eq_i32 s25, 0x84
	s_cselect_b32 s1, -1, 0
	s_and_b32 s8, vcc_lo, s1
	s_and_saveexec_b32 s1, s8
; %bb.6:
	v_mov_b32_e32 v4, 0
	v_mov_b32_e32 v5, 0x3ff00000
	ds_write_b64 v3, v[4:5]
; %bb.7:
	s_or_b32 exec_lo, exec_lo, s1
	s_cmpk_lg_i32 s24, 0x79
	s_cbranch_scc0 .LBB167_9
; %bb.8:
	v_cmp_lt_u32_e32 vcc_lo, v0, v1
	s_and_b32 s1, vcc_lo, exec_lo
	s_cbranch_execz .LBB167_10
	s_branch .LBB167_11
.LBB167_9:
	s_mov_b32 s1, 0
.LBB167_10:
	v_cmp_gt_u32_e32 vcc_lo, v0, v1
	s_andn2_b32 s1, s1, exec_lo
	s_and_b32 s8, vcc_lo, exec_lo
	s_or_b32 s1, s1, s8
.LBB167_11:
	s_and_saveexec_b32 s8, s1
; %bb.12:
	v_mov_b32_e32 v4, 0
	v_mov_b32_e32 v5, v4
	ds_write_b64 v3, v[4:5]
; %bb.13:
	s_or_b32 exec_lo, exec_lo, s8
	s_waitcnt lgkmcnt(0)
	s_barrier
	buffer_gl0_inv
	s_and_saveexec_b32 s1, s0
	s_cbranch_execz .LBB167_15
; %bb.14:
	v_add_nc_u32_e32 v0, 0x2000, v2
	v_lshlrev_b32_e32 v13, 3, v1
	s_load_dwordx2 s[0:1], s[4:5], 0x60
	ds_read2_b64 v[3:6], v0 offset1:32
	ds_read2_b64 v[7:10], v13 offset1:32
	v_add_nc_u32_e32 v14, 0x800, v13
	s_waitcnt lgkmcnt(0)
	s_lshl_b64 s[0:1], s[0:1], 3
	v_fma_f64 v[3:4], v[3:4], v[7:8], 0
	v_fma_f64 v[11:12], v[5:6], v[9:10], v[3:4]
	ds_read2_b64 v[3:6], v0 offset0:64 offset1:96
	ds_read2_b64 v[7:10], v13 offset0:64 offset1:96
	s_waitcnt lgkmcnt(0)
	v_fma_f64 v[3:4], v[3:4], v[7:8], v[11:12]
	v_fma_f64 v[11:12], v[5:6], v[9:10], v[3:4]
	ds_read2_b64 v[3:6], v0 offset0:128 offset1:160
	ds_read2_b64 v[7:10], v13 offset0:128 offset1:160
	s_waitcnt lgkmcnt(0)
	v_fma_f64 v[3:4], v[3:4], v[7:8], v[11:12]
	v_fma_f64 v[11:12], v[5:6], v[9:10], v[3:4]
	ds_read2_b64 v[3:6], v0 offset0:192 offset1:224
	ds_read2_b64 v[7:10], v13 offset0:192 offset1:224
	v_add_nc_u32_e32 v0, 0x2800, v2
	s_waitcnt lgkmcnt(0)
	v_fma_f64 v[3:4], v[3:4], v[7:8], v[11:12]
	v_fma_f64 v[11:12], v[5:6], v[9:10], v[3:4]
	ds_read2_b64 v[3:6], v0 offset1:32
	ds_read2_b64 v[7:10], v14 offset1:32
	s_waitcnt lgkmcnt(0)
	v_fma_f64 v[3:4], v[3:4], v[7:8], v[11:12]
	v_fma_f64 v[11:12], v[5:6], v[9:10], v[3:4]
	ds_read2_b64 v[3:6], v0 offset0:64 offset1:96
	ds_read2_b64 v[7:10], v14 offset0:64 offset1:96
	s_waitcnt lgkmcnt(0)
	v_fma_f64 v[3:4], v[3:4], v[7:8], v[11:12]
	v_fma_f64 v[11:12], v[5:6], v[9:10], v[3:4]
	ds_read2_b64 v[3:6], v0 offset0:128 offset1:160
	ds_read2_b64 v[7:10], v14 offset0:128 offset1:160
	s_waitcnt lgkmcnt(0)
	v_fma_f64 v[3:4], v[3:4], v[7:8], v[11:12]
	v_fma_f64 v[11:12], v[5:6], v[9:10], v[3:4]
	ds_read2_b64 v[3:6], v0 offset0:192 offset1:224
	ds_read2_b64 v[7:10], v14 offset0:192 offset1:224
	v_add_nc_u32_e32 v0, 0x3000, v2
	v_add_nc_u32_e32 v14, 0x1000, v13
	;; [unrolled: 1-line block ×3, first 2 shown]
	s_waitcnt lgkmcnt(0)
	v_fma_f64 v[3:4], v[3:4], v[7:8], v[11:12]
	v_fma_f64 v[11:12], v[5:6], v[9:10], v[3:4]
	ds_read2_b64 v[3:6], v0 offset1:32
	ds_read2_b64 v[7:10], v14 offset1:32
	s_waitcnt lgkmcnt(0)
	v_fma_f64 v[3:4], v[3:4], v[7:8], v[11:12]
	v_fma_f64 v[11:12], v[5:6], v[9:10], v[3:4]
	ds_read2_b64 v[3:6], v0 offset0:64 offset1:96
	ds_read2_b64 v[7:10], v14 offset0:64 offset1:96
	s_waitcnt lgkmcnt(0)
	v_fma_f64 v[3:4], v[3:4], v[7:8], v[11:12]
	v_fma_f64 v[11:12], v[5:6], v[9:10], v[3:4]
	ds_read2_b64 v[3:6], v0 offset0:128 offset1:160
	ds_read2_b64 v[7:10], v14 offset0:128 offset1:160
	;; [unrolled: 5-line block ×3, first 2 shown]
	v_add_nc_u32_e32 v0, 0x3800, v2
	s_waitcnt lgkmcnt(0)
	v_fma_f64 v[3:4], v[3:4], v[7:8], v[11:12]
	v_fma_f64 v[11:12], v[5:6], v[9:10], v[3:4]
	ds_read2_b64 v[3:6], v0 offset1:32
	ds_read2_b64 v[7:10], v13 offset1:32
	s_waitcnt lgkmcnt(0)
	v_fma_f64 v[3:4], v[3:4], v[7:8], v[11:12]
	v_fma_f64 v[11:12], v[5:6], v[9:10], v[3:4]
	ds_read2_b64 v[3:6], v0 offset0:64 offset1:96
	ds_read2_b64 v[7:10], v13 offset0:64 offset1:96
	s_waitcnt lgkmcnt(0)
	v_fma_f64 v[3:4], v[3:4], v[7:8], v[11:12]
	v_fma_f64 v[11:12], v[5:6], v[9:10], v[3:4]
	ds_read2_b64 v[3:6], v0 offset0:128 offset1:160
	ds_read2_b64 v[7:10], v13 offset0:128 offset1:160
	;; [unrolled: 5-line block ×3, first 2 shown]
	s_waitcnt lgkmcnt(0)
	v_fma_f64 v[3:4], v[3:4], v[7:8], v[11:12]
	v_fma_f64 v[3:4], v[5:6], v[9:10], v[3:4]
	v_mad_u64_u32 v[5:6], null, s22, v1, 0
	v_mov_b32_e32 v0, v6
	v_mad_u64_u32 v[0:1], null, s23, v1, v[0:1]
	v_mov_b32_e32 v6, v0
	v_mul_f64 v[0:1], s[2:3], v[3:4]
	s_add_u32 s2, s14, s0
	s_addc_u32 s3, s15, s1
	s_lshl_b64 s[0:1], s[6:7], 3
	v_lshlrev_b64 v[3:4], 3, v[5:6]
	s_add_u32 s0, s2, s0
	s_addc_u32 s1, s3, s1
	v_add_co_u32 v3, vcc_lo, s0, v3
	v_add_co_ci_u32_e64 v4, null, s1, v4, vcc_lo
	v_add_co_u32 v2, vcc_lo, v3, v2
	v_add_co_ci_u32_e64 v3, null, 0, v4, vcc_lo
	flat_store_dwordx2 v[2:3], v[0:1]
.LBB167_15:
	s_endpgm
	.section	.rodata,"a",@progbits
	.p2align	6, 0x0
	.amdhsa_kernel _ZL23rocblas_trmm_rTx_kernelILi32ELb1EddKPKdKPdEv13rocblas_fill_17rocblas_diagonal_iiT2_lPT3_llS9_llPT4_lli
		.amdhsa_group_segment_fixed_size 16384
		.amdhsa_private_segment_fixed_size 0
		.amdhsa_kernarg_size 108
		.amdhsa_user_sgpr_count 6
		.amdhsa_user_sgpr_private_segment_buffer 1
		.amdhsa_user_sgpr_dispatch_ptr 0
		.amdhsa_user_sgpr_queue_ptr 0
		.amdhsa_user_sgpr_kernarg_segment_ptr 1
		.amdhsa_user_sgpr_dispatch_id 0
		.amdhsa_user_sgpr_flat_scratch_init 0
		.amdhsa_user_sgpr_private_segment_size 0
		.amdhsa_wavefront_size32 1
		.amdhsa_uses_dynamic_stack 0
		.amdhsa_system_sgpr_private_segment_wavefront_offset 0
		.amdhsa_system_sgpr_workgroup_id_x 1
		.amdhsa_system_sgpr_workgroup_id_y 0
		.amdhsa_system_sgpr_workgroup_id_z 1
		.amdhsa_system_sgpr_workgroup_info 0
		.amdhsa_system_vgpr_workitem_id 1
		.amdhsa_next_free_vgpr 15
		.amdhsa_next_free_sgpr 32
		.amdhsa_reserve_vcc 1
		.amdhsa_reserve_flat_scratch 0
		.amdhsa_float_round_mode_32 0
		.amdhsa_float_round_mode_16_64 0
		.amdhsa_float_denorm_mode_32 3
		.amdhsa_float_denorm_mode_16_64 3
		.amdhsa_dx10_clamp 1
		.amdhsa_ieee_mode 1
		.amdhsa_fp16_overflow 0
		.amdhsa_workgroup_processor_mode 1
		.amdhsa_memory_ordered 1
		.amdhsa_forward_progress 1
		.amdhsa_shared_vgpr_count 0
		.amdhsa_exception_fp_ieee_invalid_op 0
		.amdhsa_exception_fp_denorm_src 0
		.amdhsa_exception_fp_ieee_div_zero 0
		.amdhsa_exception_fp_ieee_overflow 0
		.amdhsa_exception_fp_ieee_underflow 0
		.amdhsa_exception_fp_ieee_inexact 0
		.amdhsa_exception_int_div_zero 0
	.end_amdhsa_kernel
	.section	.text._ZL23rocblas_trmm_rTx_kernelILi32ELb1EddKPKdKPdEv13rocblas_fill_17rocblas_diagonal_iiT2_lPT3_llS9_llPT4_lli,"axG",@progbits,_ZL23rocblas_trmm_rTx_kernelILi32ELb1EddKPKdKPdEv13rocblas_fill_17rocblas_diagonal_iiT2_lPT3_llS9_llPT4_lli,comdat
.Lfunc_end167:
	.size	_ZL23rocblas_trmm_rTx_kernelILi32ELb1EddKPKdKPdEv13rocblas_fill_17rocblas_diagonal_iiT2_lPT3_llS9_llPT4_lli, .Lfunc_end167-_ZL23rocblas_trmm_rTx_kernelILi32ELb1EddKPKdKPdEv13rocblas_fill_17rocblas_diagonal_iiT2_lPT3_llS9_llPT4_lli
                                        ; -- End function
	.set _ZL23rocblas_trmm_rTx_kernelILi32ELb1EddKPKdKPdEv13rocblas_fill_17rocblas_diagonal_iiT2_lPT3_llS9_llPT4_lli.num_vgpr, 15
	.set _ZL23rocblas_trmm_rTx_kernelILi32ELb1EddKPKdKPdEv13rocblas_fill_17rocblas_diagonal_iiT2_lPT3_llS9_llPT4_lli.num_agpr, 0
	.set _ZL23rocblas_trmm_rTx_kernelILi32ELb1EddKPKdKPdEv13rocblas_fill_17rocblas_diagonal_iiT2_lPT3_llS9_llPT4_lli.numbered_sgpr, 32
	.set _ZL23rocblas_trmm_rTx_kernelILi32ELb1EddKPKdKPdEv13rocblas_fill_17rocblas_diagonal_iiT2_lPT3_llS9_llPT4_lli.num_named_barrier, 0
	.set _ZL23rocblas_trmm_rTx_kernelILi32ELb1EddKPKdKPdEv13rocblas_fill_17rocblas_diagonal_iiT2_lPT3_llS9_llPT4_lli.private_seg_size, 0
	.set _ZL23rocblas_trmm_rTx_kernelILi32ELb1EddKPKdKPdEv13rocblas_fill_17rocblas_diagonal_iiT2_lPT3_llS9_llPT4_lli.uses_vcc, 1
	.set _ZL23rocblas_trmm_rTx_kernelILi32ELb1EddKPKdKPdEv13rocblas_fill_17rocblas_diagonal_iiT2_lPT3_llS9_llPT4_lli.uses_flat_scratch, 0
	.set _ZL23rocblas_trmm_rTx_kernelILi32ELb1EddKPKdKPdEv13rocblas_fill_17rocblas_diagonal_iiT2_lPT3_llS9_llPT4_lli.has_dyn_sized_stack, 0
	.set _ZL23rocblas_trmm_rTx_kernelILi32ELb1EddKPKdKPdEv13rocblas_fill_17rocblas_diagonal_iiT2_lPT3_llS9_llPT4_lli.has_recursion, 0
	.set _ZL23rocblas_trmm_rTx_kernelILi32ELb1EddKPKdKPdEv13rocblas_fill_17rocblas_diagonal_iiT2_lPT3_llS9_llPT4_lli.has_indirect_call, 0
	.section	.AMDGPU.csdata,"",@progbits
; Kernel info:
; codeLenInByte = 1336
; TotalNumSgprs: 34
; NumVgprs: 15
; ScratchSize: 0
; MemoryBound: 1
; FloatMode: 240
; IeeeMode: 1
; LDSByteSize: 16384 bytes/workgroup (compile time only)
; SGPRBlocks: 0
; VGPRBlocks: 1
; NumSGPRsForWavesPerEU: 34
; NumVGPRsForWavesPerEU: 15
; Occupancy: 16
; WaveLimiterHint : 1
; COMPUTE_PGM_RSRC2:SCRATCH_EN: 0
; COMPUTE_PGM_RSRC2:USER_SGPR: 6
; COMPUTE_PGM_RSRC2:TRAP_HANDLER: 0
; COMPUTE_PGM_RSRC2:TGID_X_EN: 1
; COMPUTE_PGM_RSRC2:TGID_Y_EN: 0
; COMPUTE_PGM_RSRC2:TGID_Z_EN: 1
; COMPUTE_PGM_RSRC2:TIDIG_COMP_CNT: 1
	.section	.text._ZL23rocblas_trmm_lNx_kernelILi16E19rocblas_complex_numIfEPKS1_KS3_KPS1_Ev13rocblas_fill_17rocblas_diagonal_iiT1_lPT2_llSB_llPT3_lli,"axG",@progbits,_ZL23rocblas_trmm_lNx_kernelILi16E19rocblas_complex_numIfEPKS1_KS3_KPS1_Ev13rocblas_fill_17rocblas_diagonal_iiT1_lPT2_llSB_llPT3_lli,comdat
	.globl	_ZL23rocblas_trmm_lNx_kernelILi16E19rocblas_complex_numIfEPKS1_KS3_KPS1_Ev13rocblas_fill_17rocblas_diagonal_iiT1_lPT2_llSB_llPT3_lli ; -- Begin function _ZL23rocblas_trmm_lNx_kernelILi16E19rocblas_complex_numIfEPKS1_KS3_KPS1_Ev13rocblas_fill_17rocblas_diagonal_iiT1_lPT2_llSB_llPT3_lli
	.p2align	8
	.type	_ZL23rocblas_trmm_lNx_kernelILi16E19rocblas_complex_numIfEPKS1_KS3_KPS1_Ev13rocblas_fill_17rocblas_diagonal_iiT1_lPT2_llSB_llPT3_lli,@function
_ZL23rocblas_trmm_lNx_kernelILi16E19rocblas_complex_numIfEPKS1_KS3_KPS1_Ev13rocblas_fill_17rocblas_diagonal_iiT1_lPT2_llSB_llPT3_lli: ; @_ZL23rocblas_trmm_lNx_kernelILi16E19rocblas_complex_numIfEPKS1_KS3_KPS1_Ev13rocblas_fill_17rocblas_diagonal_iiT1_lPT2_llSB_llPT3_lli
; %bb.0:
	s_load_dwordx16 s[8:23], s[4:5], 0x10
	s_mov_b32 s29, 0
	s_waitcnt lgkmcnt(0)
	s_mul_i32 s1, s11, s7
	s_mul_hi_u32 s2, s10, s7
	s_mul_i32 s0, s10, s7
	s_add_i32 s1, s2, s1
	s_lshl_b64 s[0:1], s[0:1], 3
	s_add_u32 s0, s8, s0
	s_addc_u32 s1, s9, s1
	s_load_dwordx2 s[24:25], s[0:1], 0x0
	s_waitcnt lgkmcnt(0)
	v_cmp_neq_f32_e64 s0, s24, 0
	v_cmp_neq_f32_e64 s1, s25, 0
	s_or_b32 s0, s0, s1
	s_andn2_b32 vcc_lo, exec_lo, s0
	s_cbranch_vccnz .LBB168_15
; %bb.1:
	s_clause 0x1
	s_load_dwordx4 s[0:3], s[4:5], 0x50
	s_load_dwordx4 s[8:11], s[4:5], 0x0
	s_mov_b32 s28, s7
	v_lshlrev_b32_e32 v3, 4, v1
	s_lshl_b64 s[30:31], s[28:29], 3
	s_mov_b32 s28, s29
	s_add_u32 s18, s18, s30
	s_addc_u32 s19, s19, s31
	v_mov_b32_e32 v5, s28
	v_add_lshl_u32 v4, v3, v0, 3
	v_mov_b32_e32 v6, s29
	v_lshlrev_b32_e32 v2, 3, v0
	s_waitcnt lgkmcnt(0)
	s_add_u32 s0, s0, s30
	s_addc_u32 s1, s1, s31
	s_load_dwordx2 s[26:27], s[18:19], 0x0
	s_load_dwordx2 s[18:19], s[0:1], 0x0
	v_cmp_gt_i32_e64 s0, s10, v1
	v_cmp_gt_i32_e32 vcc_lo, s10, v0
	ds_write2st64_b64 v4, v[5:6], v[5:6] offset1:4
	s_and_b32 s0, s0, vcc_lo
	s_and_saveexec_b32 s1, s0
	s_cbranch_execz .LBB168_3
; %bb.2:
	s_add_u32 s12, s12, s30
	s_addc_u32 s13, s13, s31
	v_mad_u64_u32 v[5:6], null, s14, v1, 0
	s_load_dwordx2 s[12:13], s[12:13], 0x0
	v_mad_u64_u32 v[6:7], null, s15, v1, v[6:7]
	s_lshl_b64 s[14:15], s[16:17], 3
	v_lshlrev_b64 v[5:6], 3, v[5:6]
	s_waitcnt lgkmcnt(0)
	s_add_u32 s0, s12, s14
	s_addc_u32 s7, s13, s15
	v_add_co_u32 v5, s0, s0, v5
	v_add_co_ci_u32_e64 v6, null, s7, v6, s0
	v_add_co_u32 v5, s0, v5, v2
	v_add_co_ci_u32_e64 v6, null, 0, v6, s0
	flat_load_dwordx2 v[5:6], v[5:6]
	s_waitcnt vmcnt(0) lgkmcnt(0)
	ds_write_b64 v4, v[5:6]
.LBB168_3:
	s_or_b32 exec_lo, exec_lo, s1
	s_add_i32 s0, s11, -1
	s_ashr_i32 s1, s0, 31
	s_lshr_b32 s1, s1, 28
	s_add_i32 s0, s0, s1
	s_and_b32 s1, s0, -16
	s_ashr_i32 s0, s0, 4
	s_sub_i32 s1, s11, s1
	s_cmp_ge_i32 s6, s0
	s_cselect_b32 s0, s1, 16
	s_lshl_b32 s6, s6, 4
	v_cmp_gt_i32_e64 s0, s0, v1
	s_ashr_i32 s7, s6, 31
	s_and_b32 s0, vcc_lo, s0
	s_and_saveexec_b32 s1, s0
	s_cbranch_execz .LBB168_5
; %bb.4:
	v_mad_u64_u32 v[5:6], null, s20, v1, 0
	s_lshl_b64 s[10:11], s[22:23], 3
	s_mul_i32 s12, s20, s7
	s_mul_hi_u32 s13, s20, s6
	s_waitcnt lgkmcnt(0)
	s_add_u32 s15, s26, s10
	s_mul_i32 s14, s21, s6
	s_addc_u32 s16, s27, s11
	v_mad_u64_u32 v[6:7], null, s21, v1, v[6:7]
	s_add_i32 s11, s13, s12
	s_mul_i32 s10, s20, s6
	s_add_i32 s11, s11, s14
	v_add_nc_u32_e32 v7, 0x800, v4
	s_lshl_b64 s[10:11], s[10:11], 3
	s_add_u32 s10, s15, s10
	v_lshlrev_b64 v[5:6], 3, v[5:6]
	s_addc_u32 s11, s16, s11
	v_add_co_u32 v5, vcc_lo, s10, v5
	v_add_co_ci_u32_e64 v6, null, s11, v6, vcc_lo
	v_add_co_u32 v5, vcc_lo, v5, v2
	v_add_co_ci_u32_e64 v6, null, 0, v6, vcc_lo
	flat_load_dwordx2 v[5:6], v[5:6]
	s_waitcnt vmcnt(0) lgkmcnt(0)
	ds_write_b64 v7, v[5:6]
.LBB168_5:
	s_or_b32 exec_lo, exec_lo, s1
	v_cmp_eq_u32_e32 vcc_lo, v1, v0
	s_cmpk_eq_i32 s9, 0x84
	s_cselect_b32 s1, -1, 0
	s_and_b32 s9, vcc_lo, s1
	s_and_saveexec_b32 s1, s9
; %bb.6:
	v_mov_b32_e32 v5, 1.0
	v_mov_b32_e32 v6, 0
	ds_write_b64 v4, v[5:6]
; %bb.7:
	s_or_b32 exec_lo, exec_lo, s1
	s_cmpk_lg_i32 s8, 0x79
	s_cbranch_scc0 .LBB168_9
; %bb.8:
	v_cmp_lt_u32_e32 vcc_lo, v0, v1
	s_and_b32 s1, vcc_lo, exec_lo
	s_cbranch_execz .LBB168_10
	s_branch .LBB168_11
.LBB168_9:
	s_mov_b32 s1, 0
.LBB168_10:
	v_cmp_gt_u32_e32 vcc_lo, v0, v1
	s_andn2_b32 s1, s1, exec_lo
	s_and_b32 s8, vcc_lo, exec_lo
	s_or_b32 s1, s1, s8
.LBB168_11:
	s_and_saveexec_b32 s8, s1
; %bb.12:
	v_mov_b32_e32 v5, 0
	v_mov_b32_e32 v6, v5
	ds_write_b64 v4, v[5:6]
; %bb.13:
	s_or_b32 exec_lo, exec_lo, s8
	s_waitcnt lgkmcnt(0)
	s_barrier
	buffer_gl0_inv
	s_and_saveexec_b32 s1, s0
	s_cbranch_execz .LBB168_15
; %bb.14:
	v_lshlrev_b32_e32 v0, 3, v3
	s_load_dwordx2 s[0:1], s[4:5], 0x60
	s_mul_i32 s4, s2, s7
	ds_read2_b64 v[3:6], v2 offset1:16
	ds_read_b128 v[7:10], v0 offset:2048
	ds_read2_b64 v[11:14], v2 offset0:32 offset1:48
	ds_read_b128 v[15:18], v0 offset:2064
	ds_read2_b64 v[19:22], v2 offset0:64 offset1:80
	ds_read2_b64 v[23:26], v2 offset0:96 offset1:112
	;; [unrolled: 1-line block ×6, first 2 shown]
	ds_read_b128 v[43:46], v0 offset:2080
	ds_read_b128 v[47:50], v0 offset:2096
	s_waitcnt lgkmcnt(0)
	s_lshl_b64 s[0:1], s[0:1], 3
	v_mul_f32_e32 v51, v7, v4
	v_mul_f32_e32 v52, v9, v6
	;; [unrolled: 1-line block ×5, first 2 shown]
	v_fmac_f32_e32 v51, v8, v3
	v_mul_f32_e32 v54, v17, v14
	v_fmac_f32_e32 v52, v10, v5
	v_mul_f32_e32 v12, v16, v12
	v_mul_f32_e32 v14, v18, v14
	v_add_f32_e32 v51, 0, v51
	v_fma_f32 v55, v7, v3, -v4
	v_fma_f32 v56, v9, v5, -v6
	ds_read_b128 v[3:6], v0 offset:2112
	ds_read_b128 v[7:10], v0 offset:2128
	v_fmac_f32_e32 v53, v16, v11
	v_fmac_f32_e32 v54, v18, v13
	v_fma_f32 v57, v15, v11, -v12
	v_fma_f32 v58, v17, v13, -v14
	ds_read_b128 v[11:14], v0 offset:2144
	ds_read_b128 v[15:18], v0 offset:2160
	v_add_f32_e32 v0, v51, v52
	v_mul_f32_e32 v51, v43, v20
	v_mul_f32_e32 v20, v44, v20
	;; [unrolled: 1-line block ×4, first 2 shown]
	v_add_f32_e32 v0, v0, v53
	v_fmac_f32_e32 v51, v44, v19
	v_fma_f32 v19, v43, v19, -v20
	v_add_f32_e32 v20, 0, v55
	v_fmac_f32_e32 v52, v46, v21
	v_add_f32_e32 v0, v0, v54
	v_fma_f32 v21, v45, v21, -v22
	v_mul_f32_e32 v22, v47, v24
	v_add_f32_e32 v20, v20, v56
	v_mul_f32_e32 v43, v49, v26
	v_add_f32_e32 v0, v0, v51
	v_mul_f32_e32 v24, v48, v24
	v_fmac_f32_e32 v22, v48, v23
	v_add_f32_e32 v20, v20, v57
	s_waitcnt lgkmcnt(3)
	v_mul_f32_e32 v44, v3, v28
	v_add_f32_e32 v0, v0, v52
	v_fmac_f32_e32 v43, v50, v25
	v_mul_f32_e32 v45, v5, v30
	v_add_f32_e32 v20, v20, v58
	v_fmac_f32_e32 v44, v4, v27
	v_add_f32_e32 v0, v0, v22
	v_fma_f32 v22, v47, v23, -v24
	v_mul_f32_e32 v4, v4, v28
	v_add_f32_e32 v19, v20, v19
	v_mul_f32_e32 v20, v50, v26
	v_add_f32_e32 v0, v0, v43
	s_waitcnt lgkmcnt(2)
	v_mul_f32_e32 v46, v7, v32
	v_fmac_f32_e32 v45, v6, v29
	v_add_f32_e32 v19, v19, v21
	v_fma_f32 v20, v49, v25, -v20
	v_add_f32_e32 v0, v0, v44
	v_mul_f32_e32 v6, v6, v30
	v_fma_f32 v3, v3, v27, -v4
	v_add_f32_e32 v19, v19, v22
	v_mul_f32_e32 v51, v9, v34
	v_fmac_f32_e32 v46, v8, v31
	v_add_f32_e32 v0, v0, v45
	v_mul_f32_e32 v8, v8, v32
	v_add_f32_e32 v4, v19, v20
	v_fma_f32 v5, v5, v29, -v6
	s_waitcnt lgkmcnt(1)
	v_mul_f32_e32 v53, v11, v36
	v_fmac_f32_e32 v51, v10, v33
	v_add_f32_e32 v0, v0, v46
	v_add_f32_e32 v3, v4, v3
	v_mul_f32_e32 v4, v10, v34
	v_fma_f32 v6, v7, v31, -v8
	v_mul_f32_e32 v52, v13, v38
	v_fmac_f32_e32 v53, v12, v35
	v_add_f32_e32 v3, v3, v5
	v_add_f32_e32 v0, v0, v51
	v_fma_f32 v4, v9, v33, -v4
	v_fmac_f32_e32 v52, v14, v37
	v_mul_f32_e32 v5, v12, v36
	v_add_f32_e32 v3, v3, v6
	v_add_f32_e32 v0, v0, v53
	s_waitcnt lgkmcnt(0)
	v_mul_f32_e32 v6, v15, v40
	v_mul_f32_e32 v8, v14, v38
	v_fma_f32 v5, v11, v35, -v5
	v_add_f32_e32 v7, v3, v4
	v_mad_u64_u32 v[3:4], null, s2, v1, 0
	v_add_f32_e32 v0, v0, v52
	v_fmac_f32_e32 v6, v16, v39
	v_add_f32_e32 v5, v7, v5
	v_fma_f32 v7, v13, v37, -v8
	v_mul_f32_e32 v8, v16, v40
	v_mul_f32_e32 v9, v17, v42
	v_add_f32_e32 v6, v0, v6
	v_mov_b32_e32 v0, v4
	v_add_f32_e32 v4, v5, v7
	v_fma_f32 v5, v15, v39, -v8
	s_add_u32 s5, s18, s0
	s_mul_hi_u32 s0, s2, s6
	v_mad_u64_u32 v[0:1], null, s3, v1, v[0:1]
	v_add_f32_e32 v1, v4, v5
	s_addc_u32 s7, s19, s1
	v_mul_f32_e32 v7, v18, v42
	v_fmac_f32_e32 v9, v18, v41
	s_add_i32 s0, s0, s4
	s_mul_i32 s1, s3, s6
	v_mov_b32_e32 v4, v0
	s_add_i32 s1, s0, s1
	s_mul_i32 s0, s2, s6
	v_fma_f32 v5, v17, v41, -v7
	s_lshl_b64 s[0:1], s[0:1], 3
	v_lshlrev_b64 v[3:4], 3, v[3:4]
	v_add_f32_e32 v6, v6, v9
	s_add_u32 s0, s5, s0
	s_addc_u32 s1, s7, s1
	v_add_f32_e32 v0, v1, v5
	v_add_co_u32 v3, vcc_lo, s0, v3
	v_mul_f32_e32 v1, s24, v6
	v_mul_f32_e32 v5, s25, v6
	v_add_co_ci_u32_e64 v4, null, s1, v4, vcc_lo
	v_add_co_u32 v2, vcc_lo, v3, v2
	v_fmac_f32_e32 v1, s25, v0
	v_fma_f32 v0, s24, v0, -v5
	v_add_co_ci_u32_e64 v3, null, 0, v4, vcc_lo
	flat_store_dwordx2 v[2:3], v[0:1]
.LBB168_15:
	s_endpgm
	.section	.rodata,"a",@progbits
	.p2align	6, 0x0
	.amdhsa_kernel _ZL23rocblas_trmm_lNx_kernelILi16E19rocblas_complex_numIfEPKS1_KS3_KPS1_Ev13rocblas_fill_17rocblas_diagonal_iiT1_lPT2_llSB_llPT3_lli
		.amdhsa_group_segment_fixed_size 4096
		.amdhsa_private_segment_fixed_size 0
		.amdhsa_kernarg_size 108
		.amdhsa_user_sgpr_count 6
		.amdhsa_user_sgpr_private_segment_buffer 1
		.amdhsa_user_sgpr_dispatch_ptr 0
		.amdhsa_user_sgpr_queue_ptr 0
		.amdhsa_user_sgpr_kernarg_segment_ptr 1
		.amdhsa_user_sgpr_dispatch_id 0
		.amdhsa_user_sgpr_flat_scratch_init 0
		.amdhsa_user_sgpr_private_segment_size 0
		.amdhsa_wavefront_size32 1
		.amdhsa_uses_dynamic_stack 0
		.amdhsa_system_sgpr_private_segment_wavefront_offset 0
		.amdhsa_system_sgpr_workgroup_id_x 1
		.amdhsa_system_sgpr_workgroup_id_y 0
		.amdhsa_system_sgpr_workgroup_id_z 1
		.amdhsa_system_sgpr_workgroup_info 0
		.amdhsa_system_vgpr_workitem_id 1
		.amdhsa_next_free_vgpr 59
		.amdhsa_next_free_sgpr 32
		.amdhsa_reserve_vcc 1
		.amdhsa_reserve_flat_scratch 0
		.amdhsa_float_round_mode_32 0
		.amdhsa_float_round_mode_16_64 0
		.amdhsa_float_denorm_mode_32 3
		.amdhsa_float_denorm_mode_16_64 3
		.amdhsa_dx10_clamp 1
		.amdhsa_ieee_mode 1
		.amdhsa_fp16_overflow 0
		.amdhsa_workgroup_processor_mode 1
		.amdhsa_memory_ordered 1
		.amdhsa_forward_progress 1
		.amdhsa_shared_vgpr_count 0
		.amdhsa_exception_fp_ieee_invalid_op 0
		.amdhsa_exception_fp_denorm_src 0
		.amdhsa_exception_fp_ieee_div_zero 0
		.amdhsa_exception_fp_ieee_overflow 0
		.amdhsa_exception_fp_ieee_underflow 0
		.amdhsa_exception_fp_ieee_inexact 0
		.amdhsa_exception_int_div_zero 0
	.end_amdhsa_kernel
	.section	.text._ZL23rocblas_trmm_lNx_kernelILi16E19rocblas_complex_numIfEPKS1_KS3_KPS1_Ev13rocblas_fill_17rocblas_diagonal_iiT1_lPT2_llSB_llPT3_lli,"axG",@progbits,_ZL23rocblas_trmm_lNx_kernelILi16E19rocblas_complex_numIfEPKS1_KS3_KPS1_Ev13rocblas_fill_17rocblas_diagonal_iiT1_lPT2_llSB_llPT3_lli,comdat
.Lfunc_end168:
	.size	_ZL23rocblas_trmm_lNx_kernelILi16E19rocblas_complex_numIfEPKS1_KS3_KPS1_Ev13rocblas_fill_17rocblas_diagonal_iiT1_lPT2_llSB_llPT3_lli, .Lfunc_end168-_ZL23rocblas_trmm_lNx_kernelILi16E19rocblas_complex_numIfEPKS1_KS3_KPS1_Ev13rocblas_fill_17rocblas_diagonal_iiT1_lPT2_llSB_llPT3_lli
                                        ; -- End function
	.set _ZL23rocblas_trmm_lNx_kernelILi16E19rocblas_complex_numIfEPKS1_KS3_KPS1_Ev13rocblas_fill_17rocblas_diagonal_iiT1_lPT2_llSB_llPT3_lli.num_vgpr, 59
	.set _ZL23rocblas_trmm_lNx_kernelILi16E19rocblas_complex_numIfEPKS1_KS3_KPS1_Ev13rocblas_fill_17rocblas_diagonal_iiT1_lPT2_llSB_llPT3_lli.num_agpr, 0
	.set _ZL23rocblas_trmm_lNx_kernelILi16E19rocblas_complex_numIfEPKS1_KS3_KPS1_Ev13rocblas_fill_17rocblas_diagonal_iiT1_lPT2_llSB_llPT3_lli.numbered_sgpr, 32
	.set _ZL23rocblas_trmm_lNx_kernelILi16E19rocblas_complex_numIfEPKS1_KS3_KPS1_Ev13rocblas_fill_17rocblas_diagonal_iiT1_lPT2_llSB_llPT3_lli.num_named_barrier, 0
	.set _ZL23rocblas_trmm_lNx_kernelILi16E19rocblas_complex_numIfEPKS1_KS3_KPS1_Ev13rocblas_fill_17rocblas_diagonal_iiT1_lPT2_llSB_llPT3_lli.private_seg_size, 0
	.set _ZL23rocblas_trmm_lNx_kernelILi16E19rocblas_complex_numIfEPKS1_KS3_KPS1_Ev13rocblas_fill_17rocblas_diagonal_iiT1_lPT2_llSB_llPT3_lli.uses_vcc, 1
	.set _ZL23rocblas_trmm_lNx_kernelILi16E19rocblas_complex_numIfEPKS1_KS3_KPS1_Ev13rocblas_fill_17rocblas_diagonal_iiT1_lPT2_llSB_llPT3_lli.uses_flat_scratch, 0
	.set _ZL23rocblas_trmm_lNx_kernelILi16E19rocblas_complex_numIfEPKS1_KS3_KPS1_Ev13rocblas_fill_17rocblas_diagonal_iiT1_lPT2_llSB_llPT3_lli.has_dyn_sized_stack, 0
	.set _ZL23rocblas_trmm_lNx_kernelILi16E19rocblas_complex_numIfEPKS1_KS3_KPS1_Ev13rocblas_fill_17rocblas_diagonal_iiT1_lPT2_llSB_llPT3_lli.has_recursion, 0
	.set _ZL23rocblas_trmm_lNx_kernelILi16E19rocblas_complex_numIfEPKS1_KS3_KPS1_Ev13rocblas_fill_17rocblas_diagonal_iiT1_lPT2_llSB_llPT3_lli.has_indirect_call, 0
	.section	.AMDGPU.csdata,"",@progbits
; Kernel info:
; codeLenInByte = 1408
; TotalNumSgprs: 34
; NumVgprs: 59
; ScratchSize: 0
; MemoryBound: 0
; FloatMode: 240
; IeeeMode: 1
; LDSByteSize: 4096 bytes/workgroup (compile time only)
; SGPRBlocks: 0
; VGPRBlocks: 7
; NumSGPRsForWavesPerEU: 34
; NumVGPRsForWavesPerEU: 59
; Occupancy: 16
; WaveLimiterHint : 1
; COMPUTE_PGM_RSRC2:SCRATCH_EN: 0
; COMPUTE_PGM_RSRC2:USER_SGPR: 6
; COMPUTE_PGM_RSRC2:TRAP_HANDLER: 0
; COMPUTE_PGM_RSRC2:TGID_X_EN: 1
; COMPUTE_PGM_RSRC2:TGID_Y_EN: 0
; COMPUTE_PGM_RSRC2:TGID_Z_EN: 1
; COMPUTE_PGM_RSRC2:TIDIG_COMP_CNT: 1
	.section	.text._ZL23rocblas_trmm_lNx_kernelILi16E19rocblas_complex_numIfES1_KPKS1_KPS1_Ev13rocblas_fill_17rocblas_diagonal_iiT1_lPT2_llSB_llPT3_lli,"axG",@progbits,_ZL23rocblas_trmm_lNx_kernelILi16E19rocblas_complex_numIfES1_KPKS1_KPS1_Ev13rocblas_fill_17rocblas_diagonal_iiT1_lPT2_llSB_llPT3_lli,comdat
	.globl	_ZL23rocblas_trmm_lNx_kernelILi16E19rocblas_complex_numIfES1_KPKS1_KPS1_Ev13rocblas_fill_17rocblas_diagonal_iiT1_lPT2_llSB_llPT3_lli ; -- Begin function _ZL23rocblas_trmm_lNx_kernelILi16E19rocblas_complex_numIfES1_KPKS1_KPS1_Ev13rocblas_fill_17rocblas_diagonal_iiT1_lPT2_llSB_llPT3_lli
	.p2align	8
	.type	_ZL23rocblas_trmm_lNx_kernelILi16E19rocblas_complex_numIfES1_KPKS1_KPS1_Ev13rocblas_fill_17rocblas_diagonal_iiT1_lPT2_llSB_llPT3_lli,@function
_ZL23rocblas_trmm_lNx_kernelILi16E19rocblas_complex_numIfES1_KPKS1_KPS1_Ev13rocblas_fill_17rocblas_diagonal_iiT1_lPT2_llSB_llPT3_lli: ; @_ZL23rocblas_trmm_lNx_kernelILi16E19rocblas_complex_numIfES1_KPKS1_KPS1_Ev13rocblas_fill_17rocblas_diagonal_iiT1_lPT2_llSB_llPT3_lli
; %bb.0:
	s_load_dwordx2 s[2:3], s[4:5], 0x10
	s_mov_b32 s29, 0
	s_waitcnt lgkmcnt(0)
	v_cmp_neq_f32_e64 s0, s2, 0
	v_cmp_neq_f32_e64 s1, s3, 0
	s_or_b32 s0, s0, s1
	s_andn2_b32 vcc_lo, exec_lo, s0
	s_cbranch_vccnz .LBB169_15
; %bb.1:
	s_clause 0x1
	s_load_dwordx16 s[8:23], s[4:5], 0x20
	s_load_dwordx4 s[24:27], s[4:5], 0x0
	s_mov_b32 s28, s7
	v_lshlrev_b32_e32 v3, 4, v1
	s_lshl_b64 s[30:31], s[28:29], 3
	s_mov_b32 s28, s29
	v_lshlrev_b32_e32 v2, 3, v0
	v_mov_b32_e32 v5, s28
	v_add_lshl_u32 v4, v3, v0, 3
	v_mov_b32_e32 v6, s29
	s_waitcnt lgkmcnt(0)
	s_add_u32 s0, s14, s30
	s_addc_u32 s1, s15, s31
	s_add_u32 s14, s20, s30
	s_addc_u32 s15, s21, s31
	s_load_dwordx2 s[20:21], s[0:1], 0x0
	s_load_dwordx2 s[14:15], s[14:15], 0x0
	v_cmp_gt_i32_e64 s0, s26, v1
	v_cmp_gt_i32_e32 vcc_lo, s26, v0
	ds_write2st64_b64 v4, v[5:6], v[5:6] offset1:4
	s_and_b32 s0, s0, vcc_lo
	s_and_saveexec_b32 s1, s0
	s_cbranch_execz .LBB169_3
; %bb.2:
	s_add_u32 s8, s8, s30
	s_addc_u32 s9, s9, s31
	v_mad_u64_u32 v[5:6], null, s10, v1, 0
	s_load_dwordx2 s[8:9], s[8:9], 0x0
	v_mad_u64_u32 v[6:7], null, s11, v1, v[6:7]
	s_lshl_b64 s[10:11], s[12:13], 3
	v_lshlrev_b64 v[5:6], 3, v[5:6]
	s_waitcnt lgkmcnt(0)
	s_add_u32 s0, s8, s10
	s_addc_u32 s7, s9, s11
	v_add_co_u32 v5, s0, s0, v5
	v_add_co_ci_u32_e64 v6, null, s7, v6, s0
	v_add_co_u32 v5, s0, v5, v2
	v_add_co_ci_u32_e64 v6, null, 0, v6, s0
	flat_load_dwordx2 v[5:6], v[5:6]
	s_waitcnt vmcnt(0) lgkmcnt(0)
	ds_write_b64 v4, v[5:6]
.LBB169_3:
	s_or_b32 exec_lo, exec_lo, s1
	s_add_i32 s0, s27, -1
	s_ashr_i32 s1, s0, 31
	s_lshr_b32 s1, s1, 28
	s_add_i32 s0, s0, s1
	s_and_b32 s1, s0, -16
	s_ashr_i32 s0, s0, 4
	s_sub_i32 s1, s27, s1
	s_cmp_ge_i32 s6, s0
	s_cselect_b32 s0, s1, 16
	s_lshl_b32 s6, s6, 4
	v_cmp_gt_i32_e64 s0, s0, v1
	s_ashr_i32 s7, s6, 31
	s_and_b32 s0, vcc_lo, s0
	s_and_saveexec_b32 s1, s0
	s_cbranch_execz .LBB169_5
; %bb.4:
	v_mad_u64_u32 v[5:6], null, s16, v1, 0
	s_lshl_b64 s[8:9], s[18:19], 3
	s_mul_i32 s10, s16, s7
	s_mul_hi_u32 s11, s16, s6
	s_waitcnt lgkmcnt(0)
	s_add_u32 s13, s20, s8
	s_mul_i32 s12, s17, s6
	s_mul_i32 s8, s16, s6
	v_mad_u64_u32 v[6:7], null, s17, v1, v[6:7]
	s_addc_u32 s17, s21, s9
	s_add_i32 s9, s11, s10
	v_add_nc_u32_e32 v7, 0x800, v4
	s_add_i32 s9, s9, s12
	s_lshl_b64 s[8:9], s[8:9], 3
	v_lshlrev_b64 v[5:6], 3, v[5:6]
	s_add_u32 s8, s13, s8
	s_addc_u32 s9, s17, s9
	v_add_co_u32 v5, vcc_lo, s8, v5
	v_add_co_ci_u32_e64 v6, null, s9, v6, vcc_lo
	v_add_co_u32 v5, vcc_lo, v5, v2
	v_add_co_ci_u32_e64 v6, null, 0, v6, vcc_lo
	flat_load_dwordx2 v[5:6], v[5:6]
	s_waitcnt vmcnt(0) lgkmcnt(0)
	ds_write_b64 v7, v[5:6]
.LBB169_5:
	s_or_b32 exec_lo, exec_lo, s1
	v_cmp_eq_u32_e32 vcc_lo, v1, v0
	s_cmpk_eq_i32 s25, 0x84
	s_cselect_b32 s1, -1, 0
	s_and_b32 s8, vcc_lo, s1
	s_and_saveexec_b32 s1, s8
; %bb.6:
	v_mov_b32_e32 v5, 1.0
	v_mov_b32_e32 v6, 0
	ds_write_b64 v4, v[5:6]
; %bb.7:
	s_or_b32 exec_lo, exec_lo, s1
	s_cmpk_lg_i32 s24, 0x79
	s_cbranch_scc0 .LBB169_9
; %bb.8:
	v_cmp_lt_u32_e32 vcc_lo, v0, v1
	s_and_b32 s1, vcc_lo, exec_lo
	s_cbranch_execz .LBB169_10
	s_branch .LBB169_11
.LBB169_9:
	s_mov_b32 s1, 0
.LBB169_10:
	v_cmp_gt_u32_e32 vcc_lo, v0, v1
	s_andn2_b32 s1, s1, exec_lo
	s_and_b32 s8, vcc_lo, exec_lo
	s_or_b32 s1, s1, s8
.LBB169_11:
	s_and_saveexec_b32 s8, s1
; %bb.12:
	v_mov_b32_e32 v5, 0
	v_mov_b32_e32 v6, v5
	ds_write_b64 v4, v[5:6]
; %bb.13:
	s_or_b32 exec_lo, exec_lo, s8
	s_waitcnt lgkmcnt(0)
	s_barrier
	buffer_gl0_inv
	s_and_saveexec_b32 s1, s0
	s_cbranch_execz .LBB169_15
; %bb.14:
	v_lshlrev_b32_e32 v0, 3, v3
	s_load_dwordx2 s[0:1], s[4:5], 0x60
	s_mul_i32 s4, s22, s7
	ds_read2_b64 v[3:6], v2 offset1:16
	ds_read_b128 v[7:10], v0 offset:2048
	ds_read2_b64 v[11:14], v2 offset0:32 offset1:48
	ds_read_b128 v[15:18], v0 offset:2064
	ds_read2_b64 v[19:22], v2 offset0:64 offset1:80
	ds_read2_b64 v[23:26], v2 offset0:96 offset1:112
	;; [unrolled: 1-line block ×6, first 2 shown]
	ds_read_b128 v[43:46], v0 offset:2080
	ds_read_b128 v[47:50], v0 offset:2096
	s_waitcnt lgkmcnt(0)
	s_lshl_b64 s[0:1], s[0:1], 3
	v_mul_f32_e32 v51, v7, v4
	v_mul_f32_e32 v52, v9, v6
	;; [unrolled: 1-line block ×5, first 2 shown]
	v_fmac_f32_e32 v51, v8, v3
	v_mul_f32_e32 v54, v17, v14
	v_fmac_f32_e32 v52, v10, v5
	v_mul_f32_e32 v12, v16, v12
	v_mul_f32_e32 v14, v18, v14
	v_add_f32_e32 v51, 0, v51
	v_fma_f32 v55, v7, v3, -v4
	v_fma_f32 v56, v9, v5, -v6
	ds_read_b128 v[3:6], v0 offset:2112
	ds_read_b128 v[7:10], v0 offset:2128
	v_fmac_f32_e32 v53, v16, v11
	v_fmac_f32_e32 v54, v18, v13
	v_fma_f32 v57, v15, v11, -v12
	v_fma_f32 v58, v17, v13, -v14
	ds_read_b128 v[11:14], v0 offset:2144
	ds_read_b128 v[15:18], v0 offset:2160
	v_add_f32_e32 v0, v51, v52
	v_mul_f32_e32 v51, v43, v20
	v_mul_f32_e32 v20, v44, v20
	;; [unrolled: 1-line block ×4, first 2 shown]
	v_add_f32_e32 v0, v0, v53
	v_fmac_f32_e32 v51, v44, v19
	v_fma_f32 v19, v43, v19, -v20
	v_add_f32_e32 v20, 0, v55
	v_fmac_f32_e32 v52, v46, v21
	v_add_f32_e32 v0, v0, v54
	v_fma_f32 v21, v45, v21, -v22
	v_mul_f32_e32 v22, v47, v24
	v_add_f32_e32 v20, v20, v56
	v_mul_f32_e32 v43, v49, v26
	v_add_f32_e32 v0, v0, v51
	v_mul_f32_e32 v24, v48, v24
	v_fmac_f32_e32 v22, v48, v23
	v_add_f32_e32 v20, v20, v57
	s_waitcnt lgkmcnt(3)
	v_mul_f32_e32 v44, v3, v28
	v_add_f32_e32 v0, v0, v52
	v_fmac_f32_e32 v43, v50, v25
	v_mul_f32_e32 v45, v5, v30
	v_add_f32_e32 v20, v20, v58
	v_fmac_f32_e32 v44, v4, v27
	v_add_f32_e32 v0, v0, v22
	v_fma_f32 v22, v47, v23, -v24
	v_mul_f32_e32 v4, v4, v28
	v_add_f32_e32 v19, v20, v19
	v_mul_f32_e32 v20, v50, v26
	v_add_f32_e32 v0, v0, v43
	s_waitcnt lgkmcnt(2)
	v_mul_f32_e32 v46, v7, v32
	v_fmac_f32_e32 v45, v6, v29
	v_add_f32_e32 v19, v19, v21
	v_fma_f32 v20, v49, v25, -v20
	v_add_f32_e32 v0, v0, v44
	v_mul_f32_e32 v6, v6, v30
	v_fma_f32 v3, v3, v27, -v4
	v_add_f32_e32 v19, v19, v22
	v_mul_f32_e32 v51, v9, v34
	v_fmac_f32_e32 v46, v8, v31
	v_add_f32_e32 v0, v0, v45
	v_mul_f32_e32 v8, v8, v32
	v_add_f32_e32 v4, v19, v20
	v_fma_f32 v5, v5, v29, -v6
	s_waitcnt lgkmcnt(1)
	v_mul_f32_e32 v53, v11, v36
	v_fmac_f32_e32 v51, v10, v33
	v_add_f32_e32 v0, v0, v46
	v_add_f32_e32 v3, v4, v3
	v_mul_f32_e32 v4, v10, v34
	v_fma_f32 v6, v7, v31, -v8
	v_mul_f32_e32 v52, v13, v38
	v_fmac_f32_e32 v53, v12, v35
	v_add_f32_e32 v3, v3, v5
	v_add_f32_e32 v0, v0, v51
	v_fma_f32 v4, v9, v33, -v4
	v_fmac_f32_e32 v52, v14, v37
	v_mul_f32_e32 v5, v12, v36
	v_add_f32_e32 v3, v3, v6
	v_add_f32_e32 v0, v0, v53
	s_waitcnt lgkmcnt(0)
	v_mul_f32_e32 v6, v15, v40
	v_mul_f32_e32 v8, v14, v38
	v_fma_f32 v5, v11, v35, -v5
	v_add_f32_e32 v7, v3, v4
	v_mad_u64_u32 v[3:4], null, s22, v1, 0
	v_add_f32_e32 v0, v0, v52
	v_fmac_f32_e32 v6, v16, v39
	v_add_f32_e32 v5, v7, v5
	v_fma_f32 v7, v13, v37, -v8
	v_mul_f32_e32 v8, v16, v40
	v_mul_f32_e32 v9, v17, v42
	v_add_f32_e32 v6, v0, v6
	v_mov_b32_e32 v0, v4
	v_add_f32_e32 v4, v5, v7
	v_fma_f32 v5, v15, v39, -v8
	s_add_u32 s5, s14, s0
	s_mul_hi_u32 s0, s22, s6
	v_mad_u64_u32 v[0:1], null, s23, v1, v[0:1]
	v_add_f32_e32 v1, v4, v5
	s_addc_u32 s7, s15, s1
	v_mul_f32_e32 v7, v18, v42
	v_fmac_f32_e32 v9, v18, v41
	s_add_i32 s0, s0, s4
	s_mul_i32 s1, s23, s6
	v_mov_b32_e32 v4, v0
	s_add_i32 s1, s0, s1
	s_mul_i32 s0, s22, s6
	v_fma_f32 v5, v17, v41, -v7
	s_lshl_b64 s[0:1], s[0:1], 3
	v_lshlrev_b64 v[3:4], 3, v[3:4]
	v_add_f32_e32 v6, v6, v9
	s_add_u32 s0, s5, s0
	s_addc_u32 s1, s7, s1
	v_add_f32_e32 v0, v1, v5
	v_add_co_u32 v3, vcc_lo, s0, v3
	v_mul_f32_e32 v1, s2, v6
	v_mul_f32_e32 v5, s3, v6
	v_add_co_ci_u32_e64 v4, null, s1, v4, vcc_lo
	v_add_co_u32 v2, vcc_lo, v3, v2
	v_fmac_f32_e32 v1, s3, v0
	v_fma_f32 v0, s2, v0, -v5
	v_add_co_ci_u32_e64 v3, null, 0, v4, vcc_lo
	flat_store_dwordx2 v[2:3], v[0:1]
.LBB169_15:
	s_endpgm
	.section	.rodata,"a",@progbits
	.p2align	6, 0x0
	.amdhsa_kernel _ZL23rocblas_trmm_lNx_kernelILi16E19rocblas_complex_numIfES1_KPKS1_KPS1_Ev13rocblas_fill_17rocblas_diagonal_iiT1_lPT2_llSB_llPT3_lli
		.amdhsa_group_segment_fixed_size 4096
		.amdhsa_private_segment_fixed_size 0
		.amdhsa_kernarg_size 108
		.amdhsa_user_sgpr_count 6
		.amdhsa_user_sgpr_private_segment_buffer 1
		.amdhsa_user_sgpr_dispatch_ptr 0
		.amdhsa_user_sgpr_queue_ptr 0
		.amdhsa_user_sgpr_kernarg_segment_ptr 1
		.amdhsa_user_sgpr_dispatch_id 0
		.amdhsa_user_sgpr_flat_scratch_init 0
		.amdhsa_user_sgpr_private_segment_size 0
		.amdhsa_wavefront_size32 1
		.amdhsa_uses_dynamic_stack 0
		.amdhsa_system_sgpr_private_segment_wavefront_offset 0
		.amdhsa_system_sgpr_workgroup_id_x 1
		.amdhsa_system_sgpr_workgroup_id_y 0
		.amdhsa_system_sgpr_workgroup_id_z 1
		.amdhsa_system_sgpr_workgroup_info 0
		.amdhsa_system_vgpr_workitem_id 1
		.amdhsa_next_free_vgpr 59
		.amdhsa_next_free_sgpr 32
		.amdhsa_reserve_vcc 1
		.amdhsa_reserve_flat_scratch 0
		.amdhsa_float_round_mode_32 0
		.amdhsa_float_round_mode_16_64 0
		.amdhsa_float_denorm_mode_32 3
		.amdhsa_float_denorm_mode_16_64 3
		.amdhsa_dx10_clamp 1
		.amdhsa_ieee_mode 1
		.amdhsa_fp16_overflow 0
		.amdhsa_workgroup_processor_mode 1
		.amdhsa_memory_ordered 1
		.amdhsa_forward_progress 1
		.amdhsa_shared_vgpr_count 0
		.amdhsa_exception_fp_ieee_invalid_op 0
		.amdhsa_exception_fp_denorm_src 0
		.amdhsa_exception_fp_ieee_div_zero 0
		.amdhsa_exception_fp_ieee_overflow 0
		.amdhsa_exception_fp_ieee_underflow 0
		.amdhsa_exception_fp_ieee_inexact 0
		.amdhsa_exception_int_div_zero 0
	.end_amdhsa_kernel
	.section	.text._ZL23rocblas_trmm_lNx_kernelILi16E19rocblas_complex_numIfES1_KPKS1_KPS1_Ev13rocblas_fill_17rocblas_diagonal_iiT1_lPT2_llSB_llPT3_lli,"axG",@progbits,_ZL23rocblas_trmm_lNx_kernelILi16E19rocblas_complex_numIfES1_KPKS1_KPS1_Ev13rocblas_fill_17rocblas_diagonal_iiT1_lPT2_llSB_llPT3_lli,comdat
.Lfunc_end169:
	.size	_ZL23rocblas_trmm_lNx_kernelILi16E19rocblas_complex_numIfES1_KPKS1_KPS1_Ev13rocblas_fill_17rocblas_diagonal_iiT1_lPT2_llSB_llPT3_lli, .Lfunc_end169-_ZL23rocblas_trmm_lNx_kernelILi16E19rocblas_complex_numIfES1_KPKS1_KPS1_Ev13rocblas_fill_17rocblas_diagonal_iiT1_lPT2_llSB_llPT3_lli
                                        ; -- End function
	.set _ZL23rocblas_trmm_lNx_kernelILi16E19rocblas_complex_numIfES1_KPKS1_KPS1_Ev13rocblas_fill_17rocblas_diagonal_iiT1_lPT2_llSB_llPT3_lli.num_vgpr, 59
	.set _ZL23rocblas_trmm_lNx_kernelILi16E19rocblas_complex_numIfES1_KPKS1_KPS1_Ev13rocblas_fill_17rocblas_diagonal_iiT1_lPT2_llSB_llPT3_lli.num_agpr, 0
	.set _ZL23rocblas_trmm_lNx_kernelILi16E19rocblas_complex_numIfES1_KPKS1_KPS1_Ev13rocblas_fill_17rocblas_diagonal_iiT1_lPT2_llSB_llPT3_lli.numbered_sgpr, 32
	.set _ZL23rocblas_trmm_lNx_kernelILi16E19rocblas_complex_numIfES1_KPKS1_KPS1_Ev13rocblas_fill_17rocblas_diagonal_iiT1_lPT2_llSB_llPT3_lli.num_named_barrier, 0
	.set _ZL23rocblas_trmm_lNx_kernelILi16E19rocblas_complex_numIfES1_KPKS1_KPS1_Ev13rocblas_fill_17rocblas_diagonal_iiT1_lPT2_llSB_llPT3_lli.private_seg_size, 0
	.set _ZL23rocblas_trmm_lNx_kernelILi16E19rocblas_complex_numIfES1_KPKS1_KPS1_Ev13rocblas_fill_17rocblas_diagonal_iiT1_lPT2_llSB_llPT3_lli.uses_vcc, 1
	.set _ZL23rocblas_trmm_lNx_kernelILi16E19rocblas_complex_numIfES1_KPKS1_KPS1_Ev13rocblas_fill_17rocblas_diagonal_iiT1_lPT2_llSB_llPT3_lli.uses_flat_scratch, 0
	.set _ZL23rocblas_trmm_lNx_kernelILi16E19rocblas_complex_numIfES1_KPKS1_KPS1_Ev13rocblas_fill_17rocblas_diagonal_iiT1_lPT2_llSB_llPT3_lli.has_dyn_sized_stack, 0
	.set _ZL23rocblas_trmm_lNx_kernelILi16E19rocblas_complex_numIfES1_KPKS1_KPS1_Ev13rocblas_fill_17rocblas_diagonal_iiT1_lPT2_llSB_llPT3_lli.has_recursion, 0
	.set _ZL23rocblas_trmm_lNx_kernelILi16E19rocblas_complex_numIfES1_KPKS1_KPS1_Ev13rocblas_fill_17rocblas_diagonal_iiT1_lPT2_llSB_llPT3_lli.has_indirect_call, 0
	.section	.AMDGPU.csdata,"",@progbits
; Kernel info:
; codeLenInByte = 1368
; TotalNumSgprs: 34
; NumVgprs: 59
; ScratchSize: 0
; MemoryBound: 0
; FloatMode: 240
; IeeeMode: 1
; LDSByteSize: 4096 bytes/workgroup (compile time only)
; SGPRBlocks: 0
; VGPRBlocks: 7
; NumSGPRsForWavesPerEU: 34
; NumVGPRsForWavesPerEU: 59
; Occupancy: 16
; WaveLimiterHint : 1
; COMPUTE_PGM_RSRC2:SCRATCH_EN: 0
; COMPUTE_PGM_RSRC2:USER_SGPR: 6
; COMPUTE_PGM_RSRC2:TRAP_HANDLER: 0
; COMPUTE_PGM_RSRC2:TGID_X_EN: 1
; COMPUTE_PGM_RSRC2:TGID_Y_EN: 0
; COMPUTE_PGM_RSRC2:TGID_Z_EN: 1
; COMPUTE_PGM_RSRC2:TIDIG_COMP_CNT: 1
	.section	.text._ZL23rocblas_trmm_lTx_kernelILi16ELb0E19rocblas_complex_numIfEPKS1_KS3_KPS1_Ev13rocblas_fill_17rocblas_diagonal_iiT2_lPT3_llSB_llPT4_lli,"axG",@progbits,_ZL23rocblas_trmm_lTx_kernelILi16ELb0E19rocblas_complex_numIfEPKS1_KS3_KPS1_Ev13rocblas_fill_17rocblas_diagonal_iiT2_lPT3_llSB_llPT4_lli,comdat
	.globl	_ZL23rocblas_trmm_lTx_kernelILi16ELb0E19rocblas_complex_numIfEPKS1_KS3_KPS1_Ev13rocblas_fill_17rocblas_diagonal_iiT2_lPT3_llSB_llPT4_lli ; -- Begin function _ZL23rocblas_trmm_lTx_kernelILi16ELb0E19rocblas_complex_numIfEPKS1_KS3_KPS1_Ev13rocblas_fill_17rocblas_diagonal_iiT2_lPT3_llSB_llPT4_lli
	.p2align	8
	.type	_ZL23rocblas_trmm_lTx_kernelILi16ELb0E19rocblas_complex_numIfEPKS1_KS3_KPS1_Ev13rocblas_fill_17rocblas_diagonal_iiT2_lPT3_llSB_llPT4_lli,@function
_ZL23rocblas_trmm_lTx_kernelILi16ELb0E19rocblas_complex_numIfEPKS1_KS3_KPS1_Ev13rocblas_fill_17rocblas_diagonal_iiT2_lPT3_llSB_llPT4_lli: ; @_ZL23rocblas_trmm_lTx_kernelILi16ELb0E19rocblas_complex_numIfEPKS1_KS3_KPS1_Ev13rocblas_fill_17rocblas_diagonal_iiT2_lPT3_llSB_llPT4_lli
; %bb.0:
	s_load_dwordx16 s[8:23], s[4:5], 0x10
	s_mov_b32 s27, 0
	s_waitcnt lgkmcnt(0)
	s_mul_i32 s1, s11, s7
	s_mul_hi_u32 s2, s10, s7
	s_mul_i32 s0, s10, s7
	s_add_i32 s1, s2, s1
	s_lshl_b64 s[0:1], s[0:1], 3
	s_add_u32 s0, s8, s0
	s_addc_u32 s1, s9, s1
	s_load_dwordx2 s[24:25], s[0:1], 0x0
	s_waitcnt lgkmcnt(0)
	v_cmp_neq_f32_e64 s0, s24, 0
	v_cmp_neq_f32_e64 s1, s25, 0
	s_or_b32 s0, s0, s1
	s_andn2_b32 vcc_lo, exec_lo, s0
	s_cbranch_vccnz .LBB170_15
; %bb.1:
	s_clause 0x1
	s_load_dwordx4 s[0:3], s[4:5], 0x50
	s_load_dwordx4 s[8:11], s[4:5], 0x0
	s_mov_b32 s26, s7
	v_lshlrev_b32_e32 v3, 4, v1
	s_lshl_b64 s[30:31], s[26:27], 3
	s_mov_b32 s26, s27
	s_add_u32 s12, s12, s30
	s_addc_u32 s13, s13, s31
	v_mov_b32_e32 v5, s26
	s_load_dwordx2 s[28:29], s[12:13], 0x0
	s_add_u32 s12, s18, s30
	s_addc_u32 s13, s19, s31
	v_add_lshl_u32 v4, v3, v0, 3
	v_mov_b32_e32 v6, s27
	v_lshlrev_b32_e32 v2, 3, v0
	s_waitcnt lgkmcnt(0)
	s_add_u32 s0, s0, s30
	s_addc_u32 s1, s1, s31
	s_load_dwordx2 s[18:19], s[12:13], 0x0
	s_load_dwordx2 s[12:13], s[0:1], 0x0
	v_cmp_gt_i32_e64 s0, s10, v1
	v_cmp_gt_i32_e32 vcc_lo, s10, v0
	ds_write2st64_b64 v4, v[5:6], v[5:6] offset1:4
	s_waitcnt lgkmcnt(0)
	s_barrier
	buffer_gl0_inv
	s_and_b32 s0, s0, vcc_lo
	s_and_saveexec_b32 s1, s0
	s_cbranch_execz .LBB170_3
; %bb.2:
	v_mad_u64_u32 v[5:6], null, s14, v1, 0
	v_mad_u64_u32 v[6:7], null, s15, v1, v[6:7]
	s_lshl_b64 s[14:15], s[16:17], 3
	v_lshlrev_b32_e32 v7, 3, v1
	s_add_u32 s0, s28, s14
	s_addc_u32 s7, s29, s15
	v_lshl_add_u32 v7, v0, 7, v7
	v_lshlrev_b64 v[5:6], 3, v[5:6]
	v_add_co_u32 v5, s0, s0, v5
	v_add_co_ci_u32_e64 v6, null, s7, v6, s0
	v_add_co_u32 v5, s0, v5, v2
	v_add_co_ci_u32_e64 v6, null, 0, v6, s0
	flat_load_dwordx2 v[5:6], v[5:6]
	s_waitcnt vmcnt(0) lgkmcnt(0)
	ds_write_b64 v7, v[5:6]
.LBB170_3:
	s_or_b32 exec_lo, exec_lo, s1
	s_add_i32 s0, s11, -1
	s_ashr_i32 s1, s0, 31
	s_lshr_b32 s1, s1, 28
	s_add_i32 s0, s0, s1
	s_and_b32 s1, s0, -16
	s_ashr_i32 s0, s0, 4
	s_sub_i32 s1, s11, s1
	s_cmp_ge_i32 s6, s0
	s_cselect_b32 s0, s1, 16
	s_lshl_b32 s6, s6, 4
	v_cmp_gt_i32_e64 s0, s0, v1
	s_ashr_i32 s7, s6, 31
	s_and_b32 s0, vcc_lo, s0
	s_and_saveexec_b32 s1, s0
	s_cbranch_execz .LBB170_5
; %bb.4:
	v_mad_u64_u32 v[5:6], null, s20, v1, 0
	s_lshl_b64 s[10:11], s[22:23], 3
	s_mul_i32 s14, s20, s7
	s_mul_hi_u32 s15, s20, s6
	s_add_u32 s17, s18, s10
	s_mul_i32 s16, s21, s6
	s_addc_u32 s18, s19, s11
	v_mad_u64_u32 v[6:7], null, s21, v1, v[6:7]
	s_add_i32 s11, s15, s14
	s_mul_i32 s10, s20, s6
	s_add_i32 s11, s11, s16
	v_add_nc_u32_e32 v7, 0x800, v4
	s_lshl_b64 s[10:11], s[10:11], 3
	s_add_u32 s10, s17, s10
	v_lshlrev_b64 v[5:6], 3, v[5:6]
	s_addc_u32 s11, s18, s11
	v_add_co_u32 v5, vcc_lo, s10, v5
	v_add_co_ci_u32_e64 v6, null, s11, v6, vcc_lo
	v_add_co_u32 v5, vcc_lo, v5, v2
	v_add_co_ci_u32_e64 v6, null, 0, v6, vcc_lo
	flat_load_dwordx2 v[5:6], v[5:6]
	s_waitcnt vmcnt(0) lgkmcnt(0)
	ds_write_b64 v7, v[5:6]
.LBB170_5:
	s_or_b32 exec_lo, exec_lo, s1
	v_cmp_eq_u32_e32 vcc_lo, v1, v0
	s_cmpk_eq_i32 s9, 0x84
	s_cselect_b32 s1, -1, 0
	s_and_b32 s9, vcc_lo, s1
	s_and_saveexec_b32 s1, s9
; %bb.6:
	v_mov_b32_e32 v5, 1.0
	v_mov_b32_e32 v6, 0
	ds_write_b64 v4, v[5:6]
; %bb.7:
	s_or_b32 exec_lo, exec_lo, s1
	s_cmpk_lg_i32 s8, 0x7a
	s_waitcnt lgkmcnt(0)
	s_barrier
	buffer_gl0_inv
	s_cbranch_scc0 .LBB170_9
; %bb.8:
	v_cmp_lt_u32_e32 vcc_lo, v0, v1
	s_and_b32 s1, vcc_lo, exec_lo
	s_cbranch_execz .LBB170_10
	s_branch .LBB170_11
.LBB170_9:
	s_mov_b32 s1, 0
.LBB170_10:
	v_cmp_gt_u32_e32 vcc_lo, v0, v1
	s_andn2_b32 s1, s1, exec_lo
	s_and_b32 s8, vcc_lo, exec_lo
	s_or_b32 s1, s1, s8
.LBB170_11:
	s_and_saveexec_b32 s8, s1
; %bb.12:
	v_mov_b32_e32 v5, 0
	v_mov_b32_e32 v6, v5
	ds_write_b64 v4, v[5:6]
; %bb.13:
	s_or_b32 exec_lo, exec_lo, s8
	s_waitcnt lgkmcnt(0)
	s_barrier
	buffer_gl0_inv
	s_and_saveexec_b32 s1, s0
	s_cbranch_execz .LBB170_15
; %bb.14:
	v_lshlrev_b32_e32 v0, 3, v3
	s_load_dwordx2 s[0:1], s[4:5], 0x60
	s_mul_i32 s4, s2, s7
	ds_read2_b64 v[3:6], v2 offset1:16
	ds_read_b128 v[7:10], v0 offset:2048
	ds_read2_b64 v[11:14], v2 offset0:32 offset1:48
	ds_read_b128 v[15:18], v0 offset:2064
	ds_read2_b64 v[19:22], v2 offset0:64 offset1:80
	ds_read2_b64 v[23:26], v2 offset0:96 offset1:112
	;; [unrolled: 1-line block ×6, first 2 shown]
	ds_read_b128 v[43:46], v0 offset:2080
	ds_read_b128 v[47:50], v0 offset:2096
	s_waitcnt lgkmcnt(0)
	s_lshl_b64 s[0:1], s[0:1], 3
	v_mul_f32_e32 v51, v7, v4
	v_mul_f32_e32 v52, v9, v6
	;; [unrolled: 1-line block ×5, first 2 shown]
	v_fmac_f32_e32 v51, v8, v3
	v_mul_f32_e32 v54, v17, v14
	v_fmac_f32_e32 v52, v10, v5
	v_mul_f32_e32 v12, v16, v12
	v_mul_f32_e32 v14, v18, v14
	v_add_f32_e32 v51, 0, v51
	v_fma_f32 v55, v7, v3, -v4
	v_fma_f32 v56, v9, v5, -v6
	ds_read_b128 v[3:6], v0 offset:2112
	ds_read_b128 v[7:10], v0 offset:2128
	v_fmac_f32_e32 v53, v16, v11
	v_fmac_f32_e32 v54, v18, v13
	v_fma_f32 v57, v15, v11, -v12
	v_fma_f32 v58, v17, v13, -v14
	ds_read_b128 v[11:14], v0 offset:2144
	ds_read_b128 v[15:18], v0 offset:2160
	v_add_f32_e32 v0, v51, v52
	v_mul_f32_e32 v51, v43, v20
	v_mul_f32_e32 v20, v44, v20
	;; [unrolled: 1-line block ×4, first 2 shown]
	v_add_f32_e32 v0, v0, v53
	v_fmac_f32_e32 v51, v44, v19
	v_fma_f32 v19, v43, v19, -v20
	v_add_f32_e32 v20, 0, v55
	v_fmac_f32_e32 v52, v46, v21
	v_add_f32_e32 v0, v0, v54
	v_fma_f32 v21, v45, v21, -v22
	v_mul_f32_e32 v22, v47, v24
	v_add_f32_e32 v20, v20, v56
	v_mul_f32_e32 v43, v49, v26
	v_add_f32_e32 v0, v0, v51
	v_mul_f32_e32 v24, v48, v24
	v_fmac_f32_e32 v22, v48, v23
	v_add_f32_e32 v20, v20, v57
	s_waitcnt lgkmcnt(3)
	v_mul_f32_e32 v44, v3, v28
	v_add_f32_e32 v0, v0, v52
	v_fmac_f32_e32 v43, v50, v25
	v_mul_f32_e32 v45, v5, v30
	v_add_f32_e32 v20, v20, v58
	v_fmac_f32_e32 v44, v4, v27
	v_add_f32_e32 v0, v0, v22
	v_fma_f32 v22, v47, v23, -v24
	v_mul_f32_e32 v4, v4, v28
	v_add_f32_e32 v19, v20, v19
	v_mul_f32_e32 v20, v50, v26
	v_add_f32_e32 v0, v0, v43
	s_waitcnt lgkmcnt(2)
	v_mul_f32_e32 v46, v7, v32
	v_fmac_f32_e32 v45, v6, v29
	v_add_f32_e32 v19, v19, v21
	v_fma_f32 v20, v49, v25, -v20
	v_add_f32_e32 v0, v0, v44
	v_mul_f32_e32 v6, v6, v30
	v_fma_f32 v3, v3, v27, -v4
	v_add_f32_e32 v19, v19, v22
	v_mul_f32_e32 v51, v9, v34
	v_fmac_f32_e32 v46, v8, v31
	v_add_f32_e32 v0, v0, v45
	v_mul_f32_e32 v8, v8, v32
	v_add_f32_e32 v4, v19, v20
	v_fma_f32 v5, v5, v29, -v6
	s_waitcnt lgkmcnt(1)
	v_mul_f32_e32 v53, v11, v36
	v_fmac_f32_e32 v51, v10, v33
	v_add_f32_e32 v0, v0, v46
	v_add_f32_e32 v3, v4, v3
	v_mul_f32_e32 v4, v10, v34
	v_fma_f32 v6, v7, v31, -v8
	v_mul_f32_e32 v52, v13, v38
	v_fmac_f32_e32 v53, v12, v35
	v_add_f32_e32 v3, v3, v5
	v_add_f32_e32 v0, v0, v51
	v_fma_f32 v4, v9, v33, -v4
	v_fmac_f32_e32 v52, v14, v37
	v_mul_f32_e32 v5, v12, v36
	v_add_f32_e32 v3, v3, v6
	v_add_f32_e32 v0, v0, v53
	s_waitcnt lgkmcnt(0)
	v_mul_f32_e32 v6, v15, v40
	v_mul_f32_e32 v8, v14, v38
	v_fma_f32 v5, v11, v35, -v5
	v_add_f32_e32 v7, v3, v4
	v_mad_u64_u32 v[3:4], null, s2, v1, 0
	v_add_f32_e32 v0, v0, v52
	v_fmac_f32_e32 v6, v16, v39
	v_add_f32_e32 v5, v7, v5
	v_fma_f32 v7, v13, v37, -v8
	v_mul_f32_e32 v8, v16, v40
	v_mul_f32_e32 v9, v17, v42
	v_add_f32_e32 v6, v0, v6
	v_mov_b32_e32 v0, v4
	v_add_f32_e32 v4, v5, v7
	v_fma_f32 v5, v15, v39, -v8
	s_add_u32 s5, s12, s0
	s_mul_hi_u32 s0, s2, s6
	v_mad_u64_u32 v[0:1], null, s3, v1, v[0:1]
	v_add_f32_e32 v1, v4, v5
	s_addc_u32 s7, s13, s1
	v_mul_f32_e32 v7, v18, v42
	v_fmac_f32_e32 v9, v18, v41
	s_add_i32 s0, s0, s4
	s_mul_i32 s1, s3, s6
	v_mov_b32_e32 v4, v0
	s_add_i32 s1, s0, s1
	s_mul_i32 s0, s2, s6
	v_fma_f32 v5, v17, v41, -v7
	s_lshl_b64 s[0:1], s[0:1], 3
	v_lshlrev_b64 v[3:4], 3, v[3:4]
	v_add_f32_e32 v6, v6, v9
	s_add_u32 s0, s5, s0
	s_addc_u32 s1, s7, s1
	v_add_f32_e32 v0, v1, v5
	v_add_co_u32 v3, vcc_lo, s0, v3
	v_mul_f32_e32 v1, s24, v6
	v_mul_f32_e32 v5, s25, v6
	v_add_co_ci_u32_e64 v4, null, s1, v4, vcc_lo
	v_add_co_u32 v2, vcc_lo, v3, v2
	v_fmac_f32_e32 v1, s25, v0
	v_fma_f32 v0, s24, v0, -v5
	v_add_co_ci_u32_e64 v3, null, 0, v4, vcc_lo
	flat_store_dwordx2 v[2:3], v[0:1]
.LBB170_15:
	s_endpgm
	.section	.rodata,"a",@progbits
	.p2align	6, 0x0
	.amdhsa_kernel _ZL23rocblas_trmm_lTx_kernelILi16ELb0E19rocblas_complex_numIfEPKS1_KS3_KPS1_Ev13rocblas_fill_17rocblas_diagonal_iiT2_lPT3_llSB_llPT4_lli
		.amdhsa_group_segment_fixed_size 4096
		.amdhsa_private_segment_fixed_size 0
		.amdhsa_kernarg_size 108
		.amdhsa_user_sgpr_count 6
		.amdhsa_user_sgpr_private_segment_buffer 1
		.amdhsa_user_sgpr_dispatch_ptr 0
		.amdhsa_user_sgpr_queue_ptr 0
		.amdhsa_user_sgpr_kernarg_segment_ptr 1
		.amdhsa_user_sgpr_dispatch_id 0
		.amdhsa_user_sgpr_flat_scratch_init 0
		.amdhsa_user_sgpr_private_segment_size 0
		.amdhsa_wavefront_size32 1
		.amdhsa_uses_dynamic_stack 0
		.amdhsa_system_sgpr_private_segment_wavefront_offset 0
		.amdhsa_system_sgpr_workgroup_id_x 1
		.amdhsa_system_sgpr_workgroup_id_y 0
		.amdhsa_system_sgpr_workgroup_id_z 1
		.amdhsa_system_sgpr_workgroup_info 0
		.amdhsa_system_vgpr_workitem_id 1
		.amdhsa_next_free_vgpr 59
		.amdhsa_next_free_sgpr 32
		.amdhsa_reserve_vcc 1
		.amdhsa_reserve_flat_scratch 0
		.amdhsa_float_round_mode_32 0
		.amdhsa_float_round_mode_16_64 0
		.amdhsa_float_denorm_mode_32 3
		.amdhsa_float_denorm_mode_16_64 3
		.amdhsa_dx10_clamp 1
		.amdhsa_ieee_mode 1
		.amdhsa_fp16_overflow 0
		.amdhsa_workgroup_processor_mode 1
		.amdhsa_memory_ordered 1
		.amdhsa_forward_progress 1
		.amdhsa_shared_vgpr_count 0
		.amdhsa_exception_fp_ieee_invalid_op 0
		.amdhsa_exception_fp_denorm_src 0
		.amdhsa_exception_fp_ieee_div_zero 0
		.amdhsa_exception_fp_ieee_overflow 0
		.amdhsa_exception_fp_ieee_underflow 0
		.amdhsa_exception_fp_ieee_inexact 0
		.amdhsa_exception_int_div_zero 0
	.end_amdhsa_kernel
	.section	.text._ZL23rocblas_trmm_lTx_kernelILi16ELb0E19rocblas_complex_numIfEPKS1_KS3_KPS1_Ev13rocblas_fill_17rocblas_diagonal_iiT2_lPT3_llSB_llPT4_lli,"axG",@progbits,_ZL23rocblas_trmm_lTx_kernelILi16ELb0E19rocblas_complex_numIfEPKS1_KS3_KPS1_Ev13rocblas_fill_17rocblas_diagonal_iiT2_lPT3_llSB_llPT4_lli,comdat
.Lfunc_end170:
	.size	_ZL23rocblas_trmm_lTx_kernelILi16ELb0E19rocblas_complex_numIfEPKS1_KS3_KPS1_Ev13rocblas_fill_17rocblas_diagonal_iiT2_lPT3_llSB_llPT4_lli, .Lfunc_end170-_ZL23rocblas_trmm_lTx_kernelILi16ELb0E19rocblas_complex_numIfEPKS1_KS3_KPS1_Ev13rocblas_fill_17rocblas_diagonal_iiT2_lPT3_llSB_llPT4_lli
                                        ; -- End function
	.set _ZL23rocblas_trmm_lTx_kernelILi16ELb0E19rocblas_complex_numIfEPKS1_KS3_KPS1_Ev13rocblas_fill_17rocblas_diagonal_iiT2_lPT3_llSB_llPT4_lli.num_vgpr, 59
	.set _ZL23rocblas_trmm_lTx_kernelILi16ELb0E19rocblas_complex_numIfEPKS1_KS3_KPS1_Ev13rocblas_fill_17rocblas_diagonal_iiT2_lPT3_llSB_llPT4_lli.num_agpr, 0
	.set _ZL23rocblas_trmm_lTx_kernelILi16ELb0E19rocblas_complex_numIfEPKS1_KS3_KPS1_Ev13rocblas_fill_17rocblas_diagonal_iiT2_lPT3_llSB_llPT4_lli.numbered_sgpr, 32
	.set _ZL23rocblas_trmm_lTx_kernelILi16ELb0E19rocblas_complex_numIfEPKS1_KS3_KPS1_Ev13rocblas_fill_17rocblas_diagonal_iiT2_lPT3_llSB_llPT4_lli.num_named_barrier, 0
	.set _ZL23rocblas_trmm_lTx_kernelILi16ELb0E19rocblas_complex_numIfEPKS1_KS3_KPS1_Ev13rocblas_fill_17rocblas_diagonal_iiT2_lPT3_llSB_llPT4_lli.private_seg_size, 0
	.set _ZL23rocblas_trmm_lTx_kernelILi16ELb0E19rocblas_complex_numIfEPKS1_KS3_KPS1_Ev13rocblas_fill_17rocblas_diagonal_iiT2_lPT3_llSB_llPT4_lli.uses_vcc, 1
	.set _ZL23rocblas_trmm_lTx_kernelILi16ELb0E19rocblas_complex_numIfEPKS1_KS3_KPS1_Ev13rocblas_fill_17rocblas_diagonal_iiT2_lPT3_llSB_llPT4_lli.uses_flat_scratch, 0
	.set _ZL23rocblas_trmm_lTx_kernelILi16ELb0E19rocblas_complex_numIfEPKS1_KS3_KPS1_Ev13rocblas_fill_17rocblas_diagonal_iiT2_lPT3_llSB_llPT4_lli.has_dyn_sized_stack, 0
	.set _ZL23rocblas_trmm_lTx_kernelILi16ELb0E19rocblas_complex_numIfEPKS1_KS3_KPS1_Ev13rocblas_fill_17rocblas_diagonal_iiT2_lPT3_llSB_llPT4_lli.has_recursion, 0
	.set _ZL23rocblas_trmm_lTx_kernelILi16ELb0E19rocblas_complex_numIfEPKS1_KS3_KPS1_Ev13rocblas_fill_17rocblas_diagonal_iiT2_lPT3_llSB_llPT4_lli.has_indirect_call, 0
	.section	.AMDGPU.csdata,"",@progbits
; Kernel info:
; codeLenInByte = 1444
; TotalNumSgprs: 34
; NumVgprs: 59
; ScratchSize: 0
; MemoryBound: 0
; FloatMode: 240
; IeeeMode: 1
; LDSByteSize: 4096 bytes/workgroup (compile time only)
; SGPRBlocks: 0
; VGPRBlocks: 7
; NumSGPRsForWavesPerEU: 34
; NumVGPRsForWavesPerEU: 59
; Occupancy: 16
; WaveLimiterHint : 1
; COMPUTE_PGM_RSRC2:SCRATCH_EN: 0
; COMPUTE_PGM_RSRC2:USER_SGPR: 6
; COMPUTE_PGM_RSRC2:TRAP_HANDLER: 0
; COMPUTE_PGM_RSRC2:TGID_X_EN: 1
; COMPUTE_PGM_RSRC2:TGID_Y_EN: 0
; COMPUTE_PGM_RSRC2:TGID_Z_EN: 1
; COMPUTE_PGM_RSRC2:TIDIG_COMP_CNT: 1
	.section	.text._ZL23rocblas_trmm_lTx_kernelILi16ELb0E19rocblas_complex_numIfES1_KPKS1_KPS1_Ev13rocblas_fill_17rocblas_diagonal_iiT2_lPT3_llSB_llPT4_lli,"axG",@progbits,_ZL23rocblas_trmm_lTx_kernelILi16ELb0E19rocblas_complex_numIfES1_KPKS1_KPS1_Ev13rocblas_fill_17rocblas_diagonal_iiT2_lPT3_llSB_llPT4_lli,comdat
	.globl	_ZL23rocblas_trmm_lTx_kernelILi16ELb0E19rocblas_complex_numIfES1_KPKS1_KPS1_Ev13rocblas_fill_17rocblas_diagonal_iiT2_lPT3_llSB_llPT4_lli ; -- Begin function _ZL23rocblas_trmm_lTx_kernelILi16ELb0E19rocblas_complex_numIfES1_KPKS1_KPS1_Ev13rocblas_fill_17rocblas_diagonal_iiT2_lPT3_llSB_llPT4_lli
	.p2align	8
	.type	_ZL23rocblas_trmm_lTx_kernelILi16ELb0E19rocblas_complex_numIfES1_KPKS1_KPS1_Ev13rocblas_fill_17rocblas_diagonal_iiT2_lPT3_llSB_llPT4_lli,@function
_ZL23rocblas_trmm_lTx_kernelILi16ELb0E19rocblas_complex_numIfES1_KPKS1_KPS1_Ev13rocblas_fill_17rocblas_diagonal_iiT2_lPT3_llSB_llPT4_lli: ; @_ZL23rocblas_trmm_lTx_kernelILi16ELb0E19rocblas_complex_numIfES1_KPKS1_KPS1_Ev13rocblas_fill_17rocblas_diagonal_iiT2_lPT3_llSB_llPT4_lli
; %bb.0:
	s_load_dwordx2 s[2:3], s[4:5], 0x10
	s_mov_b32 s0, s7
	s_waitcnt lgkmcnt(0)
	v_cmp_neq_f32_e64 s1, s2, 0
	v_cmp_neq_f32_e64 s7, s3, 0
	s_or_b32 s1, s1, s7
	s_andn2_b32 vcc_lo, exec_lo, s1
	s_mov_b32 s1, 0
	s_cbranch_vccnz .LBB171_15
; %bb.1:
	s_load_dwordx16 s[8:23], s[4:5], 0x20
	s_lshl_b64 s[30:31], s[0:1], 3
	s_load_dwordx4 s[24:27], s[4:5], 0x0
	v_lshlrev_b32_e32 v3, 4, v1
	s_mov_b32 s0, s1
	v_mov_b32_e32 v6, s1
	v_mov_b32_e32 v5, s0
	v_lshlrev_b32_e32 v2, 3, v0
	v_add_lshl_u32 v4, v3, v0, 3
	s_waitcnt lgkmcnt(0)
	s_add_u32 s8, s8, s30
	s_addc_u32 s9, s9, s31
	s_add_u32 s14, s14, s30
	s_addc_u32 s15, s15, s31
	s_load_dwordx2 s[28:29], s[8:9], 0x0
	s_add_u32 s8, s20, s30
	s_addc_u32 s9, s21, s31
	s_load_dwordx2 s[14:15], s[14:15], 0x0
	s_load_dwordx2 s[8:9], s[8:9], 0x0
	v_cmp_gt_i32_e64 s0, s26, v1
	v_cmp_gt_i32_e32 vcc_lo, s26, v0
	ds_write2st64_b64 v4, v[5:6], v[5:6] offset1:4
	s_waitcnt lgkmcnt(0)
	s_barrier
	buffer_gl0_inv
	s_and_b32 s0, s0, vcc_lo
	s_and_saveexec_b32 s1, s0
	s_cbranch_execz .LBB171_3
; %bb.2:
	v_mad_u64_u32 v[5:6], null, s10, v1, 0
	v_mad_u64_u32 v[6:7], null, s11, v1, v[6:7]
	s_lshl_b64 s[10:11], s[12:13], 3
	v_lshlrev_b32_e32 v7, 3, v1
	s_add_u32 s0, s28, s10
	s_addc_u32 s7, s29, s11
	v_lshl_add_u32 v7, v0, 7, v7
	v_lshlrev_b64 v[5:6], 3, v[5:6]
	v_add_co_u32 v5, s0, s0, v5
	v_add_co_ci_u32_e64 v6, null, s7, v6, s0
	v_add_co_u32 v5, s0, v5, v2
	v_add_co_ci_u32_e64 v6, null, 0, v6, s0
	flat_load_dwordx2 v[5:6], v[5:6]
	s_waitcnt vmcnt(0) lgkmcnt(0)
	ds_write_b64 v7, v[5:6]
.LBB171_3:
	s_or_b32 exec_lo, exec_lo, s1
	s_add_i32 s0, s27, -1
	s_ashr_i32 s1, s0, 31
	s_lshr_b32 s1, s1, 28
	s_add_i32 s0, s0, s1
	s_and_b32 s1, s0, -16
	s_ashr_i32 s0, s0, 4
	s_sub_i32 s1, s27, s1
	s_cmp_ge_i32 s6, s0
	s_cselect_b32 s0, s1, 16
	s_lshl_b32 s6, s6, 4
	v_cmp_gt_i32_e64 s0, s0, v1
	s_ashr_i32 s7, s6, 31
	s_and_b32 s0, vcc_lo, s0
	s_and_saveexec_b32 s1, s0
	s_cbranch_execz .LBB171_5
; %bb.4:
	v_mad_u64_u32 v[5:6], null, s16, v1, 0
	s_lshl_b64 s[10:11], s[18:19], 3
	s_mul_i32 s12, s16, s7
	s_mul_hi_u32 s13, s16, s6
	s_add_u32 s14, s14, s10
	s_addc_u32 s15, s15, s11
	s_add_i32 s11, s13, s12
	v_mad_u64_u32 v[6:7], null, s17, v1, v[6:7]
	s_mul_i32 s17, s17, s6
	s_mul_i32 s10, s16, s6
	s_add_i32 s11, s11, s17
	v_add_nc_u32_e32 v7, 0x800, v4
	s_lshl_b64 s[10:11], s[10:11], 3
	s_add_u32 s10, s14, s10
	v_lshlrev_b64 v[5:6], 3, v[5:6]
	s_addc_u32 s11, s15, s11
	v_add_co_u32 v5, vcc_lo, s10, v5
	v_add_co_ci_u32_e64 v6, null, s11, v6, vcc_lo
	v_add_co_u32 v5, vcc_lo, v5, v2
	v_add_co_ci_u32_e64 v6, null, 0, v6, vcc_lo
	flat_load_dwordx2 v[5:6], v[5:6]
	s_waitcnt vmcnt(0) lgkmcnt(0)
	ds_write_b64 v7, v[5:6]
.LBB171_5:
	s_or_b32 exec_lo, exec_lo, s1
	v_cmp_eq_u32_e32 vcc_lo, v1, v0
	s_cmpk_eq_i32 s25, 0x84
	s_cselect_b32 s1, -1, 0
	s_and_b32 s10, vcc_lo, s1
	s_and_saveexec_b32 s1, s10
; %bb.6:
	v_mov_b32_e32 v5, 1.0
	v_mov_b32_e32 v6, 0
	ds_write_b64 v4, v[5:6]
; %bb.7:
	s_or_b32 exec_lo, exec_lo, s1
	s_cmpk_lg_i32 s24, 0x7a
	s_waitcnt lgkmcnt(0)
	s_barrier
	buffer_gl0_inv
	s_cbranch_scc0 .LBB171_9
; %bb.8:
	v_cmp_lt_u32_e32 vcc_lo, v0, v1
	s_and_b32 s1, vcc_lo, exec_lo
	s_cbranch_execz .LBB171_10
	s_branch .LBB171_11
.LBB171_9:
	s_mov_b32 s1, 0
.LBB171_10:
	v_cmp_gt_u32_e32 vcc_lo, v0, v1
	s_andn2_b32 s1, s1, exec_lo
	s_and_b32 s10, vcc_lo, exec_lo
	s_or_b32 s1, s1, s10
.LBB171_11:
	s_and_saveexec_b32 s10, s1
; %bb.12:
	v_mov_b32_e32 v5, 0
	v_mov_b32_e32 v6, v5
	ds_write_b64 v4, v[5:6]
; %bb.13:
	s_or_b32 exec_lo, exec_lo, s10
	s_waitcnt lgkmcnt(0)
	s_barrier
	buffer_gl0_inv
	s_and_saveexec_b32 s1, s0
	s_cbranch_execz .LBB171_15
; %bb.14:
	v_lshlrev_b32_e32 v0, 3, v3
	s_load_dwordx2 s[0:1], s[4:5], 0x60
	s_mul_i32 s4, s22, s7
	ds_read2_b64 v[3:6], v2 offset1:16
	ds_read_b128 v[7:10], v0 offset:2048
	ds_read2_b64 v[11:14], v2 offset0:32 offset1:48
	ds_read_b128 v[15:18], v0 offset:2064
	ds_read2_b64 v[19:22], v2 offset0:64 offset1:80
	ds_read2_b64 v[23:26], v2 offset0:96 offset1:112
	;; [unrolled: 1-line block ×6, first 2 shown]
	ds_read_b128 v[43:46], v0 offset:2080
	ds_read_b128 v[47:50], v0 offset:2096
	s_waitcnt lgkmcnt(0)
	s_lshl_b64 s[0:1], s[0:1], 3
	v_mul_f32_e32 v51, v7, v4
	v_mul_f32_e32 v52, v9, v6
	;; [unrolled: 1-line block ×5, first 2 shown]
	v_fmac_f32_e32 v51, v8, v3
	v_mul_f32_e32 v54, v17, v14
	v_fmac_f32_e32 v52, v10, v5
	v_mul_f32_e32 v12, v16, v12
	v_mul_f32_e32 v14, v18, v14
	v_add_f32_e32 v51, 0, v51
	v_fma_f32 v55, v7, v3, -v4
	v_fma_f32 v56, v9, v5, -v6
	ds_read_b128 v[3:6], v0 offset:2112
	ds_read_b128 v[7:10], v0 offset:2128
	v_fmac_f32_e32 v53, v16, v11
	v_fmac_f32_e32 v54, v18, v13
	v_fma_f32 v57, v15, v11, -v12
	v_fma_f32 v58, v17, v13, -v14
	ds_read_b128 v[11:14], v0 offset:2144
	ds_read_b128 v[15:18], v0 offset:2160
	v_add_f32_e32 v0, v51, v52
	v_mul_f32_e32 v51, v43, v20
	v_mul_f32_e32 v20, v44, v20
	;; [unrolled: 1-line block ×4, first 2 shown]
	v_add_f32_e32 v0, v0, v53
	v_fmac_f32_e32 v51, v44, v19
	v_fma_f32 v19, v43, v19, -v20
	v_add_f32_e32 v20, 0, v55
	v_fmac_f32_e32 v52, v46, v21
	v_add_f32_e32 v0, v0, v54
	v_fma_f32 v21, v45, v21, -v22
	v_mul_f32_e32 v22, v47, v24
	v_add_f32_e32 v20, v20, v56
	v_mul_f32_e32 v43, v49, v26
	v_add_f32_e32 v0, v0, v51
	v_mul_f32_e32 v24, v48, v24
	v_fmac_f32_e32 v22, v48, v23
	v_add_f32_e32 v20, v20, v57
	s_waitcnt lgkmcnt(3)
	v_mul_f32_e32 v44, v3, v28
	v_add_f32_e32 v0, v0, v52
	v_fmac_f32_e32 v43, v50, v25
	v_mul_f32_e32 v45, v5, v30
	v_add_f32_e32 v20, v20, v58
	v_fmac_f32_e32 v44, v4, v27
	v_add_f32_e32 v0, v0, v22
	v_fma_f32 v22, v47, v23, -v24
	v_mul_f32_e32 v4, v4, v28
	v_add_f32_e32 v19, v20, v19
	v_mul_f32_e32 v20, v50, v26
	v_add_f32_e32 v0, v0, v43
	s_waitcnt lgkmcnt(2)
	v_mul_f32_e32 v46, v7, v32
	v_fmac_f32_e32 v45, v6, v29
	v_add_f32_e32 v19, v19, v21
	v_fma_f32 v20, v49, v25, -v20
	v_add_f32_e32 v0, v0, v44
	v_mul_f32_e32 v6, v6, v30
	v_fma_f32 v3, v3, v27, -v4
	v_add_f32_e32 v19, v19, v22
	v_mul_f32_e32 v51, v9, v34
	v_fmac_f32_e32 v46, v8, v31
	v_add_f32_e32 v0, v0, v45
	v_mul_f32_e32 v8, v8, v32
	v_add_f32_e32 v4, v19, v20
	v_fma_f32 v5, v5, v29, -v6
	s_waitcnt lgkmcnt(1)
	v_mul_f32_e32 v53, v11, v36
	v_fmac_f32_e32 v51, v10, v33
	v_add_f32_e32 v0, v0, v46
	v_add_f32_e32 v3, v4, v3
	v_mul_f32_e32 v4, v10, v34
	v_fma_f32 v6, v7, v31, -v8
	v_mul_f32_e32 v52, v13, v38
	v_fmac_f32_e32 v53, v12, v35
	v_add_f32_e32 v3, v3, v5
	v_add_f32_e32 v0, v0, v51
	v_fma_f32 v4, v9, v33, -v4
	v_fmac_f32_e32 v52, v14, v37
	v_mul_f32_e32 v5, v12, v36
	v_add_f32_e32 v3, v3, v6
	v_add_f32_e32 v0, v0, v53
	s_waitcnt lgkmcnt(0)
	v_mul_f32_e32 v6, v15, v40
	v_mul_f32_e32 v8, v14, v38
	v_fma_f32 v5, v11, v35, -v5
	v_add_f32_e32 v7, v3, v4
	v_mad_u64_u32 v[3:4], null, s22, v1, 0
	v_add_f32_e32 v0, v0, v52
	v_fmac_f32_e32 v6, v16, v39
	v_add_f32_e32 v5, v7, v5
	v_fma_f32 v7, v13, v37, -v8
	v_mul_f32_e32 v8, v16, v40
	v_mul_f32_e32 v9, v17, v42
	v_add_f32_e32 v6, v0, v6
	v_mov_b32_e32 v0, v4
	v_add_f32_e32 v4, v5, v7
	v_fma_f32 v5, v15, v39, -v8
	s_add_u32 s5, s8, s0
	s_mul_hi_u32 s0, s22, s6
	v_mad_u64_u32 v[0:1], null, s23, v1, v[0:1]
	v_add_f32_e32 v1, v4, v5
	s_addc_u32 s7, s9, s1
	v_mul_f32_e32 v7, v18, v42
	v_fmac_f32_e32 v9, v18, v41
	s_add_i32 s0, s0, s4
	s_mul_i32 s1, s23, s6
	v_mov_b32_e32 v4, v0
	s_add_i32 s1, s0, s1
	s_mul_i32 s0, s22, s6
	v_fma_f32 v5, v17, v41, -v7
	s_lshl_b64 s[0:1], s[0:1], 3
	v_lshlrev_b64 v[3:4], 3, v[3:4]
	v_add_f32_e32 v6, v6, v9
	s_add_u32 s0, s5, s0
	s_addc_u32 s1, s7, s1
	v_add_f32_e32 v0, v1, v5
	v_add_co_u32 v3, vcc_lo, s0, v3
	v_mul_f32_e32 v1, s2, v6
	v_mul_f32_e32 v5, s3, v6
	v_add_co_ci_u32_e64 v4, null, s1, v4, vcc_lo
	v_add_co_u32 v2, vcc_lo, v3, v2
	v_fmac_f32_e32 v1, s3, v0
	v_fma_f32 v0, s2, v0, -v5
	v_add_co_ci_u32_e64 v3, null, 0, v4, vcc_lo
	flat_store_dwordx2 v[2:3], v[0:1]
.LBB171_15:
	s_endpgm
	.section	.rodata,"a",@progbits
	.p2align	6, 0x0
	.amdhsa_kernel _ZL23rocblas_trmm_lTx_kernelILi16ELb0E19rocblas_complex_numIfES1_KPKS1_KPS1_Ev13rocblas_fill_17rocblas_diagonal_iiT2_lPT3_llSB_llPT4_lli
		.amdhsa_group_segment_fixed_size 4096
		.amdhsa_private_segment_fixed_size 0
		.amdhsa_kernarg_size 108
		.amdhsa_user_sgpr_count 6
		.amdhsa_user_sgpr_private_segment_buffer 1
		.amdhsa_user_sgpr_dispatch_ptr 0
		.amdhsa_user_sgpr_queue_ptr 0
		.amdhsa_user_sgpr_kernarg_segment_ptr 1
		.amdhsa_user_sgpr_dispatch_id 0
		.amdhsa_user_sgpr_flat_scratch_init 0
		.amdhsa_user_sgpr_private_segment_size 0
		.amdhsa_wavefront_size32 1
		.amdhsa_uses_dynamic_stack 0
		.amdhsa_system_sgpr_private_segment_wavefront_offset 0
		.amdhsa_system_sgpr_workgroup_id_x 1
		.amdhsa_system_sgpr_workgroup_id_y 0
		.amdhsa_system_sgpr_workgroup_id_z 1
		.amdhsa_system_sgpr_workgroup_info 0
		.amdhsa_system_vgpr_workitem_id 1
		.amdhsa_next_free_vgpr 59
		.amdhsa_next_free_sgpr 32
		.amdhsa_reserve_vcc 1
		.amdhsa_reserve_flat_scratch 0
		.amdhsa_float_round_mode_32 0
		.amdhsa_float_round_mode_16_64 0
		.amdhsa_float_denorm_mode_32 3
		.amdhsa_float_denorm_mode_16_64 3
		.amdhsa_dx10_clamp 1
		.amdhsa_ieee_mode 1
		.amdhsa_fp16_overflow 0
		.amdhsa_workgroup_processor_mode 1
		.amdhsa_memory_ordered 1
		.amdhsa_forward_progress 1
		.amdhsa_shared_vgpr_count 0
		.amdhsa_exception_fp_ieee_invalid_op 0
		.amdhsa_exception_fp_denorm_src 0
		.amdhsa_exception_fp_ieee_div_zero 0
		.amdhsa_exception_fp_ieee_overflow 0
		.amdhsa_exception_fp_ieee_underflow 0
		.amdhsa_exception_fp_ieee_inexact 0
		.amdhsa_exception_int_div_zero 0
	.end_amdhsa_kernel
	.section	.text._ZL23rocblas_trmm_lTx_kernelILi16ELb0E19rocblas_complex_numIfES1_KPKS1_KPS1_Ev13rocblas_fill_17rocblas_diagonal_iiT2_lPT3_llSB_llPT4_lli,"axG",@progbits,_ZL23rocblas_trmm_lTx_kernelILi16ELb0E19rocblas_complex_numIfES1_KPKS1_KPS1_Ev13rocblas_fill_17rocblas_diagonal_iiT2_lPT3_llSB_llPT4_lli,comdat
.Lfunc_end171:
	.size	_ZL23rocblas_trmm_lTx_kernelILi16ELb0E19rocblas_complex_numIfES1_KPKS1_KPS1_Ev13rocblas_fill_17rocblas_diagonal_iiT2_lPT3_llSB_llPT4_lli, .Lfunc_end171-_ZL23rocblas_trmm_lTx_kernelILi16ELb0E19rocblas_complex_numIfES1_KPKS1_KPS1_Ev13rocblas_fill_17rocblas_diagonal_iiT2_lPT3_llSB_llPT4_lli
                                        ; -- End function
	.set _ZL23rocblas_trmm_lTx_kernelILi16ELb0E19rocblas_complex_numIfES1_KPKS1_KPS1_Ev13rocblas_fill_17rocblas_diagonal_iiT2_lPT3_llSB_llPT4_lli.num_vgpr, 59
	.set _ZL23rocblas_trmm_lTx_kernelILi16ELb0E19rocblas_complex_numIfES1_KPKS1_KPS1_Ev13rocblas_fill_17rocblas_diagonal_iiT2_lPT3_llSB_llPT4_lli.num_agpr, 0
	.set _ZL23rocblas_trmm_lTx_kernelILi16ELb0E19rocblas_complex_numIfES1_KPKS1_KPS1_Ev13rocblas_fill_17rocblas_diagonal_iiT2_lPT3_llSB_llPT4_lli.numbered_sgpr, 32
	.set _ZL23rocblas_trmm_lTx_kernelILi16ELb0E19rocblas_complex_numIfES1_KPKS1_KPS1_Ev13rocblas_fill_17rocblas_diagonal_iiT2_lPT3_llSB_llPT4_lli.num_named_barrier, 0
	.set _ZL23rocblas_trmm_lTx_kernelILi16ELb0E19rocblas_complex_numIfES1_KPKS1_KPS1_Ev13rocblas_fill_17rocblas_diagonal_iiT2_lPT3_llSB_llPT4_lli.private_seg_size, 0
	.set _ZL23rocblas_trmm_lTx_kernelILi16ELb0E19rocblas_complex_numIfES1_KPKS1_KPS1_Ev13rocblas_fill_17rocblas_diagonal_iiT2_lPT3_llSB_llPT4_lli.uses_vcc, 1
	.set _ZL23rocblas_trmm_lTx_kernelILi16ELb0E19rocblas_complex_numIfES1_KPKS1_KPS1_Ev13rocblas_fill_17rocblas_diagonal_iiT2_lPT3_llSB_llPT4_lli.uses_flat_scratch, 0
	.set _ZL23rocblas_trmm_lTx_kernelILi16ELb0E19rocblas_complex_numIfES1_KPKS1_KPS1_Ev13rocblas_fill_17rocblas_diagonal_iiT2_lPT3_llSB_llPT4_lli.has_dyn_sized_stack, 0
	.set _ZL23rocblas_trmm_lTx_kernelILi16ELb0E19rocblas_complex_numIfES1_KPKS1_KPS1_Ev13rocblas_fill_17rocblas_diagonal_iiT2_lPT3_llSB_llPT4_lli.has_recursion, 0
	.set _ZL23rocblas_trmm_lTx_kernelILi16ELb0E19rocblas_complex_numIfES1_KPKS1_KPS1_Ev13rocblas_fill_17rocblas_diagonal_iiT2_lPT3_llSB_llPT4_lli.has_indirect_call, 0
	.section	.AMDGPU.csdata,"",@progbits
; Kernel info:
; codeLenInByte = 1400
; TotalNumSgprs: 34
; NumVgprs: 59
; ScratchSize: 0
; MemoryBound: 0
; FloatMode: 240
; IeeeMode: 1
; LDSByteSize: 4096 bytes/workgroup (compile time only)
; SGPRBlocks: 0
; VGPRBlocks: 7
; NumSGPRsForWavesPerEU: 34
; NumVGPRsForWavesPerEU: 59
; Occupancy: 16
; WaveLimiterHint : 1
; COMPUTE_PGM_RSRC2:SCRATCH_EN: 0
; COMPUTE_PGM_RSRC2:USER_SGPR: 6
; COMPUTE_PGM_RSRC2:TRAP_HANDLER: 0
; COMPUTE_PGM_RSRC2:TGID_X_EN: 1
; COMPUTE_PGM_RSRC2:TGID_Y_EN: 0
; COMPUTE_PGM_RSRC2:TGID_Z_EN: 1
; COMPUTE_PGM_RSRC2:TIDIG_COMP_CNT: 1
	.section	.text._ZL23rocblas_trmm_lTx_kernelILi16ELb1E19rocblas_complex_numIfEPKS1_KS3_KPS1_Ev13rocblas_fill_17rocblas_diagonal_iiT2_lPT3_llSB_llPT4_lli,"axG",@progbits,_ZL23rocblas_trmm_lTx_kernelILi16ELb1E19rocblas_complex_numIfEPKS1_KS3_KPS1_Ev13rocblas_fill_17rocblas_diagonal_iiT2_lPT3_llSB_llPT4_lli,comdat
	.globl	_ZL23rocblas_trmm_lTx_kernelILi16ELb1E19rocblas_complex_numIfEPKS1_KS3_KPS1_Ev13rocblas_fill_17rocblas_diagonal_iiT2_lPT3_llSB_llPT4_lli ; -- Begin function _ZL23rocblas_trmm_lTx_kernelILi16ELb1E19rocblas_complex_numIfEPKS1_KS3_KPS1_Ev13rocblas_fill_17rocblas_diagonal_iiT2_lPT3_llSB_llPT4_lli
	.p2align	8
	.type	_ZL23rocblas_trmm_lTx_kernelILi16ELb1E19rocblas_complex_numIfEPKS1_KS3_KPS1_Ev13rocblas_fill_17rocblas_diagonal_iiT2_lPT3_llSB_llPT4_lli,@function
_ZL23rocblas_trmm_lTx_kernelILi16ELb1E19rocblas_complex_numIfEPKS1_KS3_KPS1_Ev13rocblas_fill_17rocblas_diagonal_iiT2_lPT3_llSB_llPT4_lli: ; @_ZL23rocblas_trmm_lTx_kernelILi16ELb1E19rocblas_complex_numIfEPKS1_KS3_KPS1_Ev13rocblas_fill_17rocblas_diagonal_iiT2_lPT3_llSB_llPT4_lli
; %bb.0:
	s_load_dwordx16 s[8:23], s[4:5], 0x10
	s_mov_b32 s27, 0
	s_waitcnt lgkmcnt(0)
	s_mul_i32 s1, s11, s7
	s_mul_hi_u32 s2, s10, s7
	s_mul_i32 s0, s10, s7
	s_add_i32 s1, s2, s1
	s_lshl_b64 s[0:1], s[0:1], 3
	s_add_u32 s0, s8, s0
	s_addc_u32 s1, s9, s1
	s_load_dwordx2 s[24:25], s[0:1], 0x0
	s_waitcnt lgkmcnt(0)
	v_cmp_neq_f32_e64 s0, s24, 0
	v_cmp_neq_f32_e64 s1, s25, 0
	s_or_b32 s0, s0, s1
	s_andn2_b32 vcc_lo, exec_lo, s0
	s_cbranch_vccnz .LBB172_15
; %bb.1:
	s_clause 0x1
	s_load_dwordx4 s[0:3], s[4:5], 0x50
	s_load_dwordx4 s[8:11], s[4:5], 0x0
	s_mov_b32 s26, s7
	v_lshlrev_b32_e32 v3, 4, v1
	s_lshl_b64 s[30:31], s[26:27], 3
	s_mov_b32 s26, s27
	s_add_u32 s12, s12, s30
	s_addc_u32 s13, s13, s31
	v_mov_b32_e32 v5, s26
	s_load_dwordx2 s[28:29], s[12:13], 0x0
	s_add_u32 s12, s18, s30
	s_addc_u32 s13, s19, s31
	v_add_lshl_u32 v4, v3, v0, 3
	v_mov_b32_e32 v6, s27
	v_lshlrev_b32_e32 v2, 3, v0
	s_waitcnt lgkmcnt(0)
	s_add_u32 s0, s0, s30
	s_addc_u32 s1, s1, s31
	s_load_dwordx2 s[18:19], s[12:13], 0x0
	s_load_dwordx2 s[12:13], s[0:1], 0x0
	v_cmp_gt_i32_e64 s0, s10, v1
	v_cmp_gt_i32_e32 vcc_lo, s10, v0
	ds_write2st64_b64 v4, v[5:6], v[5:6] offset1:4
	s_waitcnt lgkmcnt(0)
	s_barrier
	buffer_gl0_inv
	s_and_b32 s0, s0, vcc_lo
	s_and_saveexec_b32 s1, s0
	s_cbranch_execz .LBB172_3
; %bb.2:
	v_mad_u64_u32 v[5:6], null, s14, v1, 0
	v_mad_u64_u32 v[6:7], null, s15, v1, v[6:7]
	s_lshl_b64 s[14:15], s[16:17], 3
	v_lshlrev_b32_e32 v7, 3, v1
	s_add_u32 s0, s28, s14
	s_addc_u32 s7, s29, s15
	v_lshl_add_u32 v7, v0, 7, v7
	v_lshlrev_b64 v[5:6], 3, v[5:6]
	v_add_co_u32 v5, s0, s0, v5
	v_add_co_ci_u32_e64 v6, null, s7, v6, s0
	v_add_co_u32 v5, s0, v5, v2
	v_add_co_ci_u32_e64 v6, null, 0, v6, s0
	flat_load_dwordx2 v[5:6], v[5:6]
	s_waitcnt vmcnt(0) lgkmcnt(0)
	v_xor_b32_e32 v6, 0x80000000, v6
	ds_write_b64 v7, v[5:6]
.LBB172_3:
	s_or_b32 exec_lo, exec_lo, s1
	s_add_i32 s0, s11, -1
	s_ashr_i32 s1, s0, 31
	s_lshr_b32 s1, s1, 28
	s_add_i32 s0, s0, s1
	s_and_b32 s1, s0, -16
	s_ashr_i32 s0, s0, 4
	s_sub_i32 s1, s11, s1
	s_cmp_ge_i32 s6, s0
	s_cselect_b32 s0, s1, 16
	s_lshl_b32 s6, s6, 4
	v_cmp_gt_i32_e64 s0, s0, v1
	s_ashr_i32 s7, s6, 31
	s_and_b32 s0, vcc_lo, s0
	s_and_saveexec_b32 s1, s0
	s_cbranch_execz .LBB172_5
; %bb.4:
	v_mad_u64_u32 v[5:6], null, s20, v1, 0
	s_lshl_b64 s[10:11], s[22:23], 3
	s_mul_i32 s14, s20, s7
	s_mul_hi_u32 s15, s20, s6
	s_add_u32 s17, s18, s10
	s_mul_i32 s16, s21, s6
	s_addc_u32 s18, s19, s11
	v_mad_u64_u32 v[6:7], null, s21, v1, v[6:7]
	s_add_i32 s11, s15, s14
	s_mul_i32 s10, s20, s6
	s_add_i32 s11, s11, s16
	v_add_nc_u32_e32 v7, 0x800, v4
	s_lshl_b64 s[10:11], s[10:11], 3
	s_add_u32 s10, s17, s10
	v_lshlrev_b64 v[5:6], 3, v[5:6]
	s_addc_u32 s11, s18, s11
	v_add_co_u32 v5, vcc_lo, s10, v5
	v_add_co_ci_u32_e64 v6, null, s11, v6, vcc_lo
	v_add_co_u32 v5, vcc_lo, v5, v2
	v_add_co_ci_u32_e64 v6, null, 0, v6, vcc_lo
	flat_load_dwordx2 v[5:6], v[5:6]
	s_waitcnt vmcnt(0) lgkmcnt(0)
	ds_write_b64 v7, v[5:6]
.LBB172_5:
	s_or_b32 exec_lo, exec_lo, s1
	v_cmp_eq_u32_e32 vcc_lo, v1, v0
	s_cmpk_eq_i32 s9, 0x84
	s_cselect_b32 s1, -1, 0
	s_and_b32 s9, vcc_lo, s1
	s_and_saveexec_b32 s1, s9
; %bb.6:
	v_mov_b32_e32 v5, 1.0
	v_mov_b32_e32 v6, 0
	ds_write_b64 v4, v[5:6]
; %bb.7:
	s_or_b32 exec_lo, exec_lo, s1
	s_cmpk_lg_i32 s8, 0x7a
	s_waitcnt lgkmcnt(0)
	s_barrier
	buffer_gl0_inv
	s_cbranch_scc0 .LBB172_9
; %bb.8:
	v_cmp_lt_u32_e32 vcc_lo, v0, v1
	s_and_b32 s1, vcc_lo, exec_lo
	s_cbranch_execz .LBB172_10
	s_branch .LBB172_11
.LBB172_9:
	s_mov_b32 s1, 0
.LBB172_10:
	v_cmp_gt_u32_e32 vcc_lo, v0, v1
	s_andn2_b32 s1, s1, exec_lo
	s_and_b32 s8, vcc_lo, exec_lo
	s_or_b32 s1, s1, s8
.LBB172_11:
	s_and_saveexec_b32 s8, s1
; %bb.12:
	v_mov_b32_e32 v5, 0
	v_mov_b32_e32 v6, v5
	ds_write_b64 v4, v[5:6]
; %bb.13:
	s_or_b32 exec_lo, exec_lo, s8
	s_waitcnt lgkmcnt(0)
	s_barrier
	buffer_gl0_inv
	s_and_saveexec_b32 s1, s0
	s_cbranch_execz .LBB172_15
; %bb.14:
	v_lshlrev_b32_e32 v0, 3, v3
	s_load_dwordx2 s[0:1], s[4:5], 0x60
	s_mul_i32 s4, s2, s7
	ds_read2_b64 v[3:6], v2 offset1:16
	ds_read_b128 v[7:10], v0 offset:2048
	ds_read2_b64 v[11:14], v2 offset0:32 offset1:48
	ds_read_b128 v[15:18], v0 offset:2064
	ds_read2_b64 v[19:22], v2 offset0:64 offset1:80
	ds_read2_b64 v[23:26], v2 offset0:96 offset1:112
	;; [unrolled: 1-line block ×6, first 2 shown]
	ds_read_b128 v[43:46], v0 offset:2080
	ds_read_b128 v[47:50], v0 offset:2096
	s_waitcnt lgkmcnt(0)
	s_lshl_b64 s[0:1], s[0:1], 3
	v_mul_f32_e32 v51, v7, v4
	v_mul_f32_e32 v52, v9, v6
	v_mul_f32_e32 v53, v15, v12
	v_mul_f32_e32 v4, v8, v4
	v_mul_f32_e32 v6, v10, v6
	v_fmac_f32_e32 v51, v8, v3
	v_mul_f32_e32 v54, v17, v14
	v_fmac_f32_e32 v52, v10, v5
	v_mul_f32_e32 v12, v16, v12
	v_mul_f32_e32 v14, v18, v14
	v_add_f32_e32 v51, 0, v51
	v_fma_f32 v55, v7, v3, -v4
	v_fma_f32 v56, v9, v5, -v6
	ds_read_b128 v[3:6], v0 offset:2112
	ds_read_b128 v[7:10], v0 offset:2128
	v_fmac_f32_e32 v53, v16, v11
	v_fmac_f32_e32 v54, v18, v13
	v_fma_f32 v57, v15, v11, -v12
	v_fma_f32 v58, v17, v13, -v14
	ds_read_b128 v[11:14], v0 offset:2144
	ds_read_b128 v[15:18], v0 offset:2160
	v_add_f32_e32 v0, v51, v52
	v_mul_f32_e32 v51, v43, v20
	v_mul_f32_e32 v20, v44, v20
	;; [unrolled: 1-line block ×4, first 2 shown]
	v_add_f32_e32 v0, v0, v53
	v_fmac_f32_e32 v51, v44, v19
	v_fma_f32 v19, v43, v19, -v20
	v_add_f32_e32 v20, 0, v55
	v_fmac_f32_e32 v52, v46, v21
	v_add_f32_e32 v0, v0, v54
	v_fma_f32 v21, v45, v21, -v22
	v_mul_f32_e32 v22, v47, v24
	v_add_f32_e32 v20, v20, v56
	v_mul_f32_e32 v43, v49, v26
	v_add_f32_e32 v0, v0, v51
	v_mul_f32_e32 v24, v48, v24
	v_fmac_f32_e32 v22, v48, v23
	v_add_f32_e32 v20, v20, v57
	s_waitcnt lgkmcnt(3)
	v_mul_f32_e32 v44, v3, v28
	v_add_f32_e32 v0, v0, v52
	v_fmac_f32_e32 v43, v50, v25
	v_mul_f32_e32 v45, v5, v30
	v_add_f32_e32 v20, v20, v58
	v_fmac_f32_e32 v44, v4, v27
	v_add_f32_e32 v0, v0, v22
	v_fma_f32 v22, v47, v23, -v24
	v_mul_f32_e32 v4, v4, v28
	v_add_f32_e32 v19, v20, v19
	v_mul_f32_e32 v20, v50, v26
	v_add_f32_e32 v0, v0, v43
	s_waitcnt lgkmcnt(2)
	v_mul_f32_e32 v46, v7, v32
	v_fmac_f32_e32 v45, v6, v29
	v_add_f32_e32 v19, v19, v21
	v_fma_f32 v20, v49, v25, -v20
	v_add_f32_e32 v0, v0, v44
	v_mul_f32_e32 v6, v6, v30
	v_fma_f32 v3, v3, v27, -v4
	v_add_f32_e32 v19, v19, v22
	v_mul_f32_e32 v51, v9, v34
	v_fmac_f32_e32 v46, v8, v31
	v_add_f32_e32 v0, v0, v45
	v_mul_f32_e32 v8, v8, v32
	v_add_f32_e32 v4, v19, v20
	v_fma_f32 v5, v5, v29, -v6
	s_waitcnt lgkmcnt(1)
	v_mul_f32_e32 v53, v11, v36
	v_fmac_f32_e32 v51, v10, v33
	v_add_f32_e32 v0, v0, v46
	v_add_f32_e32 v3, v4, v3
	v_mul_f32_e32 v4, v10, v34
	v_fma_f32 v6, v7, v31, -v8
	v_mul_f32_e32 v52, v13, v38
	v_fmac_f32_e32 v53, v12, v35
	v_add_f32_e32 v3, v3, v5
	v_add_f32_e32 v0, v0, v51
	v_fma_f32 v4, v9, v33, -v4
	v_fmac_f32_e32 v52, v14, v37
	v_mul_f32_e32 v5, v12, v36
	v_add_f32_e32 v3, v3, v6
	v_add_f32_e32 v0, v0, v53
	s_waitcnt lgkmcnt(0)
	v_mul_f32_e32 v6, v15, v40
	v_mul_f32_e32 v8, v14, v38
	v_fma_f32 v5, v11, v35, -v5
	v_add_f32_e32 v7, v3, v4
	v_mad_u64_u32 v[3:4], null, s2, v1, 0
	v_add_f32_e32 v0, v0, v52
	v_fmac_f32_e32 v6, v16, v39
	v_add_f32_e32 v5, v7, v5
	v_fma_f32 v7, v13, v37, -v8
	v_mul_f32_e32 v8, v16, v40
	v_mul_f32_e32 v9, v17, v42
	v_add_f32_e32 v6, v0, v6
	v_mov_b32_e32 v0, v4
	v_add_f32_e32 v4, v5, v7
	v_fma_f32 v5, v15, v39, -v8
	s_add_u32 s5, s12, s0
	s_mul_hi_u32 s0, s2, s6
	v_mad_u64_u32 v[0:1], null, s3, v1, v[0:1]
	v_add_f32_e32 v1, v4, v5
	s_addc_u32 s7, s13, s1
	v_mul_f32_e32 v7, v18, v42
	v_fmac_f32_e32 v9, v18, v41
	s_add_i32 s0, s0, s4
	s_mul_i32 s1, s3, s6
	v_mov_b32_e32 v4, v0
	s_add_i32 s1, s0, s1
	s_mul_i32 s0, s2, s6
	v_fma_f32 v5, v17, v41, -v7
	s_lshl_b64 s[0:1], s[0:1], 3
	v_lshlrev_b64 v[3:4], 3, v[3:4]
	v_add_f32_e32 v6, v6, v9
	s_add_u32 s0, s5, s0
	s_addc_u32 s1, s7, s1
	v_add_f32_e32 v0, v1, v5
	v_add_co_u32 v3, vcc_lo, s0, v3
	v_mul_f32_e32 v1, s24, v6
	v_mul_f32_e32 v5, s25, v6
	v_add_co_ci_u32_e64 v4, null, s1, v4, vcc_lo
	v_add_co_u32 v2, vcc_lo, v3, v2
	v_fmac_f32_e32 v1, s25, v0
	v_fma_f32 v0, s24, v0, -v5
	v_add_co_ci_u32_e64 v3, null, 0, v4, vcc_lo
	flat_store_dwordx2 v[2:3], v[0:1]
.LBB172_15:
	s_endpgm
	.section	.rodata,"a",@progbits
	.p2align	6, 0x0
	.amdhsa_kernel _ZL23rocblas_trmm_lTx_kernelILi16ELb1E19rocblas_complex_numIfEPKS1_KS3_KPS1_Ev13rocblas_fill_17rocblas_diagonal_iiT2_lPT3_llSB_llPT4_lli
		.amdhsa_group_segment_fixed_size 4096
		.amdhsa_private_segment_fixed_size 0
		.amdhsa_kernarg_size 108
		.amdhsa_user_sgpr_count 6
		.amdhsa_user_sgpr_private_segment_buffer 1
		.amdhsa_user_sgpr_dispatch_ptr 0
		.amdhsa_user_sgpr_queue_ptr 0
		.amdhsa_user_sgpr_kernarg_segment_ptr 1
		.amdhsa_user_sgpr_dispatch_id 0
		.amdhsa_user_sgpr_flat_scratch_init 0
		.amdhsa_user_sgpr_private_segment_size 0
		.amdhsa_wavefront_size32 1
		.amdhsa_uses_dynamic_stack 0
		.amdhsa_system_sgpr_private_segment_wavefront_offset 0
		.amdhsa_system_sgpr_workgroup_id_x 1
		.amdhsa_system_sgpr_workgroup_id_y 0
		.amdhsa_system_sgpr_workgroup_id_z 1
		.amdhsa_system_sgpr_workgroup_info 0
		.amdhsa_system_vgpr_workitem_id 1
		.amdhsa_next_free_vgpr 59
		.amdhsa_next_free_sgpr 32
		.amdhsa_reserve_vcc 1
		.amdhsa_reserve_flat_scratch 0
		.amdhsa_float_round_mode_32 0
		.amdhsa_float_round_mode_16_64 0
		.amdhsa_float_denorm_mode_32 3
		.amdhsa_float_denorm_mode_16_64 3
		.amdhsa_dx10_clamp 1
		.amdhsa_ieee_mode 1
		.amdhsa_fp16_overflow 0
		.amdhsa_workgroup_processor_mode 1
		.amdhsa_memory_ordered 1
		.amdhsa_forward_progress 1
		.amdhsa_shared_vgpr_count 0
		.amdhsa_exception_fp_ieee_invalid_op 0
		.amdhsa_exception_fp_denorm_src 0
		.amdhsa_exception_fp_ieee_div_zero 0
		.amdhsa_exception_fp_ieee_overflow 0
		.amdhsa_exception_fp_ieee_underflow 0
		.amdhsa_exception_fp_ieee_inexact 0
		.amdhsa_exception_int_div_zero 0
	.end_amdhsa_kernel
	.section	.text._ZL23rocblas_trmm_lTx_kernelILi16ELb1E19rocblas_complex_numIfEPKS1_KS3_KPS1_Ev13rocblas_fill_17rocblas_diagonal_iiT2_lPT3_llSB_llPT4_lli,"axG",@progbits,_ZL23rocblas_trmm_lTx_kernelILi16ELb1E19rocblas_complex_numIfEPKS1_KS3_KPS1_Ev13rocblas_fill_17rocblas_diagonal_iiT2_lPT3_llSB_llPT4_lli,comdat
.Lfunc_end172:
	.size	_ZL23rocblas_trmm_lTx_kernelILi16ELb1E19rocblas_complex_numIfEPKS1_KS3_KPS1_Ev13rocblas_fill_17rocblas_diagonal_iiT2_lPT3_llSB_llPT4_lli, .Lfunc_end172-_ZL23rocblas_trmm_lTx_kernelILi16ELb1E19rocblas_complex_numIfEPKS1_KS3_KPS1_Ev13rocblas_fill_17rocblas_diagonal_iiT2_lPT3_llSB_llPT4_lli
                                        ; -- End function
	.set _ZL23rocblas_trmm_lTx_kernelILi16ELb1E19rocblas_complex_numIfEPKS1_KS3_KPS1_Ev13rocblas_fill_17rocblas_diagonal_iiT2_lPT3_llSB_llPT4_lli.num_vgpr, 59
	.set _ZL23rocblas_trmm_lTx_kernelILi16ELb1E19rocblas_complex_numIfEPKS1_KS3_KPS1_Ev13rocblas_fill_17rocblas_diagonal_iiT2_lPT3_llSB_llPT4_lli.num_agpr, 0
	.set _ZL23rocblas_trmm_lTx_kernelILi16ELb1E19rocblas_complex_numIfEPKS1_KS3_KPS1_Ev13rocblas_fill_17rocblas_diagonal_iiT2_lPT3_llSB_llPT4_lli.numbered_sgpr, 32
	.set _ZL23rocblas_trmm_lTx_kernelILi16ELb1E19rocblas_complex_numIfEPKS1_KS3_KPS1_Ev13rocblas_fill_17rocblas_diagonal_iiT2_lPT3_llSB_llPT4_lli.num_named_barrier, 0
	.set _ZL23rocblas_trmm_lTx_kernelILi16ELb1E19rocblas_complex_numIfEPKS1_KS3_KPS1_Ev13rocblas_fill_17rocblas_diagonal_iiT2_lPT3_llSB_llPT4_lli.private_seg_size, 0
	.set _ZL23rocblas_trmm_lTx_kernelILi16ELb1E19rocblas_complex_numIfEPKS1_KS3_KPS1_Ev13rocblas_fill_17rocblas_diagonal_iiT2_lPT3_llSB_llPT4_lli.uses_vcc, 1
	.set _ZL23rocblas_trmm_lTx_kernelILi16ELb1E19rocblas_complex_numIfEPKS1_KS3_KPS1_Ev13rocblas_fill_17rocblas_diagonal_iiT2_lPT3_llSB_llPT4_lli.uses_flat_scratch, 0
	.set _ZL23rocblas_trmm_lTx_kernelILi16ELb1E19rocblas_complex_numIfEPKS1_KS3_KPS1_Ev13rocblas_fill_17rocblas_diagonal_iiT2_lPT3_llSB_llPT4_lli.has_dyn_sized_stack, 0
	.set _ZL23rocblas_trmm_lTx_kernelILi16ELb1E19rocblas_complex_numIfEPKS1_KS3_KPS1_Ev13rocblas_fill_17rocblas_diagonal_iiT2_lPT3_llSB_llPT4_lli.has_recursion, 0
	.set _ZL23rocblas_trmm_lTx_kernelILi16ELb1E19rocblas_complex_numIfEPKS1_KS3_KPS1_Ev13rocblas_fill_17rocblas_diagonal_iiT2_lPT3_llSB_llPT4_lli.has_indirect_call, 0
	.section	.AMDGPU.csdata,"",@progbits
; Kernel info:
; codeLenInByte = 1452
; TotalNumSgprs: 34
; NumVgprs: 59
; ScratchSize: 0
; MemoryBound: 0
; FloatMode: 240
; IeeeMode: 1
; LDSByteSize: 4096 bytes/workgroup (compile time only)
; SGPRBlocks: 0
; VGPRBlocks: 7
; NumSGPRsForWavesPerEU: 34
; NumVGPRsForWavesPerEU: 59
; Occupancy: 16
; WaveLimiterHint : 1
; COMPUTE_PGM_RSRC2:SCRATCH_EN: 0
; COMPUTE_PGM_RSRC2:USER_SGPR: 6
; COMPUTE_PGM_RSRC2:TRAP_HANDLER: 0
; COMPUTE_PGM_RSRC2:TGID_X_EN: 1
; COMPUTE_PGM_RSRC2:TGID_Y_EN: 0
; COMPUTE_PGM_RSRC2:TGID_Z_EN: 1
; COMPUTE_PGM_RSRC2:TIDIG_COMP_CNT: 1
	.section	.text._ZL23rocblas_trmm_lTx_kernelILi16ELb1E19rocblas_complex_numIfES1_KPKS1_KPS1_Ev13rocblas_fill_17rocblas_diagonal_iiT2_lPT3_llSB_llPT4_lli,"axG",@progbits,_ZL23rocblas_trmm_lTx_kernelILi16ELb1E19rocblas_complex_numIfES1_KPKS1_KPS1_Ev13rocblas_fill_17rocblas_diagonal_iiT2_lPT3_llSB_llPT4_lli,comdat
	.globl	_ZL23rocblas_trmm_lTx_kernelILi16ELb1E19rocblas_complex_numIfES1_KPKS1_KPS1_Ev13rocblas_fill_17rocblas_diagonal_iiT2_lPT3_llSB_llPT4_lli ; -- Begin function _ZL23rocblas_trmm_lTx_kernelILi16ELb1E19rocblas_complex_numIfES1_KPKS1_KPS1_Ev13rocblas_fill_17rocblas_diagonal_iiT2_lPT3_llSB_llPT4_lli
	.p2align	8
	.type	_ZL23rocblas_trmm_lTx_kernelILi16ELb1E19rocblas_complex_numIfES1_KPKS1_KPS1_Ev13rocblas_fill_17rocblas_diagonal_iiT2_lPT3_llSB_llPT4_lli,@function
_ZL23rocblas_trmm_lTx_kernelILi16ELb1E19rocblas_complex_numIfES1_KPKS1_KPS1_Ev13rocblas_fill_17rocblas_diagonal_iiT2_lPT3_llSB_llPT4_lli: ; @_ZL23rocblas_trmm_lTx_kernelILi16ELb1E19rocblas_complex_numIfES1_KPKS1_KPS1_Ev13rocblas_fill_17rocblas_diagonal_iiT2_lPT3_llSB_llPT4_lli
; %bb.0:
	s_load_dwordx2 s[2:3], s[4:5], 0x10
	s_mov_b32 s0, s7
	s_waitcnt lgkmcnt(0)
	v_cmp_neq_f32_e64 s1, s2, 0
	v_cmp_neq_f32_e64 s7, s3, 0
	s_or_b32 s1, s1, s7
	s_andn2_b32 vcc_lo, exec_lo, s1
	s_mov_b32 s1, 0
	s_cbranch_vccnz .LBB173_15
; %bb.1:
	s_load_dwordx16 s[8:23], s[4:5], 0x20
	s_lshl_b64 s[30:31], s[0:1], 3
	s_load_dwordx4 s[24:27], s[4:5], 0x0
	v_lshlrev_b32_e32 v3, 4, v1
	s_mov_b32 s0, s1
	v_mov_b32_e32 v6, s1
	v_mov_b32_e32 v5, s0
	v_lshlrev_b32_e32 v2, 3, v0
	v_add_lshl_u32 v4, v3, v0, 3
	s_waitcnt lgkmcnt(0)
	s_add_u32 s8, s8, s30
	s_addc_u32 s9, s9, s31
	s_add_u32 s14, s14, s30
	s_addc_u32 s15, s15, s31
	s_load_dwordx2 s[28:29], s[8:9], 0x0
	s_add_u32 s8, s20, s30
	s_addc_u32 s9, s21, s31
	s_load_dwordx2 s[14:15], s[14:15], 0x0
	s_load_dwordx2 s[8:9], s[8:9], 0x0
	v_cmp_gt_i32_e64 s0, s26, v1
	v_cmp_gt_i32_e32 vcc_lo, s26, v0
	ds_write2st64_b64 v4, v[5:6], v[5:6] offset1:4
	s_waitcnt lgkmcnt(0)
	s_barrier
	buffer_gl0_inv
	s_and_b32 s0, s0, vcc_lo
	s_and_saveexec_b32 s1, s0
	s_cbranch_execz .LBB173_3
; %bb.2:
	v_mad_u64_u32 v[5:6], null, s10, v1, 0
	v_mad_u64_u32 v[6:7], null, s11, v1, v[6:7]
	s_lshl_b64 s[10:11], s[12:13], 3
	v_lshlrev_b32_e32 v7, 3, v1
	s_add_u32 s0, s28, s10
	s_addc_u32 s7, s29, s11
	v_lshl_add_u32 v7, v0, 7, v7
	v_lshlrev_b64 v[5:6], 3, v[5:6]
	v_add_co_u32 v5, s0, s0, v5
	v_add_co_ci_u32_e64 v6, null, s7, v6, s0
	v_add_co_u32 v5, s0, v5, v2
	v_add_co_ci_u32_e64 v6, null, 0, v6, s0
	flat_load_dwordx2 v[5:6], v[5:6]
	s_waitcnt vmcnt(0) lgkmcnt(0)
	v_xor_b32_e32 v6, 0x80000000, v6
	ds_write_b64 v7, v[5:6]
.LBB173_3:
	s_or_b32 exec_lo, exec_lo, s1
	s_add_i32 s0, s27, -1
	s_ashr_i32 s1, s0, 31
	s_lshr_b32 s1, s1, 28
	s_add_i32 s0, s0, s1
	s_and_b32 s1, s0, -16
	s_ashr_i32 s0, s0, 4
	s_sub_i32 s1, s27, s1
	s_cmp_ge_i32 s6, s0
	s_cselect_b32 s0, s1, 16
	s_lshl_b32 s6, s6, 4
	v_cmp_gt_i32_e64 s0, s0, v1
	s_ashr_i32 s7, s6, 31
	s_and_b32 s0, vcc_lo, s0
	s_and_saveexec_b32 s1, s0
	s_cbranch_execz .LBB173_5
; %bb.4:
	v_mad_u64_u32 v[5:6], null, s16, v1, 0
	s_lshl_b64 s[10:11], s[18:19], 3
	s_mul_i32 s12, s16, s7
	s_mul_hi_u32 s13, s16, s6
	s_add_u32 s14, s14, s10
	s_addc_u32 s15, s15, s11
	s_add_i32 s11, s13, s12
	v_mad_u64_u32 v[6:7], null, s17, v1, v[6:7]
	s_mul_i32 s17, s17, s6
	s_mul_i32 s10, s16, s6
	s_add_i32 s11, s11, s17
	v_add_nc_u32_e32 v7, 0x800, v4
	s_lshl_b64 s[10:11], s[10:11], 3
	s_add_u32 s10, s14, s10
	v_lshlrev_b64 v[5:6], 3, v[5:6]
	s_addc_u32 s11, s15, s11
	v_add_co_u32 v5, vcc_lo, s10, v5
	v_add_co_ci_u32_e64 v6, null, s11, v6, vcc_lo
	v_add_co_u32 v5, vcc_lo, v5, v2
	v_add_co_ci_u32_e64 v6, null, 0, v6, vcc_lo
	flat_load_dwordx2 v[5:6], v[5:6]
	s_waitcnt vmcnt(0) lgkmcnt(0)
	ds_write_b64 v7, v[5:6]
.LBB173_5:
	s_or_b32 exec_lo, exec_lo, s1
	v_cmp_eq_u32_e32 vcc_lo, v1, v0
	s_cmpk_eq_i32 s25, 0x84
	s_cselect_b32 s1, -1, 0
	s_and_b32 s10, vcc_lo, s1
	s_and_saveexec_b32 s1, s10
; %bb.6:
	v_mov_b32_e32 v5, 1.0
	v_mov_b32_e32 v6, 0
	ds_write_b64 v4, v[5:6]
; %bb.7:
	s_or_b32 exec_lo, exec_lo, s1
	s_cmpk_lg_i32 s24, 0x7a
	s_waitcnt lgkmcnt(0)
	s_barrier
	buffer_gl0_inv
	s_cbranch_scc0 .LBB173_9
; %bb.8:
	v_cmp_lt_u32_e32 vcc_lo, v0, v1
	s_and_b32 s1, vcc_lo, exec_lo
	s_cbranch_execz .LBB173_10
	s_branch .LBB173_11
.LBB173_9:
	s_mov_b32 s1, 0
.LBB173_10:
	v_cmp_gt_u32_e32 vcc_lo, v0, v1
	s_andn2_b32 s1, s1, exec_lo
	s_and_b32 s10, vcc_lo, exec_lo
	s_or_b32 s1, s1, s10
.LBB173_11:
	s_and_saveexec_b32 s10, s1
; %bb.12:
	v_mov_b32_e32 v5, 0
	v_mov_b32_e32 v6, v5
	ds_write_b64 v4, v[5:6]
; %bb.13:
	s_or_b32 exec_lo, exec_lo, s10
	s_waitcnt lgkmcnt(0)
	s_barrier
	buffer_gl0_inv
	s_and_saveexec_b32 s1, s0
	s_cbranch_execz .LBB173_15
; %bb.14:
	v_lshlrev_b32_e32 v0, 3, v3
	s_load_dwordx2 s[0:1], s[4:5], 0x60
	s_mul_i32 s4, s22, s7
	ds_read2_b64 v[3:6], v2 offset1:16
	ds_read_b128 v[7:10], v0 offset:2048
	ds_read2_b64 v[11:14], v2 offset0:32 offset1:48
	ds_read_b128 v[15:18], v0 offset:2064
	ds_read2_b64 v[19:22], v2 offset0:64 offset1:80
	ds_read2_b64 v[23:26], v2 offset0:96 offset1:112
	;; [unrolled: 1-line block ×6, first 2 shown]
	ds_read_b128 v[43:46], v0 offset:2080
	ds_read_b128 v[47:50], v0 offset:2096
	s_waitcnt lgkmcnt(0)
	s_lshl_b64 s[0:1], s[0:1], 3
	v_mul_f32_e32 v51, v7, v4
	v_mul_f32_e32 v52, v9, v6
	;; [unrolled: 1-line block ×5, first 2 shown]
	v_fmac_f32_e32 v51, v8, v3
	v_mul_f32_e32 v54, v17, v14
	v_fmac_f32_e32 v52, v10, v5
	v_mul_f32_e32 v12, v16, v12
	v_mul_f32_e32 v14, v18, v14
	v_add_f32_e32 v51, 0, v51
	v_fma_f32 v55, v7, v3, -v4
	v_fma_f32 v56, v9, v5, -v6
	ds_read_b128 v[3:6], v0 offset:2112
	ds_read_b128 v[7:10], v0 offset:2128
	v_fmac_f32_e32 v53, v16, v11
	v_fmac_f32_e32 v54, v18, v13
	v_fma_f32 v57, v15, v11, -v12
	v_fma_f32 v58, v17, v13, -v14
	ds_read_b128 v[11:14], v0 offset:2144
	ds_read_b128 v[15:18], v0 offset:2160
	v_add_f32_e32 v0, v51, v52
	v_mul_f32_e32 v51, v43, v20
	v_mul_f32_e32 v20, v44, v20
	;; [unrolled: 1-line block ×4, first 2 shown]
	v_add_f32_e32 v0, v0, v53
	v_fmac_f32_e32 v51, v44, v19
	v_fma_f32 v19, v43, v19, -v20
	v_add_f32_e32 v20, 0, v55
	v_fmac_f32_e32 v52, v46, v21
	v_add_f32_e32 v0, v0, v54
	v_fma_f32 v21, v45, v21, -v22
	v_mul_f32_e32 v22, v47, v24
	v_add_f32_e32 v20, v20, v56
	v_mul_f32_e32 v43, v49, v26
	v_add_f32_e32 v0, v0, v51
	v_mul_f32_e32 v24, v48, v24
	v_fmac_f32_e32 v22, v48, v23
	v_add_f32_e32 v20, v20, v57
	s_waitcnt lgkmcnt(3)
	v_mul_f32_e32 v44, v3, v28
	v_add_f32_e32 v0, v0, v52
	v_fmac_f32_e32 v43, v50, v25
	v_mul_f32_e32 v45, v5, v30
	v_add_f32_e32 v20, v20, v58
	v_fmac_f32_e32 v44, v4, v27
	v_add_f32_e32 v0, v0, v22
	v_fma_f32 v22, v47, v23, -v24
	v_mul_f32_e32 v4, v4, v28
	v_add_f32_e32 v19, v20, v19
	v_mul_f32_e32 v20, v50, v26
	v_add_f32_e32 v0, v0, v43
	s_waitcnt lgkmcnt(2)
	v_mul_f32_e32 v46, v7, v32
	v_fmac_f32_e32 v45, v6, v29
	v_add_f32_e32 v19, v19, v21
	v_fma_f32 v20, v49, v25, -v20
	v_add_f32_e32 v0, v0, v44
	v_mul_f32_e32 v6, v6, v30
	v_fma_f32 v3, v3, v27, -v4
	v_add_f32_e32 v19, v19, v22
	v_mul_f32_e32 v51, v9, v34
	v_fmac_f32_e32 v46, v8, v31
	v_add_f32_e32 v0, v0, v45
	v_mul_f32_e32 v8, v8, v32
	v_add_f32_e32 v4, v19, v20
	v_fma_f32 v5, v5, v29, -v6
	s_waitcnt lgkmcnt(1)
	v_mul_f32_e32 v53, v11, v36
	v_fmac_f32_e32 v51, v10, v33
	v_add_f32_e32 v0, v0, v46
	v_add_f32_e32 v3, v4, v3
	v_mul_f32_e32 v4, v10, v34
	v_fma_f32 v6, v7, v31, -v8
	v_mul_f32_e32 v52, v13, v38
	v_fmac_f32_e32 v53, v12, v35
	v_add_f32_e32 v3, v3, v5
	v_add_f32_e32 v0, v0, v51
	v_fma_f32 v4, v9, v33, -v4
	v_fmac_f32_e32 v52, v14, v37
	v_mul_f32_e32 v5, v12, v36
	v_add_f32_e32 v3, v3, v6
	v_add_f32_e32 v0, v0, v53
	s_waitcnt lgkmcnt(0)
	v_mul_f32_e32 v6, v15, v40
	v_mul_f32_e32 v8, v14, v38
	v_fma_f32 v5, v11, v35, -v5
	v_add_f32_e32 v7, v3, v4
	v_mad_u64_u32 v[3:4], null, s22, v1, 0
	v_add_f32_e32 v0, v0, v52
	v_fmac_f32_e32 v6, v16, v39
	v_add_f32_e32 v5, v7, v5
	v_fma_f32 v7, v13, v37, -v8
	v_mul_f32_e32 v8, v16, v40
	v_mul_f32_e32 v9, v17, v42
	v_add_f32_e32 v6, v0, v6
	v_mov_b32_e32 v0, v4
	v_add_f32_e32 v4, v5, v7
	v_fma_f32 v5, v15, v39, -v8
	s_add_u32 s5, s8, s0
	s_mul_hi_u32 s0, s22, s6
	v_mad_u64_u32 v[0:1], null, s23, v1, v[0:1]
	v_add_f32_e32 v1, v4, v5
	s_addc_u32 s7, s9, s1
	v_mul_f32_e32 v7, v18, v42
	v_fmac_f32_e32 v9, v18, v41
	s_add_i32 s0, s0, s4
	s_mul_i32 s1, s23, s6
	v_mov_b32_e32 v4, v0
	s_add_i32 s1, s0, s1
	s_mul_i32 s0, s22, s6
	v_fma_f32 v5, v17, v41, -v7
	s_lshl_b64 s[0:1], s[0:1], 3
	v_lshlrev_b64 v[3:4], 3, v[3:4]
	v_add_f32_e32 v6, v6, v9
	s_add_u32 s0, s5, s0
	s_addc_u32 s1, s7, s1
	v_add_f32_e32 v0, v1, v5
	v_add_co_u32 v3, vcc_lo, s0, v3
	v_mul_f32_e32 v1, s2, v6
	v_mul_f32_e32 v5, s3, v6
	v_add_co_ci_u32_e64 v4, null, s1, v4, vcc_lo
	v_add_co_u32 v2, vcc_lo, v3, v2
	v_fmac_f32_e32 v1, s3, v0
	v_fma_f32 v0, s2, v0, -v5
	v_add_co_ci_u32_e64 v3, null, 0, v4, vcc_lo
	flat_store_dwordx2 v[2:3], v[0:1]
.LBB173_15:
	s_endpgm
	.section	.rodata,"a",@progbits
	.p2align	6, 0x0
	.amdhsa_kernel _ZL23rocblas_trmm_lTx_kernelILi16ELb1E19rocblas_complex_numIfES1_KPKS1_KPS1_Ev13rocblas_fill_17rocblas_diagonal_iiT2_lPT3_llSB_llPT4_lli
		.amdhsa_group_segment_fixed_size 4096
		.amdhsa_private_segment_fixed_size 0
		.amdhsa_kernarg_size 108
		.amdhsa_user_sgpr_count 6
		.amdhsa_user_sgpr_private_segment_buffer 1
		.amdhsa_user_sgpr_dispatch_ptr 0
		.amdhsa_user_sgpr_queue_ptr 0
		.amdhsa_user_sgpr_kernarg_segment_ptr 1
		.amdhsa_user_sgpr_dispatch_id 0
		.amdhsa_user_sgpr_flat_scratch_init 0
		.amdhsa_user_sgpr_private_segment_size 0
		.amdhsa_wavefront_size32 1
		.amdhsa_uses_dynamic_stack 0
		.amdhsa_system_sgpr_private_segment_wavefront_offset 0
		.amdhsa_system_sgpr_workgroup_id_x 1
		.amdhsa_system_sgpr_workgroup_id_y 0
		.amdhsa_system_sgpr_workgroup_id_z 1
		.amdhsa_system_sgpr_workgroup_info 0
		.amdhsa_system_vgpr_workitem_id 1
		.amdhsa_next_free_vgpr 59
		.amdhsa_next_free_sgpr 32
		.amdhsa_reserve_vcc 1
		.amdhsa_reserve_flat_scratch 0
		.amdhsa_float_round_mode_32 0
		.amdhsa_float_round_mode_16_64 0
		.amdhsa_float_denorm_mode_32 3
		.amdhsa_float_denorm_mode_16_64 3
		.amdhsa_dx10_clamp 1
		.amdhsa_ieee_mode 1
		.amdhsa_fp16_overflow 0
		.amdhsa_workgroup_processor_mode 1
		.amdhsa_memory_ordered 1
		.amdhsa_forward_progress 1
		.amdhsa_shared_vgpr_count 0
		.amdhsa_exception_fp_ieee_invalid_op 0
		.amdhsa_exception_fp_denorm_src 0
		.amdhsa_exception_fp_ieee_div_zero 0
		.amdhsa_exception_fp_ieee_overflow 0
		.amdhsa_exception_fp_ieee_underflow 0
		.amdhsa_exception_fp_ieee_inexact 0
		.amdhsa_exception_int_div_zero 0
	.end_amdhsa_kernel
	.section	.text._ZL23rocblas_trmm_lTx_kernelILi16ELb1E19rocblas_complex_numIfES1_KPKS1_KPS1_Ev13rocblas_fill_17rocblas_diagonal_iiT2_lPT3_llSB_llPT4_lli,"axG",@progbits,_ZL23rocblas_trmm_lTx_kernelILi16ELb1E19rocblas_complex_numIfES1_KPKS1_KPS1_Ev13rocblas_fill_17rocblas_diagonal_iiT2_lPT3_llSB_llPT4_lli,comdat
.Lfunc_end173:
	.size	_ZL23rocblas_trmm_lTx_kernelILi16ELb1E19rocblas_complex_numIfES1_KPKS1_KPS1_Ev13rocblas_fill_17rocblas_diagonal_iiT2_lPT3_llSB_llPT4_lli, .Lfunc_end173-_ZL23rocblas_trmm_lTx_kernelILi16ELb1E19rocblas_complex_numIfES1_KPKS1_KPS1_Ev13rocblas_fill_17rocblas_diagonal_iiT2_lPT3_llSB_llPT4_lli
                                        ; -- End function
	.set _ZL23rocblas_trmm_lTx_kernelILi16ELb1E19rocblas_complex_numIfES1_KPKS1_KPS1_Ev13rocblas_fill_17rocblas_diagonal_iiT2_lPT3_llSB_llPT4_lli.num_vgpr, 59
	.set _ZL23rocblas_trmm_lTx_kernelILi16ELb1E19rocblas_complex_numIfES1_KPKS1_KPS1_Ev13rocblas_fill_17rocblas_diagonal_iiT2_lPT3_llSB_llPT4_lli.num_agpr, 0
	.set _ZL23rocblas_trmm_lTx_kernelILi16ELb1E19rocblas_complex_numIfES1_KPKS1_KPS1_Ev13rocblas_fill_17rocblas_diagonal_iiT2_lPT3_llSB_llPT4_lli.numbered_sgpr, 32
	.set _ZL23rocblas_trmm_lTx_kernelILi16ELb1E19rocblas_complex_numIfES1_KPKS1_KPS1_Ev13rocblas_fill_17rocblas_diagonal_iiT2_lPT3_llSB_llPT4_lli.num_named_barrier, 0
	.set _ZL23rocblas_trmm_lTx_kernelILi16ELb1E19rocblas_complex_numIfES1_KPKS1_KPS1_Ev13rocblas_fill_17rocblas_diagonal_iiT2_lPT3_llSB_llPT4_lli.private_seg_size, 0
	.set _ZL23rocblas_trmm_lTx_kernelILi16ELb1E19rocblas_complex_numIfES1_KPKS1_KPS1_Ev13rocblas_fill_17rocblas_diagonal_iiT2_lPT3_llSB_llPT4_lli.uses_vcc, 1
	.set _ZL23rocblas_trmm_lTx_kernelILi16ELb1E19rocblas_complex_numIfES1_KPKS1_KPS1_Ev13rocblas_fill_17rocblas_diagonal_iiT2_lPT3_llSB_llPT4_lli.uses_flat_scratch, 0
	.set _ZL23rocblas_trmm_lTx_kernelILi16ELb1E19rocblas_complex_numIfES1_KPKS1_KPS1_Ev13rocblas_fill_17rocblas_diagonal_iiT2_lPT3_llSB_llPT4_lli.has_dyn_sized_stack, 0
	.set _ZL23rocblas_trmm_lTx_kernelILi16ELb1E19rocblas_complex_numIfES1_KPKS1_KPS1_Ev13rocblas_fill_17rocblas_diagonal_iiT2_lPT3_llSB_llPT4_lli.has_recursion, 0
	.set _ZL23rocblas_trmm_lTx_kernelILi16ELb1E19rocblas_complex_numIfES1_KPKS1_KPS1_Ev13rocblas_fill_17rocblas_diagonal_iiT2_lPT3_llSB_llPT4_lli.has_indirect_call, 0
	.section	.AMDGPU.csdata,"",@progbits
; Kernel info:
; codeLenInByte = 1408
; TotalNumSgprs: 34
; NumVgprs: 59
; ScratchSize: 0
; MemoryBound: 0
; FloatMode: 240
; IeeeMode: 1
; LDSByteSize: 4096 bytes/workgroup (compile time only)
; SGPRBlocks: 0
; VGPRBlocks: 7
; NumSGPRsForWavesPerEU: 34
; NumVGPRsForWavesPerEU: 59
; Occupancy: 16
; WaveLimiterHint : 1
; COMPUTE_PGM_RSRC2:SCRATCH_EN: 0
; COMPUTE_PGM_RSRC2:USER_SGPR: 6
; COMPUTE_PGM_RSRC2:TRAP_HANDLER: 0
; COMPUTE_PGM_RSRC2:TGID_X_EN: 1
; COMPUTE_PGM_RSRC2:TGID_Y_EN: 0
; COMPUTE_PGM_RSRC2:TGID_Z_EN: 1
; COMPUTE_PGM_RSRC2:TIDIG_COMP_CNT: 1
	.section	.text._ZL23rocblas_trmm_rNx_kernelILi16E19rocblas_complex_numIfEPKS1_KS3_KPS1_Ev13rocblas_fill_17rocblas_diagonal_iiT1_lPT2_llSB_llPT3_lli,"axG",@progbits,_ZL23rocblas_trmm_rNx_kernelILi16E19rocblas_complex_numIfEPKS1_KS3_KPS1_Ev13rocblas_fill_17rocblas_diagonal_iiT1_lPT2_llSB_llPT3_lli,comdat
	.globl	_ZL23rocblas_trmm_rNx_kernelILi16E19rocblas_complex_numIfEPKS1_KS3_KPS1_Ev13rocblas_fill_17rocblas_diagonal_iiT1_lPT2_llSB_llPT3_lli ; -- Begin function _ZL23rocblas_trmm_rNx_kernelILi16E19rocblas_complex_numIfEPKS1_KS3_KPS1_Ev13rocblas_fill_17rocblas_diagonal_iiT1_lPT2_llSB_llPT3_lli
	.p2align	8
	.type	_ZL23rocblas_trmm_rNx_kernelILi16E19rocblas_complex_numIfEPKS1_KS3_KPS1_Ev13rocblas_fill_17rocblas_diagonal_iiT1_lPT2_llSB_llPT3_lli,@function
_ZL23rocblas_trmm_rNx_kernelILi16E19rocblas_complex_numIfEPKS1_KS3_KPS1_Ev13rocblas_fill_17rocblas_diagonal_iiT1_lPT2_llSB_llPT3_lli: ; @_ZL23rocblas_trmm_rNx_kernelILi16E19rocblas_complex_numIfEPKS1_KS3_KPS1_Ev13rocblas_fill_17rocblas_diagonal_iiT1_lPT2_llSB_llPT3_lli
; %bb.0:
	s_load_dwordx16 s[8:23], s[4:5], 0x10
	s_mov_b32 s29, 0
	s_waitcnt lgkmcnt(0)
	s_mul_i32 s1, s11, s7
	s_mul_hi_u32 s2, s10, s7
	s_mul_i32 s0, s10, s7
	s_add_i32 s1, s2, s1
	s_lshl_b64 s[0:1], s[0:1], 3
	s_add_u32 s0, s8, s0
	s_addc_u32 s1, s9, s1
	s_load_dwordx2 s[24:25], s[0:1], 0x0
	s_waitcnt lgkmcnt(0)
	v_cmp_neq_f32_e64 s0, s24, 0
	v_cmp_neq_f32_e64 s1, s25, 0
	s_or_b32 s0, s0, s1
	s_andn2_b32 vcc_lo, exec_lo, s0
	s_cbranch_vccnz .LBB174_15
; %bb.1:
	s_clause 0x1
	s_load_dwordx4 s[0:3], s[4:5], 0x50
	s_load_dwordx4 s[8:11], s[4:5], 0x0
	s_mov_b32 s28, s7
	v_lshlrev_b32_e32 v3, 4, v1
	s_lshl_b64 s[30:31], s[28:29], 3
	s_mov_b32 s28, s29
	s_add_u32 s18, s18, s30
	s_addc_u32 s19, s19, s31
	v_mov_b32_e32 v5, s28
	v_add_lshl_u32 v4, v3, v0, 3
	v_mov_b32_e32 v6, s29
	v_lshlrev_b32_e32 v2, 3, v0
	s_waitcnt lgkmcnt(0)
	s_add_u32 s0, s0, s30
	s_addc_u32 s1, s1, s31
	s_load_dwordx2 s[26:27], s[18:19], 0x0
	s_load_dwordx2 s[18:19], s[0:1], 0x0
	v_cmp_gt_i32_e32 vcc_lo, s11, v1
	v_cmp_gt_i32_e64 s0, s11, v0
	ds_write2st64_b64 v4, v[5:6], v[5:6] offset1:4
	s_and_b32 s0, vcc_lo, s0
	s_and_saveexec_b32 s1, s0
	s_cbranch_execz .LBB174_3
; %bb.2:
	s_add_u32 s12, s12, s30
	s_addc_u32 s13, s13, s31
	v_mad_u64_u32 v[5:6], null, s14, v1, 0
	s_load_dwordx2 s[12:13], s[12:13], 0x0
	v_mad_u64_u32 v[6:7], null, s15, v1, v[6:7]
	s_lshl_b64 s[14:15], s[16:17], 3
	v_lshlrev_b64 v[5:6], 3, v[5:6]
	s_waitcnt lgkmcnt(0)
	s_add_u32 s0, s12, s14
	s_addc_u32 s7, s13, s15
	v_add_co_u32 v5, s0, s0, v5
	v_add_co_ci_u32_e64 v6, null, s7, v6, s0
	v_add_co_u32 v5, s0, v5, v2
	v_add_co_ci_u32_e64 v6, null, 0, v6, s0
	flat_load_dwordx2 v[5:6], v[5:6]
	s_waitcnt vmcnt(0) lgkmcnt(0)
	ds_write_b64 v4, v[5:6]
.LBB174_3:
	s_or_b32 exec_lo, exec_lo, s1
	s_add_i32 s0, s10, -1
	s_ashr_i32 s1, s0, 31
	s_lshr_b32 s1, s1, 28
	s_add_i32 s0, s0, s1
	s_and_b32 s1, s0, -16
	s_ashr_i32 s0, s0, 4
	s_sub_i32 s1, s10, s1
	s_cmp_ge_i32 s6, s0
	s_cselect_b32 s0, s1, 16
	s_lshl_b32 s6, s6, 4
	v_cmp_gt_i32_e64 s0, s0, v0
	s_ashr_i32 s7, s6, 31
	s_and_b32 s0, vcc_lo, s0
	s_and_saveexec_b32 s1, s0
	s_cbranch_execz .LBB174_5
; %bb.4:
	v_mad_u64_u32 v[5:6], null, s20, v1, 0
	s_lshl_b64 s[10:11], s[22:23], 3
	s_waitcnt lgkmcnt(0)
	s_add_u32 s12, s26, s10
	s_addc_u32 s13, s27, s11
	s_lshl_b64 s[10:11], s[6:7], 3
	s_add_u32 s10, s12, s10
	v_mad_u64_u32 v[6:7], null, s21, v1, v[6:7]
	s_addc_u32 s11, s13, s11
	v_add_nc_u32_e32 v7, 0x800, v4
	v_lshlrev_b64 v[5:6], 3, v[5:6]
	v_add_co_u32 v5, vcc_lo, s10, v5
	v_add_co_ci_u32_e64 v6, null, s11, v6, vcc_lo
	v_add_co_u32 v5, vcc_lo, v5, v2
	v_add_co_ci_u32_e64 v6, null, 0, v6, vcc_lo
	flat_load_dwordx2 v[5:6], v[5:6]
	s_waitcnt vmcnt(0) lgkmcnt(0)
	ds_write_b64 v7, v[5:6]
.LBB174_5:
	s_or_b32 exec_lo, exec_lo, s1
	v_cmp_eq_u32_e32 vcc_lo, v1, v0
	s_cmpk_eq_i32 s9, 0x84
	s_cselect_b32 s1, -1, 0
	s_and_b32 s9, vcc_lo, s1
	s_and_saveexec_b32 s1, s9
; %bb.6:
	v_mov_b32_e32 v5, 1.0
	v_mov_b32_e32 v6, 0
	ds_write_b64 v4, v[5:6]
; %bb.7:
	s_or_b32 exec_lo, exec_lo, s1
	s_cmpk_lg_i32 s8, 0x79
	s_cbranch_scc0 .LBB174_9
; %bb.8:
	v_cmp_lt_u32_e32 vcc_lo, v0, v1
	s_and_b32 s1, vcc_lo, exec_lo
	s_cbranch_execz .LBB174_10
	s_branch .LBB174_11
.LBB174_9:
	s_mov_b32 s1, 0
.LBB174_10:
	v_cmp_gt_u32_e32 vcc_lo, v0, v1
	s_andn2_b32 s1, s1, exec_lo
	s_and_b32 s8, vcc_lo, exec_lo
	s_or_b32 s1, s1, s8
.LBB174_11:
	s_and_saveexec_b32 s8, s1
; %bb.12:
	v_mov_b32_e32 v5, 0
	v_mov_b32_e32 v6, v5
	ds_write_b64 v4, v[5:6]
; %bb.13:
	s_or_b32 exec_lo, exec_lo, s8
	s_waitcnt lgkmcnt(0)
	s_barrier
	buffer_gl0_inv
	s_and_saveexec_b32 s1, s0
	s_cbranch_execz .LBB174_15
; %bb.14:
	v_add_nc_u32_e32 v0, 0x800, v2
	v_lshlrev_b32_e32 v51, 3, v3
	s_load_dwordx2 s[0:1], s[4:5], 0x60
	ds_read2_b64 v[3:6], v0 offset1:16
	ds_read_b128 v[7:10], v51
	ds_read_b128 v[11:14], v51 offset:16
	ds_read2_b64 v[15:18], v0 offset0:32 offset1:48
	ds_read_b128 v[19:22], v51 offset:32
	ds_read_b128 v[23:26], v51 offset:48
	ds_read2_b64 v[27:30], v0 offset0:64 offset1:80
	ds_read2_b64 v[31:34], v0 offset0:96 offset1:112
	ds_read2_b64 v[35:38], v0 offset0:128 offset1:144
	ds_read_b128 v[39:42], v51 offset:64
	ds_read_b128 v[43:46], v51 offset:80
	ds_read2_b64 v[47:50], v0 offset0:160 offset1:176
	s_waitcnt lgkmcnt(0)
	s_lshl_b64 s[0:1], s[0:1], 3
	v_mul_f32_e32 v52, v7, v4
	v_mul_f32_e32 v53, v9, v6
	;; [unrolled: 1-line block ×5, first 2 shown]
	v_fmac_f32_e32 v52, v8, v3
	v_mul_f32_e32 v55, v13, v18
	v_fmac_f32_e32 v53, v10, v5
	v_fma_f32 v56, v7, v3, -v4
	v_mul_f32_e32 v7, v12, v16
	v_mul_f32_e32 v8, v14, v18
	v_add_f32_e32 v16, 0, v52
	v_fma_f32 v57, v9, v5, -v6
	ds_read2_b64 v[3:6], v0 offset0:192 offset1:208
	v_fmac_f32_e32 v54, v12, v15
	v_fmac_f32_e32 v55, v14, v17
	v_fma_f32 v52, v11, v15, -v7
	v_fma_f32 v58, v13, v17, -v8
	ds_read_b128 v[7:10], v51 offset:96
	ds_read_b128 v[11:14], v51 offset:112
	v_add_f32_e32 v51, v16, v53
	ds_read2_b64 v[15:18], v0 offset0:224 offset1:240
	v_mul_f32_e32 v0, v19, v28
	v_mul_f32_e32 v28, v20, v28
	v_mul_f32_e32 v53, v21, v30
	v_add_f32_e32 v51, v51, v54
	v_mul_f32_e32 v30, v22, v30
	v_fmac_f32_e32 v0, v20, v27
	v_add_f32_e32 v20, 0, v56
	v_fma_f32 v19, v19, v27, -v28
	v_add_f32_e32 v28, v51, v55
	v_fmac_f32_e32 v53, v22, v29
	v_mul_f32_e32 v22, v23, v32
	v_add_f32_e32 v20, v20, v57
	v_mul_f32_e32 v27, v25, v34
	v_add_f32_e32 v0, v28, v0
	v_fma_f32 v21, v21, v29, -v30
	v_fmac_f32_e32 v22, v24, v31
	v_add_f32_e32 v20, v20, v52
	v_mul_f32_e32 v29, v39, v36
	v_add_f32_e32 v0, v0, v53
	v_mul_f32_e32 v24, v24, v32
	v_fmac_f32_e32 v27, v26, v33
	v_add_f32_e32 v20, v20, v58
	v_mul_f32_e32 v30, v41, v38
	v_add_f32_e32 v0, v0, v22
	v_fmac_f32_e32 v29, v40, v35
	v_fma_f32 v22, v23, v31, -v24
	v_add_f32_e32 v19, v20, v19
	v_mul_f32_e32 v20, v26, v34
	v_add_f32_e32 v0, v0, v27
	v_mul_f32_e32 v51, v43, v48
	v_fmac_f32_e32 v30, v42, v37
	v_add_f32_e32 v19, v19, v21
	v_mul_f32_e32 v21, v40, v36
	v_fma_f32 v20, v25, v33, -v20
	v_add_f32_e32 v0, v0, v29
	v_mul_f32_e32 v28, v45, v50
	v_add_f32_e32 v19, v19, v22
	v_mul_f32_e32 v22, v42, v38
	v_fmac_f32_e32 v51, v44, v47
	v_fma_f32 v21, v39, v35, -v21
	v_add_f32_e32 v0, v0, v30
	v_add_f32_e32 v19, v19, v20
	s_waitcnt lgkmcnt(2)
	v_mul_f32_e32 v52, v7, v4
	v_mul_f32_e32 v20, v44, v48
	v_fmac_f32_e32 v28, v46, v49
	v_fma_f32 v22, v41, v37, -v22
	v_add_f32_e32 v19, v19, v21
	v_add_f32_e32 v0, v0, v51
	v_mul_f32_e32 v53, v9, v6
	v_mul_f32_e32 v21, v46, v50
	v_fmac_f32_e32 v52, v8, v3
	v_fma_f32 v20, v43, v47, -v20
	v_add_f32_e32 v19, v19, v22
	v_add_f32_e32 v0, v0, v28
	v_mul_f32_e32 v4, v8, v4
	v_fmac_f32_e32 v53, v10, v5
	v_fma_f32 v8, v45, v49, -v21
	v_add_f32_e32 v19, v19, v20
	v_add_f32_e32 v0, v0, v52
	s_waitcnt lgkmcnt(0)
	v_mul_f32_e32 v20, v11, v16
	v_fma_f32 v7, v7, v3, -v4
	v_mad_u64_u32 v[3:4], null, s2, v1, 0
	v_add_f32_e32 v8, v19, v8
	v_add_f32_e32 v0, v0, v53
	v_fmac_f32_e32 v20, v12, v15
	v_mul_f32_e32 v6, v10, v6
	s_add_u32 s2, s18, s0
	v_add_f32_e32 v7, v8, v7
	v_add_f32_e32 v8, v0, v20
	v_mov_b32_e32 v0, v4
	v_fma_f32 v5, v9, v5, -v6
	v_mul_f32_e32 v6, v12, v16
	v_mul_f32_e32 v9, v13, v18
	v_mad_u64_u32 v[0:1], null, s3, v1, v[0:1]
	v_add_f32_e32 v4, v7, v5
	v_fma_f32 v5, v11, v15, -v6
	v_mul_f32_e32 v6, v14, v18
	v_fmac_f32_e32 v9, v14, v17
	s_addc_u32 s3, s19, s1
	s_lshl_b64 s[0:1], s[6:7], 3
	v_add_f32_e32 v1, v4, v5
	v_mov_b32_e32 v4, v0
	v_fma_f32 v5, v13, v17, -v6
	v_add_f32_e32 v6, v8, v9
	s_add_u32 s0, s2, s0
	s_addc_u32 s1, s3, s1
	v_lshlrev_b64 v[3:4], 3, v[3:4]
	v_add_f32_e32 v0, v1, v5
	v_mul_f32_e32 v1, s24, v6
	v_mul_f32_e32 v5, s25, v6
	v_add_co_u32 v3, vcc_lo, s0, v3
	v_add_co_ci_u32_e64 v4, null, s1, v4, vcc_lo
	v_fmac_f32_e32 v1, s25, v0
	v_add_co_u32 v2, vcc_lo, v3, v2
	v_fma_f32 v0, s24, v0, -v5
	v_add_co_ci_u32_e64 v3, null, 0, v4, vcc_lo
	flat_store_dwordx2 v[2:3], v[0:1]
.LBB174_15:
	s_endpgm
	.section	.rodata,"a",@progbits
	.p2align	6, 0x0
	.amdhsa_kernel _ZL23rocblas_trmm_rNx_kernelILi16E19rocblas_complex_numIfEPKS1_KS3_KPS1_Ev13rocblas_fill_17rocblas_diagonal_iiT1_lPT2_llSB_llPT3_lli
		.amdhsa_group_segment_fixed_size 4096
		.amdhsa_private_segment_fixed_size 0
		.amdhsa_kernarg_size 108
		.amdhsa_user_sgpr_count 6
		.amdhsa_user_sgpr_private_segment_buffer 1
		.amdhsa_user_sgpr_dispatch_ptr 0
		.amdhsa_user_sgpr_queue_ptr 0
		.amdhsa_user_sgpr_kernarg_segment_ptr 1
		.amdhsa_user_sgpr_dispatch_id 0
		.amdhsa_user_sgpr_flat_scratch_init 0
		.amdhsa_user_sgpr_private_segment_size 0
		.amdhsa_wavefront_size32 1
		.amdhsa_uses_dynamic_stack 0
		.amdhsa_system_sgpr_private_segment_wavefront_offset 0
		.amdhsa_system_sgpr_workgroup_id_x 1
		.amdhsa_system_sgpr_workgroup_id_y 0
		.amdhsa_system_sgpr_workgroup_id_z 1
		.amdhsa_system_sgpr_workgroup_info 0
		.amdhsa_system_vgpr_workitem_id 1
		.amdhsa_next_free_vgpr 59
		.amdhsa_next_free_sgpr 32
		.amdhsa_reserve_vcc 1
		.amdhsa_reserve_flat_scratch 0
		.amdhsa_float_round_mode_32 0
		.amdhsa_float_round_mode_16_64 0
		.amdhsa_float_denorm_mode_32 3
		.amdhsa_float_denorm_mode_16_64 3
		.amdhsa_dx10_clamp 1
		.amdhsa_ieee_mode 1
		.amdhsa_fp16_overflow 0
		.amdhsa_workgroup_processor_mode 1
		.amdhsa_memory_ordered 1
		.amdhsa_forward_progress 1
		.amdhsa_shared_vgpr_count 0
		.amdhsa_exception_fp_ieee_invalid_op 0
		.amdhsa_exception_fp_denorm_src 0
		.amdhsa_exception_fp_ieee_div_zero 0
		.amdhsa_exception_fp_ieee_overflow 0
		.amdhsa_exception_fp_ieee_underflow 0
		.amdhsa_exception_fp_ieee_inexact 0
		.amdhsa_exception_int_div_zero 0
	.end_amdhsa_kernel
	.section	.text._ZL23rocblas_trmm_rNx_kernelILi16E19rocblas_complex_numIfEPKS1_KS3_KPS1_Ev13rocblas_fill_17rocblas_diagonal_iiT1_lPT2_llSB_llPT3_lli,"axG",@progbits,_ZL23rocblas_trmm_rNx_kernelILi16E19rocblas_complex_numIfEPKS1_KS3_KPS1_Ev13rocblas_fill_17rocblas_diagonal_iiT1_lPT2_llSB_llPT3_lli,comdat
.Lfunc_end174:
	.size	_ZL23rocblas_trmm_rNx_kernelILi16E19rocblas_complex_numIfEPKS1_KS3_KPS1_Ev13rocblas_fill_17rocblas_diagonal_iiT1_lPT2_llSB_llPT3_lli, .Lfunc_end174-_ZL23rocblas_trmm_rNx_kernelILi16E19rocblas_complex_numIfEPKS1_KS3_KPS1_Ev13rocblas_fill_17rocblas_diagonal_iiT1_lPT2_llSB_llPT3_lli
                                        ; -- End function
	.set _ZL23rocblas_trmm_rNx_kernelILi16E19rocblas_complex_numIfEPKS1_KS3_KPS1_Ev13rocblas_fill_17rocblas_diagonal_iiT1_lPT2_llSB_llPT3_lli.num_vgpr, 59
	.set _ZL23rocblas_trmm_rNx_kernelILi16E19rocblas_complex_numIfEPKS1_KS3_KPS1_Ev13rocblas_fill_17rocblas_diagonal_iiT1_lPT2_llSB_llPT3_lli.num_agpr, 0
	.set _ZL23rocblas_trmm_rNx_kernelILi16E19rocblas_complex_numIfEPKS1_KS3_KPS1_Ev13rocblas_fill_17rocblas_diagonal_iiT1_lPT2_llSB_llPT3_lli.numbered_sgpr, 32
	.set _ZL23rocblas_trmm_rNx_kernelILi16E19rocblas_complex_numIfEPKS1_KS3_KPS1_Ev13rocblas_fill_17rocblas_diagonal_iiT1_lPT2_llSB_llPT3_lli.num_named_barrier, 0
	.set _ZL23rocblas_trmm_rNx_kernelILi16E19rocblas_complex_numIfEPKS1_KS3_KPS1_Ev13rocblas_fill_17rocblas_diagonal_iiT1_lPT2_llSB_llPT3_lli.private_seg_size, 0
	.set _ZL23rocblas_trmm_rNx_kernelILi16E19rocblas_complex_numIfEPKS1_KS3_KPS1_Ev13rocblas_fill_17rocblas_diagonal_iiT1_lPT2_llSB_llPT3_lli.uses_vcc, 1
	.set _ZL23rocblas_trmm_rNx_kernelILi16E19rocblas_complex_numIfEPKS1_KS3_KPS1_Ev13rocblas_fill_17rocblas_diagonal_iiT1_lPT2_llSB_llPT3_lli.uses_flat_scratch, 0
	.set _ZL23rocblas_trmm_rNx_kernelILi16E19rocblas_complex_numIfEPKS1_KS3_KPS1_Ev13rocblas_fill_17rocblas_diagonal_iiT1_lPT2_llSB_llPT3_lli.has_dyn_sized_stack, 0
	.set _ZL23rocblas_trmm_rNx_kernelILi16E19rocblas_complex_numIfEPKS1_KS3_KPS1_Ev13rocblas_fill_17rocblas_diagonal_iiT1_lPT2_llSB_llPT3_lli.has_recursion, 0
	.set _ZL23rocblas_trmm_rNx_kernelILi16E19rocblas_complex_numIfEPKS1_KS3_KPS1_Ev13rocblas_fill_17rocblas_diagonal_iiT1_lPT2_llSB_llPT3_lli.has_indirect_call, 0
	.section	.AMDGPU.csdata,"",@progbits
; Kernel info:
; codeLenInByte = 1360
; TotalNumSgprs: 34
; NumVgprs: 59
; ScratchSize: 0
; MemoryBound: 0
; FloatMode: 240
; IeeeMode: 1
; LDSByteSize: 4096 bytes/workgroup (compile time only)
; SGPRBlocks: 0
; VGPRBlocks: 7
; NumSGPRsForWavesPerEU: 34
; NumVGPRsForWavesPerEU: 59
; Occupancy: 16
; WaveLimiterHint : 1
; COMPUTE_PGM_RSRC2:SCRATCH_EN: 0
; COMPUTE_PGM_RSRC2:USER_SGPR: 6
; COMPUTE_PGM_RSRC2:TRAP_HANDLER: 0
; COMPUTE_PGM_RSRC2:TGID_X_EN: 1
; COMPUTE_PGM_RSRC2:TGID_Y_EN: 0
; COMPUTE_PGM_RSRC2:TGID_Z_EN: 1
; COMPUTE_PGM_RSRC2:TIDIG_COMP_CNT: 1
	.section	.text._ZL23rocblas_trmm_rNx_kernelILi16E19rocblas_complex_numIfES1_KPKS1_KPS1_Ev13rocblas_fill_17rocblas_diagonal_iiT1_lPT2_llSB_llPT3_lli,"axG",@progbits,_ZL23rocblas_trmm_rNx_kernelILi16E19rocblas_complex_numIfES1_KPKS1_KPS1_Ev13rocblas_fill_17rocblas_diagonal_iiT1_lPT2_llSB_llPT3_lli,comdat
	.globl	_ZL23rocblas_trmm_rNx_kernelILi16E19rocblas_complex_numIfES1_KPKS1_KPS1_Ev13rocblas_fill_17rocblas_diagonal_iiT1_lPT2_llSB_llPT3_lli ; -- Begin function _ZL23rocblas_trmm_rNx_kernelILi16E19rocblas_complex_numIfES1_KPKS1_KPS1_Ev13rocblas_fill_17rocblas_diagonal_iiT1_lPT2_llSB_llPT3_lli
	.p2align	8
	.type	_ZL23rocblas_trmm_rNx_kernelILi16E19rocblas_complex_numIfES1_KPKS1_KPS1_Ev13rocblas_fill_17rocblas_diagonal_iiT1_lPT2_llSB_llPT3_lli,@function
_ZL23rocblas_trmm_rNx_kernelILi16E19rocblas_complex_numIfES1_KPKS1_KPS1_Ev13rocblas_fill_17rocblas_diagonal_iiT1_lPT2_llSB_llPT3_lli: ; @_ZL23rocblas_trmm_rNx_kernelILi16E19rocblas_complex_numIfES1_KPKS1_KPS1_Ev13rocblas_fill_17rocblas_diagonal_iiT1_lPT2_llSB_llPT3_lli
; %bb.0:
	s_load_dwordx2 s[2:3], s[4:5], 0x10
	s_mov_b32 s29, 0
	s_waitcnt lgkmcnt(0)
	v_cmp_neq_f32_e64 s0, s2, 0
	v_cmp_neq_f32_e64 s1, s3, 0
	s_or_b32 s0, s0, s1
	s_andn2_b32 vcc_lo, exec_lo, s0
	s_cbranch_vccnz .LBB175_15
; %bb.1:
	s_clause 0x1
	s_load_dwordx16 s[8:23], s[4:5], 0x20
	s_load_dwordx4 s[24:27], s[4:5], 0x0
	s_mov_b32 s28, s7
	v_lshlrev_b32_e32 v3, 4, v1
	s_lshl_b64 s[30:31], s[28:29], 3
	s_mov_b32 s28, s29
	v_lshlrev_b32_e32 v2, 3, v0
	v_mov_b32_e32 v5, s28
	v_add_lshl_u32 v4, v3, v0, 3
	v_mov_b32_e32 v6, s29
	s_waitcnt lgkmcnt(0)
	s_add_u32 s0, s14, s30
	s_addc_u32 s1, s15, s31
	s_add_u32 s14, s20, s30
	s_addc_u32 s15, s21, s31
	s_load_dwordx2 s[20:21], s[0:1], 0x0
	s_load_dwordx2 s[14:15], s[14:15], 0x0
	v_cmp_gt_i32_e32 vcc_lo, s27, v1
	v_cmp_gt_i32_e64 s0, s27, v0
	ds_write2st64_b64 v4, v[5:6], v[5:6] offset1:4
	s_and_b32 s0, vcc_lo, s0
	s_and_saveexec_b32 s1, s0
	s_cbranch_execz .LBB175_3
; %bb.2:
	s_add_u32 s8, s8, s30
	s_addc_u32 s9, s9, s31
	v_mad_u64_u32 v[5:6], null, s10, v1, 0
	s_load_dwordx2 s[8:9], s[8:9], 0x0
	v_mad_u64_u32 v[6:7], null, s11, v1, v[6:7]
	s_lshl_b64 s[10:11], s[12:13], 3
	v_lshlrev_b64 v[5:6], 3, v[5:6]
	s_waitcnt lgkmcnt(0)
	s_add_u32 s0, s8, s10
	s_addc_u32 s7, s9, s11
	v_add_co_u32 v5, s0, s0, v5
	v_add_co_ci_u32_e64 v6, null, s7, v6, s0
	v_add_co_u32 v5, s0, v5, v2
	v_add_co_ci_u32_e64 v6, null, 0, v6, s0
	flat_load_dwordx2 v[5:6], v[5:6]
	s_waitcnt vmcnt(0) lgkmcnt(0)
	ds_write_b64 v4, v[5:6]
.LBB175_3:
	s_or_b32 exec_lo, exec_lo, s1
	s_add_i32 s0, s26, -1
	s_ashr_i32 s1, s0, 31
	s_lshr_b32 s1, s1, 28
	s_add_i32 s0, s0, s1
	s_and_b32 s1, s0, -16
	s_ashr_i32 s0, s0, 4
	s_sub_i32 s1, s26, s1
	s_cmp_ge_i32 s6, s0
	s_cselect_b32 s0, s1, 16
	s_lshl_b32 s6, s6, 4
	v_cmp_gt_i32_e64 s0, s0, v0
	s_ashr_i32 s7, s6, 31
	s_and_b32 s0, vcc_lo, s0
	s_and_saveexec_b32 s1, s0
	s_cbranch_execz .LBB175_5
; %bb.4:
	v_mad_u64_u32 v[5:6], null, s16, v1, 0
	s_lshl_b64 s[8:9], s[18:19], 3
	s_waitcnt lgkmcnt(0)
	s_add_u32 s10, s20, s8
	s_addc_u32 s11, s21, s9
	s_lshl_b64 s[8:9], s[6:7], 3
	s_add_u32 s8, s10, s8
	v_mad_u64_u32 v[6:7], null, s17, v1, v[6:7]
	s_addc_u32 s9, s11, s9
	v_add_nc_u32_e32 v7, 0x800, v4
	v_lshlrev_b64 v[5:6], 3, v[5:6]
	v_add_co_u32 v5, vcc_lo, s8, v5
	v_add_co_ci_u32_e64 v6, null, s9, v6, vcc_lo
	v_add_co_u32 v5, vcc_lo, v5, v2
	v_add_co_ci_u32_e64 v6, null, 0, v6, vcc_lo
	flat_load_dwordx2 v[5:6], v[5:6]
	s_waitcnt vmcnt(0) lgkmcnt(0)
	ds_write_b64 v7, v[5:6]
.LBB175_5:
	s_or_b32 exec_lo, exec_lo, s1
	v_cmp_eq_u32_e32 vcc_lo, v1, v0
	s_cmpk_eq_i32 s25, 0x84
	s_cselect_b32 s1, -1, 0
	s_and_b32 s8, vcc_lo, s1
	s_and_saveexec_b32 s1, s8
; %bb.6:
	v_mov_b32_e32 v5, 1.0
	v_mov_b32_e32 v6, 0
	ds_write_b64 v4, v[5:6]
; %bb.7:
	s_or_b32 exec_lo, exec_lo, s1
	s_cmpk_lg_i32 s24, 0x79
	s_cbranch_scc0 .LBB175_9
; %bb.8:
	v_cmp_lt_u32_e32 vcc_lo, v0, v1
	s_and_b32 s1, vcc_lo, exec_lo
	s_cbranch_execz .LBB175_10
	s_branch .LBB175_11
.LBB175_9:
	s_mov_b32 s1, 0
.LBB175_10:
	v_cmp_gt_u32_e32 vcc_lo, v0, v1
	s_andn2_b32 s1, s1, exec_lo
	s_and_b32 s8, vcc_lo, exec_lo
	s_or_b32 s1, s1, s8
.LBB175_11:
	s_and_saveexec_b32 s8, s1
; %bb.12:
	v_mov_b32_e32 v5, 0
	v_mov_b32_e32 v6, v5
	ds_write_b64 v4, v[5:6]
; %bb.13:
	s_or_b32 exec_lo, exec_lo, s8
	s_waitcnt lgkmcnt(0)
	s_barrier
	buffer_gl0_inv
	s_and_saveexec_b32 s1, s0
	s_cbranch_execz .LBB175_15
; %bb.14:
	v_add_nc_u32_e32 v0, 0x800, v2
	v_lshlrev_b32_e32 v51, 3, v3
	s_load_dwordx2 s[0:1], s[4:5], 0x60
	ds_read2_b64 v[3:6], v0 offset1:16
	ds_read_b128 v[7:10], v51
	ds_read_b128 v[11:14], v51 offset:16
	ds_read2_b64 v[15:18], v0 offset0:32 offset1:48
	ds_read_b128 v[19:22], v51 offset:32
	ds_read_b128 v[23:26], v51 offset:48
	ds_read2_b64 v[27:30], v0 offset0:64 offset1:80
	ds_read2_b64 v[31:34], v0 offset0:96 offset1:112
	;; [unrolled: 1-line block ×3, first 2 shown]
	ds_read_b128 v[39:42], v51 offset:64
	ds_read_b128 v[43:46], v51 offset:80
	ds_read2_b64 v[47:50], v0 offset0:160 offset1:176
	s_waitcnt lgkmcnt(0)
	s_lshl_b64 s[0:1], s[0:1], 3
	v_mul_f32_e32 v52, v7, v4
	v_mul_f32_e32 v53, v9, v6
	;; [unrolled: 1-line block ×5, first 2 shown]
	v_fmac_f32_e32 v52, v8, v3
	v_mul_f32_e32 v55, v13, v18
	v_fmac_f32_e32 v53, v10, v5
	v_fma_f32 v56, v7, v3, -v4
	v_mul_f32_e32 v7, v12, v16
	v_mul_f32_e32 v8, v14, v18
	v_add_f32_e32 v16, 0, v52
	v_fma_f32 v57, v9, v5, -v6
	ds_read2_b64 v[3:6], v0 offset0:192 offset1:208
	v_fmac_f32_e32 v54, v12, v15
	v_fmac_f32_e32 v55, v14, v17
	v_fma_f32 v52, v11, v15, -v7
	v_fma_f32 v58, v13, v17, -v8
	ds_read_b128 v[7:10], v51 offset:96
	ds_read_b128 v[11:14], v51 offset:112
	v_add_f32_e32 v51, v16, v53
	ds_read2_b64 v[15:18], v0 offset0:224 offset1:240
	v_mul_f32_e32 v0, v19, v28
	v_mul_f32_e32 v28, v20, v28
	;; [unrolled: 1-line block ×3, first 2 shown]
	v_add_f32_e32 v51, v51, v54
	v_mul_f32_e32 v30, v22, v30
	v_fmac_f32_e32 v0, v20, v27
	v_add_f32_e32 v20, 0, v56
	v_fma_f32 v19, v19, v27, -v28
	v_add_f32_e32 v28, v51, v55
	v_fmac_f32_e32 v53, v22, v29
	v_mul_f32_e32 v22, v23, v32
	v_add_f32_e32 v20, v20, v57
	v_mul_f32_e32 v27, v25, v34
	v_add_f32_e32 v0, v28, v0
	v_fma_f32 v21, v21, v29, -v30
	v_fmac_f32_e32 v22, v24, v31
	v_add_f32_e32 v20, v20, v52
	v_mul_f32_e32 v29, v39, v36
	v_add_f32_e32 v0, v0, v53
	v_mul_f32_e32 v24, v24, v32
	v_fmac_f32_e32 v27, v26, v33
	v_add_f32_e32 v20, v20, v58
	v_mul_f32_e32 v30, v41, v38
	v_add_f32_e32 v0, v0, v22
	v_fmac_f32_e32 v29, v40, v35
	v_fma_f32 v22, v23, v31, -v24
	v_add_f32_e32 v19, v20, v19
	v_mul_f32_e32 v20, v26, v34
	v_add_f32_e32 v0, v0, v27
	v_mul_f32_e32 v51, v43, v48
	v_fmac_f32_e32 v30, v42, v37
	v_add_f32_e32 v19, v19, v21
	v_mul_f32_e32 v21, v40, v36
	v_fma_f32 v20, v25, v33, -v20
	v_add_f32_e32 v0, v0, v29
	v_mul_f32_e32 v28, v45, v50
	v_add_f32_e32 v19, v19, v22
	v_mul_f32_e32 v22, v42, v38
	v_fmac_f32_e32 v51, v44, v47
	v_fma_f32 v21, v39, v35, -v21
	v_add_f32_e32 v0, v0, v30
	v_add_f32_e32 v19, v19, v20
	s_waitcnt lgkmcnt(2)
	v_mul_f32_e32 v52, v7, v4
	v_mul_f32_e32 v20, v44, v48
	v_fmac_f32_e32 v28, v46, v49
	v_fma_f32 v22, v41, v37, -v22
	v_add_f32_e32 v19, v19, v21
	v_add_f32_e32 v0, v0, v51
	v_mul_f32_e32 v53, v9, v6
	v_mul_f32_e32 v21, v46, v50
	v_fmac_f32_e32 v52, v8, v3
	v_fma_f32 v20, v43, v47, -v20
	v_add_f32_e32 v19, v19, v22
	v_add_f32_e32 v0, v0, v28
	v_mul_f32_e32 v4, v8, v4
	v_fmac_f32_e32 v53, v10, v5
	v_fma_f32 v8, v45, v49, -v21
	v_add_f32_e32 v19, v19, v20
	v_add_f32_e32 v0, v0, v52
	s_waitcnt lgkmcnt(0)
	v_mul_f32_e32 v20, v11, v16
	v_fma_f32 v7, v7, v3, -v4
	v_mad_u64_u32 v[3:4], null, s22, v1, 0
	v_add_f32_e32 v8, v19, v8
	v_add_f32_e32 v0, v0, v53
	v_fmac_f32_e32 v20, v12, v15
	v_mul_f32_e32 v6, v10, v6
	s_add_u32 s4, s14, s0
	v_add_f32_e32 v7, v8, v7
	s_addc_u32 s5, s15, s1
	v_add_f32_e32 v8, v0, v20
	v_mov_b32_e32 v0, v4
	v_fma_f32 v5, v9, v5, -v6
	v_mul_f32_e32 v6, v12, v16
	v_mul_f32_e32 v9, v13, v18
	s_lshl_b64 s[0:1], s[6:7], 3
	v_mad_u64_u32 v[0:1], null, s23, v1, v[0:1]
	v_add_f32_e32 v4, v7, v5
	v_fma_f32 v5, v11, v15, -v6
	v_mul_f32_e32 v6, v14, v18
	v_fmac_f32_e32 v9, v14, v17
	s_add_u32 s0, s4, s0
	s_addc_u32 s1, s5, s1
	v_add_f32_e32 v1, v4, v5
	v_mov_b32_e32 v4, v0
	v_fma_f32 v5, v13, v17, -v6
	v_add_f32_e32 v6, v8, v9
	v_lshlrev_b64 v[3:4], 3, v[3:4]
	v_add_f32_e32 v0, v1, v5
	v_mul_f32_e32 v1, s2, v6
	v_mul_f32_e32 v5, s3, v6
	v_add_co_u32 v3, vcc_lo, s0, v3
	v_add_co_ci_u32_e64 v4, null, s1, v4, vcc_lo
	v_fmac_f32_e32 v1, s3, v0
	v_add_co_u32 v2, vcc_lo, v3, v2
	v_fma_f32 v0, s2, v0, -v5
	v_add_co_ci_u32_e64 v3, null, 0, v4, vcc_lo
	flat_store_dwordx2 v[2:3], v[0:1]
.LBB175_15:
	s_endpgm
	.section	.rodata,"a",@progbits
	.p2align	6, 0x0
	.amdhsa_kernel _ZL23rocblas_trmm_rNx_kernelILi16E19rocblas_complex_numIfES1_KPKS1_KPS1_Ev13rocblas_fill_17rocblas_diagonal_iiT1_lPT2_llSB_llPT3_lli
		.amdhsa_group_segment_fixed_size 4096
		.amdhsa_private_segment_fixed_size 0
		.amdhsa_kernarg_size 108
		.amdhsa_user_sgpr_count 6
		.amdhsa_user_sgpr_private_segment_buffer 1
		.amdhsa_user_sgpr_dispatch_ptr 0
		.amdhsa_user_sgpr_queue_ptr 0
		.amdhsa_user_sgpr_kernarg_segment_ptr 1
		.amdhsa_user_sgpr_dispatch_id 0
		.amdhsa_user_sgpr_flat_scratch_init 0
		.amdhsa_user_sgpr_private_segment_size 0
		.amdhsa_wavefront_size32 1
		.amdhsa_uses_dynamic_stack 0
		.amdhsa_system_sgpr_private_segment_wavefront_offset 0
		.amdhsa_system_sgpr_workgroup_id_x 1
		.amdhsa_system_sgpr_workgroup_id_y 0
		.amdhsa_system_sgpr_workgroup_id_z 1
		.amdhsa_system_sgpr_workgroup_info 0
		.amdhsa_system_vgpr_workitem_id 1
		.amdhsa_next_free_vgpr 59
		.amdhsa_next_free_sgpr 32
		.amdhsa_reserve_vcc 1
		.amdhsa_reserve_flat_scratch 0
		.amdhsa_float_round_mode_32 0
		.amdhsa_float_round_mode_16_64 0
		.amdhsa_float_denorm_mode_32 3
		.amdhsa_float_denorm_mode_16_64 3
		.amdhsa_dx10_clamp 1
		.amdhsa_ieee_mode 1
		.amdhsa_fp16_overflow 0
		.amdhsa_workgroup_processor_mode 1
		.amdhsa_memory_ordered 1
		.amdhsa_forward_progress 1
		.amdhsa_shared_vgpr_count 0
		.amdhsa_exception_fp_ieee_invalid_op 0
		.amdhsa_exception_fp_denorm_src 0
		.amdhsa_exception_fp_ieee_div_zero 0
		.amdhsa_exception_fp_ieee_overflow 0
		.amdhsa_exception_fp_ieee_underflow 0
		.amdhsa_exception_fp_ieee_inexact 0
		.amdhsa_exception_int_div_zero 0
	.end_amdhsa_kernel
	.section	.text._ZL23rocblas_trmm_rNx_kernelILi16E19rocblas_complex_numIfES1_KPKS1_KPS1_Ev13rocblas_fill_17rocblas_diagonal_iiT1_lPT2_llSB_llPT3_lli,"axG",@progbits,_ZL23rocblas_trmm_rNx_kernelILi16E19rocblas_complex_numIfES1_KPKS1_KPS1_Ev13rocblas_fill_17rocblas_diagonal_iiT1_lPT2_llSB_llPT3_lli,comdat
.Lfunc_end175:
	.size	_ZL23rocblas_trmm_rNx_kernelILi16E19rocblas_complex_numIfES1_KPKS1_KPS1_Ev13rocblas_fill_17rocblas_diagonal_iiT1_lPT2_llSB_llPT3_lli, .Lfunc_end175-_ZL23rocblas_trmm_rNx_kernelILi16E19rocblas_complex_numIfES1_KPKS1_KPS1_Ev13rocblas_fill_17rocblas_diagonal_iiT1_lPT2_llSB_llPT3_lli
                                        ; -- End function
	.set _ZL23rocblas_trmm_rNx_kernelILi16E19rocblas_complex_numIfES1_KPKS1_KPS1_Ev13rocblas_fill_17rocblas_diagonal_iiT1_lPT2_llSB_llPT3_lli.num_vgpr, 59
	.set _ZL23rocblas_trmm_rNx_kernelILi16E19rocblas_complex_numIfES1_KPKS1_KPS1_Ev13rocblas_fill_17rocblas_diagonal_iiT1_lPT2_llSB_llPT3_lli.num_agpr, 0
	.set _ZL23rocblas_trmm_rNx_kernelILi16E19rocblas_complex_numIfES1_KPKS1_KPS1_Ev13rocblas_fill_17rocblas_diagonal_iiT1_lPT2_llSB_llPT3_lli.numbered_sgpr, 32
	.set _ZL23rocblas_trmm_rNx_kernelILi16E19rocblas_complex_numIfES1_KPKS1_KPS1_Ev13rocblas_fill_17rocblas_diagonal_iiT1_lPT2_llSB_llPT3_lli.num_named_barrier, 0
	.set _ZL23rocblas_trmm_rNx_kernelILi16E19rocblas_complex_numIfES1_KPKS1_KPS1_Ev13rocblas_fill_17rocblas_diagonal_iiT1_lPT2_llSB_llPT3_lli.private_seg_size, 0
	.set _ZL23rocblas_trmm_rNx_kernelILi16E19rocblas_complex_numIfES1_KPKS1_KPS1_Ev13rocblas_fill_17rocblas_diagonal_iiT1_lPT2_llSB_llPT3_lli.uses_vcc, 1
	.set _ZL23rocblas_trmm_rNx_kernelILi16E19rocblas_complex_numIfES1_KPKS1_KPS1_Ev13rocblas_fill_17rocblas_diagonal_iiT1_lPT2_llSB_llPT3_lli.uses_flat_scratch, 0
	.set _ZL23rocblas_trmm_rNx_kernelILi16E19rocblas_complex_numIfES1_KPKS1_KPS1_Ev13rocblas_fill_17rocblas_diagonal_iiT1_lPT2_llSB_llPT3_lli.has_dyn_sized_stack, 0
	.set _ZL23rocblas_trmm_rNx_kernelILi16E19rocblas_complex_numIfES1_KPKS1_KPS1_Ev13rocblas_fill_17rocblas_diagonal_iiT1_lPT2_llSB_llPT3_lli.has_recursion, 0
	.set _ZL23rocblas_trmm_rNx_kernelILi16E19rocblas_complex_numIfES1_KPKS1_KPS1_Ev13rocblas_fill_17rocblas_diagonal_iiT1_lPT2_llSB_llPT3_lli.has_indirect_call, 0
	.section	.AMDGPU.csdata,"",@progbits
; Kernel info:
; codeLenInByte = 1320
; TotalNumSgprs: 34
; NumVgprs: 59
; ScratchSize: 0
; MemoryBound: 0
; FloatMode: 240
; IeeeMode: 1
; LDSByteSize: 4096 bytes/workgroup (compile time only)
; SGPRBlocks: 0
; VGPRBlocks: 7
; NumSGPRsForWavesPerEU: 34
; NumVGPRsForWavesPerEU: 59
; Occupancy: 16
; WaveLimiterHint : 1
; COMPUTE_PGM_RSRC2:SCRATCH_EN: 0
; COMPUTE_PGM_RSRC2:USER_SGPR: 6
; COMPUTE_PGM_RSRC2:TRAP_HANDLER: 0
; COMPUTE_PGM_RSRC2:TGID_X_EN: 1
; COMPUTE_PGM_RSRC2:TGID_Y_EN: 0
; COMPUTE_PGM_RSRC2:TGID_Z_EN: 1
; COMPUTE_PGM_RSRC2:TIDIG_COMP_CNT: 1
	.section	.text._ZL23rocblas_trmm_rTx_kernelILi16ELb0E19rocblas_complex_numIfEPKS1_KS3_KPS1_Ev13rocblas_fill_17rocblas_diagonal_iiT2_lPT3_llSB_llPT4_lli,"axG",@progbits,_ZL23rocblas_trmm_rTx_kernelILi16ELb0E19rocblas_complex_numIfEPKS1_KS3_KPS1_Ev13rocblas_fill_17rocblas_diagonal_iiT2_lPT3_llSB_llPT4_lli,comdat
	.globl	_ZL23rocblas_trmm_rTx_kernelILi16ELb0E19rocblas_complex_numIfEPKS1_KS3_KPS1_Ev13rocblas_fill_17rocblas_diagonal_iiT2_lPT3_llSB_llPT4_lli ; -- Begin function _ZL23rocblas_trmm_rTx_kernelILi16ELb0E19rocblas_complex_numIfEPKS1_KS3_KPS1_Ev13rocblas_fill_17rocblas_diagonal_iiT2_lPT3_llSB_llPT4_lli
	.p2align	8
	.type	_ZL23rocblas_trmm_rTx_kernelILi16ELb0E19rocblas_complex_numIfEPKS1_KS3_KPS1_Ev13rocblas_fill_17rocblas_diagonal_iiT2_lPT3_llSB_llPT4_lli,@function
_ZL23rocblas_trmm_rTx_kernelILi16ELb0E19rocblas_complex_numIfEPKS1_KS3_KPS1_Ev13rocblas_fill_17rocblas_diagonal_iiT2_lPT3_llSB_llPT4_lli: ; @_ZL23rocblas_trmm_rTx_kernelILi16ELb0E19rocblas_complex_numIfEPKS1_KS3_KPS1_Ev13rocblas_fill_17rocblas_diagonal_iiT2_lPT3_llSB_llPT4_lli
; %bb.0:
	s_load_dwordx16 s[8:23], s[4:5], 0x10
	s_mov_b32 s29, 0
	s_waitcnt lgkmcnt(0)
	s_mul_i32 s1, s11, s7
	s_mul_hi_u32 s2, s10, s7
	s_mul_i32 s0, s10, s7
	s_add_i32 s1, s2, s1
	s_lshl_b64 s[0:1], s[0:1], 3
	s_add_u32 s0, s8, s0
	s_addc_u32 s1, s9, s1
	s_load_dwordx2 s[24:25], s[0:1], 0x0
	s_waitcnt lgkmcnt(0)
	v_cmp_neq_f32_e64 s0, s24, 0
	v_cmp_neq_f32_e64 s1, s25, 0
	s_or_b32 s0, s0, s1
	s_andn2_b32 vcc_lo, exec_lo, s0
	s_cbranch_vccnz .LBB176_15
; %bb.1:
	s_clause 0x1
	s_load_dwordx4 s[0:3], s[4:5], 0x50
	s_load_dwordx4 s[8:11], s[4:5], 0x0
	s_mov_b32 s28, s7
	v_lshlrev_b32_e32 v2, 4, v1
	s_lshl_b64 s[30:31], s[28:29], 3
	s_mov_b32 s28, s29
	s_add_u32 s18, s18, s30
	s_addc_u32 s19, s19, s31
	v_mov_b32_e32 v4, s28
	v_add_lshl_u32 v3, v2, v0, 3
	v_mov_b32_e32 v5, s29
	v_lshlrev_b32_e32 v2, 3, v0
	s_waitcnt lgkmcnt(0)
	s_add_u32 s0, s0, s30
	s_addc_u32 s1, s1, s31
	s_load_dwordx2 s[26:27], s[18:19], 0x0
	s_load_dwordx2 s[18:19], s[0:1], 0x0
	v_cmp_gt_i32_e32 vcc_lo, s11, v1
	v_cmp_gt_i32_e64 s0, s11, v0
	ds_write2st64_b64 v3, v[4:5], v[4:5] offset1:4
	s_and_b32 s0, vcc_lo, s0
	s_and_saveexec_b32 s1, s0
	s_cbranch_execz .LBB176_3
; %bb.2:
	s_add_u32 s12, s12, s30
	s_addc_u32 s13, s13, s31
	v_mad_u64_u32 v[4:5], null, s14, v1, 0
	s_load_dwordx2 s[12:13], s[12:13], 0x0
	v_mad_u64_u32 v[5:6], null, s15, v1, v[5:6]
	s_lshl_b64 s[14:15], s[16:17], 3
	v_lshlrev_b64 v[4:5], 3, v[4:5]
	s_waitcnt lgkmcnt(0)
	s_add_u32 s0, s12, s14
	s_addc_u32 s7, s13, s15
	v_add_co_u32 v4, s0, s0, v4
	v_add_co_ci_u32_e64 v5, null, s7, v5, s0
	v_add_co_u32 v4, s0, v4, v2
	v_add_co_ci_u32_e64 v5, null, 0, v5, s0
	flat_load_dwordx2 v[4:5], v[4:5]
	s_waitcnt vmcnt(0) lgkmcnt(0)
	ds_write_b64 v3, v[4:5]
.LBB176_3:
	s_or_b32 exec_lo, exec_lo, s1
	s_add_i32 s0, s10, -1
	s_ashr_i32 s1, s0, 31
	s_lshr_b32 s1, s1, 28
	s_add_i32 s0, s0, s1
	s_and_b32 s1, s0, -16
	s_ashr_i32 s0, s0, 4
	s_sub_i32 s1, s10, s1
	s_cmp_ge_i32 s6, s0
	s_cselect_b32 s0, s1, 16
	s_lshl_b32 s6, s6, 4
	v_cmp_gt_i32_e64 s0, s0, v0
	s_ashr_i32 s7, s6, 31
	s_and_b32 s0, vcc_lo, s0
	s_and_saveexec_b32 s1, s0
	s_cbranch_execz .LBB176_5
; %bb.4:
	v_mad_u64_u32 v[4:5], null, s20, v1, 0
	s_lshl_b64 s[10:11], s[22:23], 3
	s_waitcnt lgkmcnt(0)
	s_add_u32 s12, s26, s10
	s_addc_u32 s13, s27, s11
	s_lshl_b64 s[10:11], s[6:7], 3
	s_add_u32 s10, s12, s10
	v_mad_u64_u32 v[5:6], null, s21, v1, v[5:6]
	s_addc_u32 s11, s13, s11
	v_add_nc_u32_e32 v6, 0x800, v3
	v_lshlrev_b64 v[4:5], 3, v[4:5]
	v_add_co_u32 v4, vcc_lo, s10, v4
	v_add_co_ci_u32_e64 v5, null, s11, v5, vcc_lo
	v_add_co_u32 v4, vcc_lo, v4, v2
	v_add_co_ci_u32_e64 v5, null, 0, v5, vcc_lo
	flat_load_dwordx2 v[4:5], v[4:5]
	s_waitcnt vmcnt(0) lgkmcnt(0)
	ds_write_b64 v6, v[4:5]
.LBB176_5:
	s_or_b32 exec_lo, exec_lo, s1
	v_cmp_eq_u32_e32 vcc_lo, v1, v0
	s_cmpk_eq_i32 s9, 0x84
	s_cselect_b32 s1, -1, 0
	s_and_b32 s9, vcc_lo, s1
	s_and_saveexec_b32 s1, s9
; %bb.6:
	v_mov_b32_e32 v4, 1.0
	v_mov_b32_e32 v5, 0
	ds_write_b64 v3, v[4:5]
; %bb.7:
	s_or_b32 exec_lo, exec_lo, s1
	s_cmpk_lg_i32 s8, 0x79
	s_cbranch_scc0 .LBB176_9
; %bb.8:
	v_cmp_lt_u32_e32 vcc_lo, v0, v1
	s_and_b32 s1, vcc_lo, exec_lo
	s_cbranch_execz .LBB176_10
	s_branch .LBB176_11
.LBB176_9:
	s_mov_b32 s1, 0
.LBB176_10:
	v_cmp_gt_u32_e32 vcc_lo, v0, v1
	s_andn2_b32 s1, s1, exec_lo
	s_and_b32 s8, vcc_lo, exec_lo
	s_or_b32 s1, s1, s8
.LBB176_11:
	s_and_saveexec_b32 s8, s1
; %bb.12:
	v_mov_b32_e32 v4, 0
	v_mov_b32_e32 v5, v4
	ds_write_b64 v3, v[4:5]
; %bb.13:
	s_or_b32 exec_lo, exec_lo, s8
	s_waitcnt lgkmcnt(0)
	s_barrier
	buffer_gl0_inv
	s_and_saveexec_b32 s1, s0
	s_cbranch_execz .LBB176_15
; %bb.14:
	v_lshlrev_b32_e32 v0, 3, v1
	v_add_nc_u32_e32 v55, 0x800, v2
	s_load_dwordx2 s[0:1], s[4:5], 0x60
	ds_read2_b64 v[3:6], v0 offset1:16
	ds_read2_b64 v[7:10], v55 offset1:16
	ds_read2_b64 v[11:14], v0 offset0:32 offset1:48
	ds_read2_b64 v[15:18], v55 offset0:32 offset1:48
	;; [unrolled: 1-line block ×11, first 2 shown]
	s_waitcnt lgkmcnt(0)
	s_lshl_b64 s[0:1], s[0:1], 3
	v_mul_f32_e32 v56, v3, v8
	v_mul_f32_e32 v57, v5, v10
	;; [unrolled: 1-line block ×5, first 2 shown]
	v_fmac_f32_e32 v56, v4, v7
	v_fmac_f32_e32 v57, v6, v9
	v_fma_f32 v58, v3, v7, -v8
	v_mul_f32_e32 v7, v12, v16
	v_mul_f32_e32 v8, v14, v18
	v_fmac_f32_e32 v60, v12, v15
	v_add_f32_e32 v12, 0, v56
	v_mul_f32_e32 v61, v13, v18
	v_fma_f32 v59, v5, v9, -v10
	v_fma_f32 v15, v11, v15, -v7
	;; [unrolled: 1-line block ×3, first 2 shown]
	ds_read2_b64 v[7:10], v0 offset0:224 offset1:240
	v_add_f32_e32 v0, v12, v57
	v_fmac_f32_e32 v61, v14, v17
	v_mul_f32_e32 v17, v19, v24
	v_mul_f32_e32 v24, v20, v24
	;; [unrolled: 1-line block ×3, first 2 shown]
	v_add_f32_e32 v0, v0, v60
	v_mul_f32_e32 v26, v22, v26
	v_fmac_f32_e32 v17, v20, v23
	v_add_f32_e32 v20, 0, v58
	v_fmac_f32_e32 v18, v22, v25
	v_add_f32_e32 v0, v0, v61
	v_mul_f32_e32 v22, v27, v32
	v_fma_f32 v19, v19, v23, -v24
	v_add_f32_e32 v20, v20, v59
	v_mul_f32_e32 v23, v29, v34
	v_add_f32_e32 v0, v0, v17
	v_fmac_f32_e32 v22, v28, v31
	ds_read2_b64 v[3:6], v55 offset0:192 offset1:208
	v_add_f32_e32 v15, v20, v15
	v_mul_f32_e32 v24, v35, v40
	v_add_f32_e32 v0, v0, v18
	v_fmac_f32_e32 v23, v30, v33
	v_fma_f32 v21, v21, v25, -v26
	v_add_f32_e32 v15, v15, v16
	v_mul_f32_e32 v18, v28, v32
	v_add_f32_e32 v0, v0, v22
	v_mul_f32_e32 v25, v37, v42
	v_fmac_f32_e32 v24, v36, v39
	v_add_f32_e32 v15, v15, v19
	v_mul_f32_e32 v19, v30, v34
	v_add_f32_e32 v0, v0, v23
	v_fma_f32 v18, v27, v31, -v18
	ds_read2_b64 v[11:14], v55 offset0:224 offset1:240
	v_add_f32_e32 v15, v15, v21
	v_mul_f32_e32 v26, v43, v48
	v_fmac_f32_e32 v25, v38, v41
	v_add_f32_e32 v0, v0, v24
	v_mul_f32_e32 v21, v36, v40
	v_fma_f32 v19, v29, v33, -v19
	v_add_f32_e32 v15, v15, v18
	v_mul_f32_e32 v17, v45, v50
	v_fmac_f32_e32 v26, v44, v47
	v_add_f32_e32 v0, v0, v25
	v_mul_f32_e32 v18, v38, v42
	v_fma_f32 v21, v35, v39, -v21
	v_add_f32_e32 v15, v15, v19
	s_waitcnt lgkmcnt(1)
	v_mul_f32_e32 v20, v51, v4
	v_fmac_f32_e32 v17, v46, v49
	v_add_f32_e32 v0, v0, v26
	v_mul_f32_e32 v19, v44, v48
	v_fma_f32 v18, v37, v41, -v18
	v_add_f32_e32 v15, v15, v21
	v_mul_f32_e32 v16, v53, v6
	v_fmac_f32_e32 v20, v52, v3
	v_add_f32_e32 v0, v0, v17
	v_fma_f32 v19, v43, v47, -v19
	v_add_f32_e32 v15, v15, v18
	v_mul_f32_e32 v4, v52, v4
	v_mul_f32_e32 v21, v46, v50
	v_fmac_f32_e32 v16, v54, v5
	v_add_f32_e32 v0, v0, v20
	s_waitcnt lgkmcnt(0)
	v_mul_f32_e32 v18, v7, v12
	v_add_f32_e32 v15, v15, v19
	v_fma_f32 v19, v51, v3, -v4
	v_mad_u64_u32 v[3:4], null, s2, v1, 0
	v_fma_f32 v17, v45, v49, -v21
	v_mul_f32_e32 v6, v54, v6
	v_add_f32_e32 v0, v0, v16
	v_fmac_f32_e32 v18, v8, v11
	s_add_u32 s2, s18, s0
	v_add_f32_e32 v15, v15, v17
	v_fma_f32 v5, v53, v5, -v6
	v_mul_f32_e32 v6, v8, v12
	v_add_f32_e32 v8, v0, v18
	v_mov_b32_e32 v0, v4
	v_add_f32_e32 v15, v15, v19
	v_mul_f32_e32 v12, v9, v14
	v_mad_u64_u32 v[0:1], null, s3, v1, v[0:1]
	v_add_f32_e32 v4, v15, v5
	v_fma_f32 v5, v7, v11, -v6
	v_mul_f32_e32 v6, v10, v14
	v_fmac_f32_e32 v12, v10, v13
	s_addc_u32 s3, s19, s1
	s_lshl_b64 s[0:1], s[6:7], 3
	v_add_f32_e32 v1, v4, v5
	v_mov_b32_e32 v4, v0
	v_fma_f32 v5, v9, v13, -v6
	v_add_f32_e32 v6, v8, v12
	s_add_u32 s0, s2, s0
	s_addc_u32 s1, s3, s1
	v_lshlrev_b64 v[3:4], 3, v[3:4]
	v_add_f32_e32 v0, v1, v5
	v_mul_f32_e32 v1, s24, v6
	v_mul_f32_e32 v5, s25, v6
	v_add_co_u32 v3, vcc_lo, s0, v3
	v_add_co_ci_u32_e64 v4, null, s1, v4, vcc_lo
	v_fmac_f32_e32 v1, s25, v0
	v_add_co_u32 v2, vcc_lo, v3, v2
	v_fma_f32 v0, s24, v0, -v5
	v_add_co_ci_u32_e64 v3, null, 0, v4, vcc_lo
	flat_store_dwordx2 v[2:3], v[0:1]
.LBB176_15:
	s_endpgm
	.section	.rodata,"a",@progbits
	.p2align	6, 0x0
	.amdhsa_kernel _ZL23rocblas_trmm_rTx_kernelILi16ELb0E19rocblas_complex_numIfEPKS1_KS3_KPS1_Ev13rocblas_fill_17rocblas_diagonal_iiT2_lPT3_llSB_llPT4_lli
		.amdhsa_group_segment_fixed_size 4096
		.amdhsa_private_segment_fixed_size 0
		.amdhsa_kernarg_size 108
		.amdhsa_user_sgpr_count 6
		.amdhsa_user_sgpr_private_segment_buffer 1
		.amdhsa_user_sgpr_dispatch_ptr 0
		.amdhsa_user_sgpr_queue_ptr 0
		.amdhsa_user_sgpr_kernarg_segment_ptr 1
		.amdhsa_user_sgpr_dispatch_id 0
		.amdhsa_user_sgpr_flat_scratch_init 0
		.amdhsa_user_sgpr_private_segment_size 0
		.amdhsa_wavefront_size32 1
		.amdhsa_uses_dynamic_stack 0
		.amdhsa_system_sgpr_private_segment_wavefront_offset 0
		.amdhsa_system_sgpr_workgroup_id_x 1
		.amdhsa_system_sgpr_workgroup_id_y 0
		.amdhsa_system_sgpr_workgroup_id_z 1
		.amdhsa_system_sgpr_workgroup_info 0
		.amdhsa_system_vgpr_workitem_id 1
		.amdhsa_next_free_vgpr 62
		.amdhsa_next_free_sgpr 32
		.amdhsa_reserve_vcc 1
		.amdhsa_reserve_flat_scratch 0
		.amdhsa_float_round_mode_32 0
		.amdhsa_float_round_mode_16_64 0
		.amdhsa_float_denorm_mode_32 3
		.amdhsa_float_denorm_mode_16_64 3
		.amdhsa_dx10_clamp 1
		.amdhsa_ieee_mode 1
		.amdhsa_fp16_overflow 0
		.amdhsa_workgroup_processor_mode 1
		.amdhsa_memory_ordered 1
		.amdhsa_forward_progress 1
		.amdhsa_shared_vgpr_count 0
		.amdhsa_exception_fp_ieee_invalid_op 0
		.amdhsa_exception_fp_denorm_src 0
		.amdhsa_exception_fp_ieee_div_zero 0
		.amdhsa_exception_fp_ieee_overflow 0
		.amdhsa_exception_fp_ieee_underflow 0
		.amdhsa_exception_fp_ieee_inexact 0
		.amdhsa_exception_int_div_zero 0
	.end_amdhsa_kernel
	.section	.text._ZL23rocblas_trmm_rTx_kernelILi16ELb0E19rocblas_complex_numIfEPKS1_KS3_KPS1_Ev13rocblas_fill_17rocblas_diagonal_iiT2_lPT3_llSB_llPT4_lli,"axG",@progbits,_ZL23rocblas_trmm_rTx_kernelILi16ELb0E19rocblas_complex_numIfEPKS1_KS3_KPS1_Ev13rocblas_fill_17rocblas_diagonal_iiT2_lPT3_llSB_llPT4_lli,comdat
.Lfunc_end176:
	.size	_ZL23rocblas_trmm_rTx_kernelILi16ELb0E19rocblas_complex_numIfEPKS1_KS3_KPS1_Ev13rocblas_fill_17rocblas_diagonal_iiT2_lPT3_llSB_llPT4_lli, .Lfunc_end176-_ZL23rocblas_trmm_rTx_kernelILi16ELb0E19rocblas_complex_numIfEPKS1_KS3_KPS1_Ev13rocblas_fill_17rocblas_diagonal_iiT2_lPT3_llSB_llPT4_lli
                                        ; -- End function
	.set _ZL23rocblas_trmm_rTx_kernelILi16ELb0E19rocblas_complex_numIfEPKS1_KS3_KPS1_Ev13rocblas_fill_17rocblas_diagonal_iiT2_lPT3_llSB_llPT4_lli.num_vgpr, 62
	.set _ZL23rocblas_trmm_rTx_kernelILi16ELb0E19rocblas_complex_numIfEPKS1_KS3_KPS1_Ev13rocblas_fill_17rocblas_diagonal_iiT2_lPT3_llSB_llPT4_lli.num_agpr, 0
	.set _ZL23rocblas_trmm_rTx_kernelILi16ELb0E19rocblas_complex_numIfEPKS1_KS3_KPS1_Ev13rocblas_fill_17rocblas_diagonal_iiT2_lPT3_llSB_llPT4_lli.numbered_sgpr, 32
	.set _ZL23rocblas_trmm_rTx_kernelILi16ELb0E19rocblas_complex_numIfEPKS1_KS3_KPS1_Ev13rocblas_fill_17rocblas_diagonal_iiT2_lPT3_llSB_llPT4_lli.num_named_barrier, 0
	.set _ZL23rocblas_trmm_rTx_kernelILi16ELb0E19rocblas_complex_numIfEPKS1_KS3_KPS1_Ev13rocblas_fill_17rocblas_diagonal_iiT2_lPT3_llSB_llPT4_lli.private_seg_size, 0
	.set _ZL23rocblas_trmm_rTx_kernelILi16ELb0E19rocblas_complex_numIfEPKS1_KS3_KPS1_Ev13rocblas_fill_17rocblas_diagonal_iiT2_lPT3_llSB_llPT4_lli.uses_vcc, 1
	.set _ZL23rocblas_trmm_rTx_kernelILi16ELb0E19rocblas_complex_numIfEPKS1_KS3_KPS1_Ev13rocblas_fill_17rocblas_diagonal_iiT2_lPT3_llSB_llPT4_lli.uses_flat_scratch, 0
	.set _ZL23rocblas_trmm_rTx_kernelILi16ELb0E19rocblas_complex_numIfEPKS1_KS3_KPS1_Ev13rocblas_fill_17rocblas_diagonal_iiT2_lPT3_llSB_llPT4_lli.has_dyn_sized_stack, 0
	.set _ZL23rocblas_trmm_rTx_kernelILi16ELb0E19rocblas_complex_numIfEPKS1_KS3_KPS1_Ev13rocblas_fill_17rocblas_diagonal_iiT2_lPT3_llSB_llPT4_lli.has_recursion, 0
	.set _ZL23rocblas_trmm_rTx_kernelILi16ELb0E19rocblas_complex_numIfEPKS1_KS3_KPS1_Ev13rocblas_fill_17rocblas_diagonal_iiT2_lPT3_llSB_llPT4_lli.has_indirect_call, 0
	.section	.AMDGPU.csdata,"",@progbits
; Kernel info:
; codeLenInByte = 1360
; TotalNumSgprs: 34
; NumVgprs: 62
; ScratchSize: 0
; MemoryBound: 0
; FloatMode: 240
; IeeeMode: 1
; LDSByteSize: 4096 bytes/workgroup (compile time only)
; SGPRBlocks: 0
; VGPRBlocks: 7
; NumSGPRsForWavesPerEU: 34
; NumVGPRsForWavesPerEU: 62
; Occupancy: 16
; WaveLimiterHint : 1
; COMPUTE_PGM_RSRC2:SCRATCH_EN: 0
; COMPUTE_PGM_RSRC2:USER_SGPR: 6
; COMPUTE_PGM_RSRC2:TRAP_HANDLER: 0
; COMPUTE_PGM_RSRC2:TGID_X_EN: 1
; COMPUTE_PGM_RSRC2:TGID_Y_EN: 0
; COMPUTE_PGM_RSRC2:TGID_Z_EN: 1
; COMPUTE_PGM_RSRC2:TIDIG_COMP_CNT: 1
	.section	.text._ZL23rocblas_trmm_rTx_kernelILi16ELb0E19rocblas_complex_numIfES1_KPKS1_KPS1_Ev13rocblas_fill_17rocblas_diagonal_iiT2_lPT3_llSB_llPT4_lli,"axG",@progbits,_ZL23rocblas_trmm_rTx_kernelILi16ELb0E19rocblas_complex_numIfES1_KPKS1_KPS1_Ev13rocblas_fill_17rocblas_diagonal_iiT2_lPT3_llSB_llPT4_lli,comdat
	.globl	_ZL23rocblas_trmm_rTx_kernelILi16ELb0E19rocblas_complex_numIfES1_KPKS1_KPS1_Ev13rocblas_fill_17rocblas_diagonal_iiT2_lPT3_llSB_llPT4_lli ; -- Begin function _ZL23rocblas_trmm_rTx_kernelILi16ELb0E19rocblas_complex_numIfES1_KPKS1_KPS1_Ev13rocblas_fill_17rocblas_diagonal_iiT2_lPT3_llSB_llPT4_lli
	.p2align	8
	.type	_ZL23rocblas_trmm_rTx_kernelILi16ELb0E19rocblas_complex_numIfES1_KPKS1_KPS1_Ev13rocblas_fill_17rocblas_diagonal_iiT2_lPT3_llSB_llPT4_lli,@function
_ZL23rocblas_trmm_rTx_kernelILi16ELb0E19rocblas_complex_numIfES1_KPKS1_KPS1_Ev13rocblas_fill_17rocblas_diagonal_iiT2_lPT3_llSB_llPT4_lli: ; @_ZL23rocblas_trmm_rTx_kernelILi16ELb0E19rocblas_complex_numIfES1_KPKS1_KPS1_Ev13rocblas_fill_17rocblas_diagonal_iiT2_lPT3_llSB_llPT4_lli
; %bb.0:
	s_load_dwordx2 s[2:3], s[4:5], 0x10
	s_mov_b32 s29, 0
	s_waitcnt lgkmcnt(0)
	v_cmp_neq_f32_e64 s0, s2, 0
	v_cmp_neq_f32_e64 s1, s3, 0
	s_or_b32 s0, s0, s1
	s_andn2_b32 vcc_lo, exec_lo, s0
	s_cbranch_vccnz .LBB177_15
; %bb.1:
	s_clause 0x1
	s_load_dwordx16 s[8:23], s[4:5], 0x20
	s_load_dwordx4 s[24:27], s[4:5], 0x0
	s_mov_b32 s28, s7
	v_lshlrev_b32_e32 v2, 4, v1
	s_lshl_b64 s[30:31], s[28:29], 3
	s_mov_b32 s28, s29
	v_mov_b32_e32 v4, s28
	v_add_lshl_u32 v3, v2, v0, 3
	v_mov_b32_e32 v5, s29
	v_lshlrev_b32_e32 v2, 3, v0
	s_waitcnt lgkmcnt(0)
	s_add_u32 s0, s14, s30
	s_addc_u32 s1, s15, s31
	s_add_u32 s14, s20, s30
	s_addc_u32 s15, s21, s31
	s_load_dwordx2 s[20:21], s[0:1], 0x0
	s_load_dwordx2 s[14:15], s[14:15], 0x0
	v_cmp_gt_i32_e32 vcc_lo, s27, v1
	v_cmp_gt_i32_e64 s0, s27, v0
	ds_write2st64_b64 v3, v[4:5], v[4:5] offset1:4
	s_and_b32 s0, vcc_lo, s0
	s_and_saveexec_b32 s1, s0
	s_cbranch_execz .LBB177_3
; %bb.2:
	s_add_u32 s8, s8, s30
	s_addc_u32 s9, s9, s31
	v_mad_u64_u32 v[4:5], null, s10, v1, 0
	s_load_dwordx2 s[8:9], s[8:9], 0x0
	v_mad_u64_u32 v[5:6], null, s11, v1, v[5:6]
	s_lshl_b64 s[10:11], s[12:13], 3
	v_lshlrev_b64 v[4:5], 3, v[4:5]
	s_waitcnt lgkmcnt(0)
	s_add_u32 s0, s8, s10
	s_addc_u32 s7, s9, s11
	v_add_co_u32 v4, s0, s0, v4
	v_add_co_ci_u32_e64 v5, null, s7, v5, s0
	v_add_co_u32 v4, s0, v4, v2
	v_add_co_ci_u32_e64 v5, null, 0, v5, s0
	flat_load_dwordx2 v[4:5], v[4:5]
	s_waitcnt vmcnt(0) lgkmcnt(0)
	ds_write_b64 v3, v[4:5]
.LBB177_3:
	s_or_b32 exec_lo, exec_lo, s1
	s_add_i32 s0, s26, -1
	s_ashr_i32 s1, s0, 31
	s_lshr_b32 s1, s1, 28
	s_add_i32 s0, s0, s1
	s_and_b32 s1, s0, -16
	s_ashr_i32 s0, s0, 4
	s_sub_i32 s1, s26, s1
	s_cmp_ge_i32 s6, s0
	s_cselect_b32 s0, s1, 16
	s_lshl_b32 s6, s6, 4
	v_cmp_gt_i32_e64 s0, s0, v0
	s_ashr_i32 s7, s6, 31
	s_and_b32 s0, vcc_lo, s0
	s_and_saveexec_b32 s1, s0
	s_cbranch_execz .LBB177_5
; %bb.4:
	v_mad_u64_u32 v[4:5], null, s16, v1, 0
	s_lshl_b64 s[8:9], s[18:19], 3
	s_waitcnt lgkmcnt(0)
	s_add_u32 s10, s20, s8
	s_addc_u32 s11, s21, s9
	s_lshl_b64 s[8:9], s[6:7], 3
	s_add_u32 s8, s10, s8
	v_mad_u64_u32 v[5:6], null, s17, v1, v[5:6]
	s_addc_u32 s9, s11, s9
	v_add_nc_u32_e32 v6, 0x800, v3
	v_lshlrev_b64 v[4:5], 3, v[4:5]
	v_add_co_u32 v4, vcc_lo, s8, v4
	v_add_co_ci_u32_e64 v5, null, s9, v5, vcc_lo
	v_add_co_u32 v4, vcc_lo, v4, v2
	v_add_co_ci_u32_e64 v5, null, 0, v5, vcc_lo
	flat_load_dwordx2 v[4:5], v[4:5]
	s_waitcnt vmcnt(0) lgkmcnt(0)
	ds_write_b64 v6, v[4:5]
.LBB177_5:
	s_or_b32 exec_lo, exec_lo, s1
	v_cmp_eq_u32_e32 vcc_lo, v1, v0
	s_cmpk_eq_i32 s25, 0x84
	s_cselect_b32 s1, -1, 0
	s_and_b32 s8, vcc_lo, s1
	s_and_saveexec_b32 s1, s8
; %bb.6:
	v_mov_b32_e32 v4, 1.0
	v_mov_b32_e32 v5, 0
	ds_write_b64 v3, v[4:5]
; %bb.7:
	s_or_b32 exec_lo, exec_lo, s1
	s_cmpk_lg_i32 s24, 0x79
	s_cbranch_scc0 .LBB177_9
; %bb.8:
	v_cmp_lt_u32_e32 vcc_lo, v0, v1
	s_and_b32 s1, vcc_lo, exec_lo
	s_cbranch_execz .LBB177_10
	s_branch .LBB177_11
.LBB177_9:
	s_mov_b32 s1, 0
.LBB177_10:
	v_cmp_gt_u32_e32 vcc_lo, v0, v1
	s_andn2_b32 s1, s1, exec_lo
	s_and_b32 s8, vcc_lo, exec_lo
	s_or_b32 s1, s1, s8
.LBB177_11:
	s_and_saveexec_b32 s8, s1
; %bb.12:
	v_mov_b32_e32 v4, 0
	v_mov_b32_e32 v5, v4
	ds_write_b64 v3, v[4:5]
; %bb.13:
	s_or_b32 exec_lo, exec_lo, s8
	s_waitcnt lgkmcnt(0)
	s_barrier
	buffer_gl0_inv
	s_and_saveexec_b32 s1, s0
	s_cbranch_execz .LBB177_15
; %bb.14:
	v_lshlrev_b32_e32 v0, 3, v1
	v_add_nc_u32_e32 v55, 0x800, v2
	s_load_dwordx2 s[0:1], s[4:5], 0x60
	ds_read2_b64 v[3:6], v0 offset1:16
	ds_read2_b64 v[7:10], v55 offset1:16
	ds_read2_b64 v[11:14], v0 offset0:32 offset1:48
	ds_read2_b64 v[15:18], v55 offset0:32 offset1:48
	;; [unrolled: 1-line block ×11, first 2 shown]
	s_waitcnt lgkmcnt(0)
	s_lshl_b64 s[0:1], s[0:1], 3
	v_mul_f32_e32 v56, v3, v8
	v_mul_f32_e32 v57, v5, v10
	;; [unrolled: 1-line block ×5, first 2 shown]
	v_fmac_f32_e32 v56, v4, v7
	v_fmac_f32_e32 v57, v6, v9
	v_fma_f32 v58, v3, v7, -v8
	v_mul_f32_e32 v7, v12, v16
	v_mul_f32_e32 v8, v14, v18
	v_fmac_f32_e32 v60, v12, v15
	v_add_f32_e32 v12, 0, v56
	v_mul_f32_e32 v61, v13, v18
	v_fma_f32 v59, v5, v9, -v10
	v_fma_f32 v15, v11, v15, -v7
	;; [unrolled: 1-line block ×3, first 2 shown]
	ds_read2_b64 v[7:10], v0 offset0:224 offset1:240
	v_add_f32_e32 v0, v12, v57
	v_fmac_f32_e32 v61, v14, v17
	v_mul_f32_e32 v17, v19, v24
	v_mul_f32_e32 v24, v20, v24
	;; [unrolled: 1-line block ×3, first 2 shown]
	v_add_f32_e32 v0, v0, v60
	v_mul_f32_e32 v26, v22, v26
	v_fmac_f32_e32 v17, v20, v23
	v_add_f32_e32 v20, 0, v58
	v_fmac_f32_e32 v18, v22, v25
	v_add_f32_e32 v0, v0, v61
	v_mul_f32_e32 v22, v27, v32
	v_fma_f32 v19, v19, v23, -v24
	v_add_f32_e32 v20, v20, v59
	v_mul_f32_e32 v23, v29, v34
	v_add_f32_e32 v0, v0, v17
	v_fmac_f32_e32 v22, v28, v31
	ds_read2_b64 v[3:6], v55 offset0:192 offset1:208
	v_add_f32_e32 v15, v20, v15
	v_mul_f32_e32 v24, v35, v40
	v_add_f32_e32 v0, v0, v18
	v_fmac_f32_e32 v23, v30, v33
	v_fma_f32 v21, v21, v25, -v26
	v_add_f32_e32 v15, v15, v16
	v_mul_f32_e32 v18, v28, v32
	v_add_f32_e32 v0, v0, v22
	v_mul_f32_e32 v25, v37, v42
	v_fmac_f32_e32 v24, v36, v39
	v_add_f32_e32 v15, v15, v19
	v_mul_f32_e32 v19, v30, v34
	v_add_f32_e32 v0, v0, v23
	v_fma_f32 v18, v27, v31, -v18
	ds_read2_b64 v[11:14], v55 offset0:224 offset1:240
	v_add_f32_e32 v15, v15, v21
	v_mul_f32_e32 v26, v43, v48
	v_fmac_f32_e32 v25, v38, v41
	v_add_f32_e32 v0, v0, v24
	v_mul_f32_e32 v21, v36, v40
	v_fma_f32 v19, v29, v33, -v19
	v_add_f32_e32 v15, v15, v18
	v_mul_f32_e32 v17, v45, v50
	v_fmac_f32_e32 v26, v44, v47
	v_add_f32_e32 v0, v0, v25
	v_mul_f32_e32 v18, v38, v42
	v_fma_f32 v21, v35, v39, -v21
	v_add_f32_e32 v15, v15, v19
	s_waitcnt lgkmcnt(1)
	v_mul_f32_e32 v20, v51, v4
	v_fmac_f32_e32 v17, v46, v49
	v_add_f32_e32 v0, v0, v26
	v_mul_f32_e32 v19, v44, v48
	v_fma_f32 v18, v37, v41, -v18
	v_add_f32_e32 v15, v15, v21
	v_mul_f32_e32 v16, v53, v6
	v_fmac_f32_e32 v20, v52, v3
	v_add_f32_e32 v0, v0, v17
	v_fma_f32 v19, v43, v47, -v19
	v_add_f32_e32 v15, v15, v18
	v_mul_f32_e32 v4, v52, v4
	v_mul_f32_e32 v21, v46, v50
	v_fmac_f32_e32 v16, v54, v5
	v_add_f32_e32 v0, v0, v20
	s_waitcnt lgkmcnt(0)
	v_mul_f32_e32 v18, v7, v12
	v_add_f32_e32 v15, v15, v19
	v_fma_f32 v19, v51, v3, -v4
	v_mad_u64_u32 v[3:4], null, s22, v1, 0
	v_fma_f32 v17, v45, v49, -v21
	v_mul_f32_e32 v6, v54, v6
	v_add_f32_e32 v0, v0, v16
	v_fmac_f32_e32 v18, v8, v11
	s_add_u32 s4, s14, s0
	v_add_f32_e32 v15, v15, v17
	v_fma_f32 v5, v53, v5, -v6
	v_mul_f32_e32 v6, v8, v12
	v_add_f32_e32 v8, v0, v18
	v_mov_b32_e32 v0, v4
	v_add_f32_e32 v15, v15, v19
	v_mul_f32_e32 v12, v9, v14
	s_addc_u32 s5, s15, s1
	s_lshl_b64 s[0:1], s[6:7], 3
	v_mad_u64_u32 v[0:1], null, s23, v1, v[0:1]
	v_add_f32_e32 v4, v15, v5
	v_fma_f32 v5, v7, v11, -v6
	v_mul_f32_e32 v6, v10, v14
	v_fmac_f32_e32 v12, v10, v13
	s_add_u32 s0, s4, s0
	s_addc_u32 s1, s5, s1
	v_add_f32_e32 v1, v4, v5
	v_mov_b32_e32 v4, v0
	v_fma_f32 v5, v9, v13, -v6
	v_add_f32_e32 v6, v8, v12
	v_lshlrev_b64 v[3:4], 3, v[3:4]
	v_add_f32_e32 v0, v1, v5
	v_mul_f32_e32 v1, s2, v6
	v_mul_f32_e32 v5, s3, v6
	v_add_co_u32 v3, vcc_lo, s0, v3
	v_add_co_ci_u32_e64 v4, null, s1, v4, vcc_lo
	v_fmac_f32_e32 v1, s3, v0
	v_add_co_u32 v2, vcc_lo, v3, v2
	v_fma_f32 v0, s2, v0, -v5
	v_add_co_ci_u32_e64 v3, null, 0, v4, vcc_lo
	flat_store_dwordx2 v[2:3], v[0:1]
.LBB177_15:
	s_endpgm
	.section	.rodata,"a",@progbits
	.p2align	6, 0x0
	.amdhsa_kernel _ZL23rocblas_trmm_rTx_kernelILi16ELb0E19rocblas_complex_numIfES1_KPKS1_KPS1_Ev13rocblas_fill_17rocblas_diagonal_iiT2_lPT3_llSB_llPT4_lli
		.amdhsa_group_segment_fixed_size 4096
		.amdhsa_private_segment_fixed_size 0
		.amdhsa_kernarg_size 108
		.amdhsa_user_sgpr_count 6
		.amdhsa_user_sgpr_private_segment_buffer 1
		.amdhsa_user_sgpr_dispatch_ptr 0
		.amdhsa_user_sgpr_queue_ptr 0
		.amdhsa_user_sgpr_kernarg_segment_ptr 1
		.amdhsa_user_sgpr_dispatch_id 0
		.amdhsa_user_sgpr_flat_scratch_init 0
		.amdhsa_user_sgpr_private_segment_size 0
		.amdhsa_wavefront_size32 1
		.amdhsa_uses_dynamic_stack 0
		.amdhsa_system_sgpr_private_segment_wavefront_offset 0
		.amdhsa_system_sgpr_workgroup_id_x 1
		.amdhsa_system_sgpr_workgroup_id_y 0
		.amdhsa_system_sgpr_workgroup_id_z 1
		.amdhsa_system_sgpr_workgroup_info 0
		.amdhsa_system_vgpr_workitem_id 1
		.amdhsa_next_free_vgpr 62
		.amdhsa_next_free_sgpr 32
		.amdhsa_reserve_vcc 1
		.amdhsa_reserve_flat_scratch 0
		.amdhsa_float_round_mode_32 0
		.amdhsa_float_round_mode_16_64 0
		.amdhsa_float_denorm_mode_32 3
		.amdhsa_float_denorm_mode_16_64 3
		.amdhsa_dx10_clamp 1
		.amdhsa_ieee_mode 1
		.amdhsa_fp16_overflow 0
		.amdhsa_workgroup_processor_mode 1
		.amdhsa_memory_ordered 1
		.amdhsa_forward_progress 1
		.amdhsa_shared_vgpr_count 0
		.amdhsa_exception_fp_ieee_invalid_op 0
		.amdhsa_exception_fp_denorm_src 0
		.amdhsa_exception_fp_ieee_div_zero 0
		.amdhsa_exception_fp_ieee_overflow 0
		.amdhsa_exception_fp_ieee_underflow 0
		.amdhsa_exception_fp_ieee_inexact 0
		.amdhsa_exception_int_div_zero 0
	.end_amdhsa_kernel
	.section	.text._ZL23rocblas_trmm_rTx_kernelILi16ELb0E19rocblas_complex_numIfES1_KPKS1_KPS1_Ev13rocblas_fill_17rocblas_diagonal_iiT2_lPT3_llSB_llPT4_lli,"axG",@progbits,_ZL23rocblas_trmm_rTx_kernelILi16ELb0E19rocblas_complex_numIfES1_KPKS1_KPS1_Ev13rocblas_fill_17rocblas_diagonal_iiT2_lPT3_llSB_llPT4_lli,comdat
.Lfunc_end177:
	.size	_ZL23rocblas_trmm_rTx_kernelILi16ELb0E19rocblas_complex_numIfES1_KPKS1_KPS1_Ev13rocblas_fill_17rocblas_diagonal_iiT2_lPT3_llSB_llPT4_lli, .Lfunc_end177-_ZL23rocblas_trmm_rTx_kernelILi16ELb0E19rocblas_complex_numIfES1_KPKS1_KPS1_Ev13rocblas_fill_17rocblas_diagonal_iiT2_lPT3_llSB_llPT4_lli
                                        ; -- End function
	.set _ZL23rocblas_trmm_rTx_kernelILi16ELb0E19rocblas_complex_numIfES1_KPKS1_KPS1_Ev13rocblas_fill_17rocblas_diagonal_iiT2_lPT3_llSB_llPT4_lli.num_vgpr, 62
	.set _ZL23rocblas_trmm_rTx_kernelILi16ELb0E19rocblas_complex_numIfES1_KPKS1_KPS1_Ev13rocblas_fill_17rocblas_diagonal_iiT2_lPT3_llSB_llPT4_lli.num_agpr, 0
	.set _ZL23rocblas_trmm_rTx_kernelILi16ELb0E19rocblas_complex_numIfES1_KPKS1_KPS1_Ev13rocblas_fill_17rocblas_diagonal_iiT2_lPT3_llSB_llPT4_lli.numbered_sgpr, 32
	.set _ZL23rocblas_trmm_rTx_kernelILi16ELb0E19rocblas_complex_numIfES1_KPKS1_KPS1_Ev13rocblas_fill_17rocblas_diagonal_iiT2_lPT3_llSB_llPT4_lli.num_named_barrier, 0
	.set _ZL23rocblas_trmm_rTx_kernelILi16ELb0E19rocblas_complex_numIfES1_KPKS1_KPS1_Ev13rocblas_fill_17rocblas_diagonal_iiT2_lPT3_llSB_llPT4_lli.private_seg_size, 0
	.set _ZL23rocblas_trmm_rTx_kernelILi16ELb0E19rocblas_complex_numIfES1_KPKS1_KPS1_Ev13rocblas_fill_17rocblas_diagonal_iiT2_lPT3_llSB_llPT4_lli.uses_vcc, 1
	.set _ZL23rocblas_trmm_rTx_kernelILi16ELb0E19rocblas_complex_numIfES1_KPKS1_KPS1_Ev13rocblas_fill_17rocblas_diagonal_iiT2_lPT3_llSB_llPT4_lli.uses_flat_scratch, 0
	.set _ZL23rocblas_trmm_rTx_kernelILi16ELb0E19rocblas_complex_numIfES1_KPKS1_KPS1_Ev13rocblas_fill_17rocblas_diagonal_iiT2_lPT3_llSB_llPT4_lli.has_dyn_sized_stack, 0
	.set _ZL23rocblas_trmm_rTx_kernelILi16ELb0E19rocblas_complex_numIfES1_KPKS1_KPS1_Ev13rocblas_fill_17rocblas_diagonal_iiT2_lPT3_llSB_llPT4_lli.has_recursion, 0
	.set _ZL23rocblas_trmm_rTx_kernelILi16ELb0E19rocblas_complex_numIfES1_KPKS1_KPS1_Ev13rocblas_fill_17rocblas_diagonal_iiT2_lPT3_llSB_llPT4_lli.has_indirect_call, 0
	.section	.AMDGPU.csdata,"",@progbits
; Kernel info:
; codeLenInByte = 1320
; TotalNumSgprs: 34
; NumVgprs: 62
; ScratchSize: 0
; MemoryBound: 0
; FloatMode: 240
; IeeeMode: 1
; LDSByteSize: 4096 bytes/workgroup (compile time only)
; SGPRBlocks: 0
; VGPRBlocks: 7
; NumSGPRsForWavesPerEU: 34
; NumVGPRsForWavesPerEU: 62
; Occupancy: 16
; WaveLimiterHint : 1
; COMPUTE_PGM_RSRC2:SCRATCH_EN: 0
; COMPUTE_PGM_RSRC2:USER_SGPR: 6
; COMPUTE_PGM_RSRC2:TRAP_HANDLER: 0
; COMPUTE_PGM_RSRC2:TGID_X_EN: 1
; COMPUTE_PGM_RSRC2:TGID_Y_EN: 0
; COMPUTE_PGM_RSRC2:TGID_Z_EN: 1
; COMPUTE_PGM_RSRC2:TIDIG_COMP_CNT: 1
	.section	.text._ZL23rocblas_trmm_rTx_kernelILi16ELb1E19rocblas_complex_numIfEPKS1_KS3_KPS1_Ev13rocblas_fill_17rocblas_diagonal_iiT2_lPT3_llSB_llPT4_lli,"axG",@progbits,_ZL23rocblas_trmm_rTx_kernelILi16ELb1E19rocblas_complex_numIfEPKS1_KS3_KPS1_Ev13rocblas_fill_17rocblas_diagonal_iiT2_lPT3_llSB_llPT4_lli,comdat
	.globl	_ZL23rocblas_trmm_rTx_kernelILi16ELb1E19rocblas_complex_numIfEPKS1_KS3_KPS1_Ev13rocblas_fill_17rocblas_diagonal_iiT2_lPT3_llSB_llPT4_lli ; -- Begin function _ZL23rocblas_trmm_rTx_kernelILi16ELb1E19rocblas_complex_numIfEPKS1_KS3_KPS1_Ev13rocblas_fill_17rocblas_diagonal_iiT2_lPT3_llSB_llPT4_lli
	.p2align	8
	.type	_ZL23rocblas_trmm_rTx_kernelILi16ELb1E19rocblas_complex_numIfEPKS1_KS3_KPS1_Ev13rocblas_fill_17rocblas_diagonal_iiT2_lPT3_llSB_llPT4_lli,@function
_ZL23rocblas_trmm_rTx_kernelILi16ELb1E19rocblas_complex_numIfEPKS1_KS3_KPS1_Ev13rocblas_fill_17rocblas_diagonal_iiT2_lPT3_llSB_llPT4_lli: ; @_ZL23rocblas_trmm_rTx_kernelILi16ELb1E19rocblas_complex_numIfEPKS1_KS3_KPS1_Ev13rocblas_fill_17rocblas_diagonal_iiT2_lPT3_llSB_llPT4_lli
; %bb.0:
	s_load_dwordx16 s[8:23], s[4:5], 0x10
	s_mov_b32 s29, 0
	s_waitcnt lgkmcnt(0)
	s_mul_i32 s1, s11, s7
	s_mul_hi_u32 s2, s10, s7
	s_mul_i32 s0, s10, s7
	s_add_i32 s1, s2, s1
	s_lshl_b64 s[0:1], s[0:1], 3
	s_add_u32 s0, s8, s0
	s_addc_u32 s1, s9, s1
	s_load_dwordx2 s[24:25], s[0:1], 0x0
	s_waitcnt lgkmcnt(0)
	v_cmp_neq_f32_e64 s0, s24, 0
	v_cmp_neq_f32_e64 s1, s25, 0
	s_or_b32 s0, s0, s1
	s_andn2_b32 vcc_lo, exec_lo, s0
	s_cbranch_vccnz .LBB178_15
; %bb.1:
	s_clause 0x1
	s_load_dwordx4 s[0:3], s[4:5], 0x50
	s_load_dwordx4 s[8:11], s[4:5], 0x0
	s_mov_b32 s28, s7
	v_lshlrev_b32_e32 v2, 4, v1
	s_lshl_b64 s[30:31], s[28:29], 3
	s_mov_b32 s28, s29
	s_add_u32 s18, s18, s30
	s_addc_u32 s19, s19, s31
	v_mov_b32_e32 v4, s28
	v_add_lshl_u32 v3, v2, v0, 3
	v_mov_b32_e32 v5, s29
	v_lshlrev_b32_e32 v2, 3, v0
	s_waitcnt lgkmcnt(0)
	s_add_u32 s0, s0, s30
	s_addc_u32 s1, s1, s31
	s_load_dwordx2 s[26:27], s[18:19], 0x0
	s_load_dwordx2 s[18:19], s[0:1], 0x0
	v_cmp_gt_i32_e32 vcc_lo, s11, v1
	v_cmp_gt_i32_e64 s0, s11, v0
	ds_write2st64_b64 v3, v[4:5], v[4:5] offset1:4
	s_and_b32 s0, vcc_lo, s0
	s_and_saveexec_b32 s1, s0
	s_cbranch_execz .LBB178_3
; %bb.2:
	s_add_u32 s12, s12, s30
	s_addc_u32 s13, s13, s31
	v_mad_u64_u32 v[4:5], null, s14, v1, 0
	s_load_dwordx2 s[12:13], s[12:13], 0x0
	v_mad_u64_u32 v[5:6], null, s15, v1, v[5:6]
	s_lshl_b64 s[14:15], s[16:17], 3
	v_lshlrev_b64 v[4:5], 3, v[4:5]
	s_waitcnt lgkmcnt(0)
	s_add_u32 s0, s12, s14
	s_addc_u32 s7, s13, s15
	v_add_co_u32 v4, s0, s0, v4
	v_add_co_ci_u32_e64 v5, null, s7, v5, s0
	v_add_co_u32 v4, s0, v4, v2
	v_add_co_ci_u32_e64 v5, null, 0, v5, s0
	flat_load_dwordx2 v[4:5], v[4:5]
	s_waitcnt vmcnt(0) lgkmcnt(0)
	v_xor_b32_e32 v5, 0x80000000, v5
	ds_write_b64 v3, v[4:5]
.LBB178_3:
	s_or_b32 exec_lo, exec_lo, s1
	s_add_i32 s0, s10, -1
	s_ashr_i32 s1, s0, 31
	s_lshr_b32 s1, s1, 28
	s_add_i32 s0, s0, s1
	s_and_b32 s1, s0, -16
	s_ashr_i32 s0, s0, 4
	s_sub_i32 s1, s10, s1
	s_cmp_ge_i32 s6, s0
	s_cselect_b32 s0, s1, 16
	s_lshl_b32 s6, s6, 4
	v_cmp_gt_i32_e64 s0, s0, v0
	s_ashr_i32 s7, s6, 31
	s_and_b32 s0, vcc_lo, s0
	s_and_saveexec_b32 s1, s0
	s_cbranch_execz .LBB178_5
; %bb.4:
	v_mad_u64_u32 v[4:5], null, s20, v1, 0
	s_lshl_b64 s[10:11], s[22:23], 3
	s_waitcnt lgkmcnt(0)
	s_add_u32 s12, s26, s10
	s_addc_u32 s13, s27, s11
	s_lshl_b64 s[10:11], s[6:7], 3
	s_add_u32 s10, s12, s10
	v_mad_u64_u32 v[5:6], null, s21, v1, v[5:6]
	s_addc_u32 s11, s13, s11
	v_add_nc_u32_e32 v6, 0x800, v3
	v_lshlrev_b64 v[4:5], 3, v[4:5]
	v_add_co_u32 v4, vcc_lo, s10, v4
	v_add_co_ci_u32_e64 v5, null, s11, v5, vcc_lo
	v_add_co_u32 v4, vcc_lo, v4, v2
	v_add_co_ci_u32_e64 v5, null, 0, v5, vcc_lo
	flat_load_dwordx2 v[4:5], v[4:5]
	s_waitcnt vmcnt(0) lgkmcnt(0)
	ds_write_b64 v6, v[4:5]
.LBB178_5:
	s_or_b32 exec_lo, exec_lo, s1
	v_cmp_eq_u32_e32 vcc_lo, v1, v0
	s_cmpk_eq_i32 s9, 0x84
	s_cselect_b32 s1, -1, 0
	s_and_b32 s9, vcc_lo, s1
	s_and_saveexec_b32 s1, s9
; %bb.6:
	v_mov_b32_e32 v4, 1.0
	v_mov_b32_e32 v5, 0
	ds_write_b64 v3, v[4:5]
; %bb.7:
	s_or_b32 exec_lo, exec_lo, s1
	s_cmpk_lg_i32 s8, 0x79
	s_cbranch_scc0 .LBB178_9
; %bb.8:
	v_cmp_lt_u32_e32 vcc_lo, v0, v1
	s_and_b32 s1, vcc_lo, exec_lo
	s_cbranch_execz .LBB178_10
	s_branch .LBB178_11
.LBB178_9:
	s_mov_b32 s1, 0
.LBB178_10:
	v_cmp_gt_u32_e32 vcc_lo, v0, v1
	s_andn2_b32 s1, s1, exec_lo
	s_and_b32 s8, vcc_lo, exec_lo
	s_or_b32 s1, s1, s8
.LBB178_11:
	s_and_saveexec_b32 s8, s1
; %bb.12:
	v_mov_b32_e32 v4, 0
	v_mov_b32_e32 v5, v4
	ds_write_b64 v3, v[4:5]
; %bb.13:
	s_or_b32 exec_lo, exec_lo, s8
	s_waitcnt lgkmcnt(0)
	s_barrier
	buffer_gl0_inv
	s_and_saveexec_b32 s1, s0
	s_cbranch_execz .LBB178_15
; %bb.14:
	v_lshlrev_b32_e32 v0, 3, v1
	v_add_nc_u32_e32 v55, 0x800, v2
	s_load_dwordx2 s[0:1], s[4:5], 0x60
	ds_read2_b64 v[3:6], v0 offset1:16
	ds_read2_b64 v[7:10], v55 offset1:16
	ds_read2_b64 v[11:14], v0 offset0:32 offset1:48
	ds_read2_b64 v[15:18], v55 offset0:32 offset1:48
	;; [unrolled: 1-line block ×11, first 2 shown]
	s_waitcnt lgkmcnt(0)
	s_lshl_b64 s[0:1], s[0:1], 3
	v_mul_f32_e32 v56, v3, v8
	v_mul_f32_e32 v57, v5, v10
	;; [unrolled: 1-line block ×5, first 2 shown]
	v_fmac_f32_e32 v56, v4, v7
	v_fmac_f32_e32 v57, v6, v9
	v_fma_f32 v58, v3, v7, -v8
	v_mul_f32_e32 v7, v12, v16
	v_mul_f32_e32 v8, v14, v18
	v_fmac_f32_e32 v60, v12, v15
	v_add_f32_e32 v12, 0, v56
	v_mul_f32_e32 v61, v13, v18
	v_fma_f32 v59, v5, v9, -v10
	v_fma_f32 v15, v11, v15, -v7
	;; [unrolled: 1-line block ×3, first 2 shown]
	ds_read2_b64 v[7:10], v0 offset0:224 offset1:240
	v_add_f32_e32 v0, v12, v57
	v_fmac_f32_e32 v61, v14, v17
	v_mul_f32_e32 v17, v19, v24
	v_mul_f32_e32 v24, v20, v24
	;; [unrolled: 1-line block ×3, first 2 shown]
	v_add_f32_e32 v0, v0, v60
	v_mul_f32_e32 v26, v22, v26
	v_fmac_f32_e32 v17, v20, v23
	v_add_f32_e32 v20, 0, v58
	v_fmac_f32_e32 v18, v22, v25
	v_add_f32_e32 v0, v0, v61
	v_mul_f32_e32 v22, v27, v32
	v_fma_f32 v19, v19, v23, -v24
	v_add_f32_e32 v20, v20, v59
	v_mul_f32_e32 v23, v29, v34
	v_add_f32_e32 v0, v0, v17
	v_fmac_f32_e32 v22, v28, v31
	ds_read2_b64 v[3:6], v55 offset0:192 offset1:208
	v_add_f32_e32 v15, v20, v15
	v_mul_f32_e32 v24, v35, v40
	v_add_f32_e32 v0, v0, v18
	v_fmac_f32_e32 v23, v30, v33
	v_fma_f32 v21, v21, v25, -v26
	v_add_f32_e32 v15, v15, v16
	v_mul_f32_e32 v18, v28, v32
	v_add_f32_e32 v0, v0, v22
	v_mul_f32_e32 v25, v37, v42
	v_fmac_f32_e32 v24, v36, v39
	v_add_f32_e32 v15, v15, v19
	v_mul_f32_e32 v19, v30, v34
	v_add_f32_e32 v0, v0, v23
	v_fma_f32 v18, v27, v31, -v18
	ds_read2_b64 v[11:14], v55 offset0:224 offset1:240
	v_add_f32_e32 v15, v15, v21
	v_mul_f32_e32 v26, v43, v48
	v_fmac_f32_e32 v25, v38, v41
	v_add_f32_e32 v0, v0, v24
	v_mul_f32_e32 v21, v36, v40
	v_fma_f32 v19, v29, v33, -v19
	v_add_f32_e32 v15, v15, v18
	v_mul_f32_e32 v17, v45, v50
	v_fmac_f32_e32 v26, v44, v47
	v_add_f32_e32 v0, v0, v25
	v_mul_f32_e32 v18, v38, v42
	v_fma_f32 v21, v35, v39, -v21
	v_add_f32_e32 v15, v15, v19
	s_waitcnt lgkmcnt(1)
	v_mul_f32_e32 v20, v51, v4
	v_fmac_f32_e32 v17, v46, v49
	v_add_f32_e32 v0, v0, v26
	v_mul_f32_e32 v19, v44, v48
	v_fma_f32 v18, v37, v41, -v18
	v_add_f32_e32 v15, v15, v21
	v_mul_f32_e32 v16, v53, v6
	v_fmac_f32_e32 v20, v52, v3
	v_add_f32_e32 v0, v0, v17
	v_fma_f32 v19, v43, v47, -v19
	v_add_f32_e32 v15, v15, v18
	v_mul_f32_e32 v4, v52, v4
	v_mul_f32_e32 v21, v46, v50
	v_fmac_f32_e32 v16, v54, v5
	v_add_f32_e32 v0, v0, v20
	s_waitcnt lgkmcnt(0)
	v_mul_f32_e32 v18, v7, v12
	v_add_f32_e32 v15, v15, v19
	v_fma_f32 v19, v51, v3, -v4
	v_mad_u64_u32 v[3:4], null, s2, v1, 0
	v_fma_f32 v17, v45, v49, -v21
	v_mul_f32_e32 v6, v54, v6
	v_add_f32_e32 v0, v0, v16
	v_fmac_f32_e32 v18, v8, v11
	s_add_u32 s2, s18, s0
	v_add_f32_e32 v15, v15, v17
	v_fma_f32 v5, v53, v5, -v6
	v_mul_f32_e32 v6, v8, v12
	v_add_f32_e32 v8, v0, v18
	v_mov_b32_e32 v0, v4
	v_add_f32_e32 v15, v15, v19
	v_mul_f32_e32 v12, v9, v14
	v_mad_u64_u32 v[0:1], null, s3, v1, v[0:1]
	v_add_f32_e32 v4, v15, v5
	v_fma_f32 v5, v7, v11, -v6
	v_mul_f32_e32 v6, v10, v14
	v_fmac_f32_e32 v12, v10, v13
	s_addc_u32 s3, s19, s1
	s_lshl_b64 s[0:1], s[6:7], 3
	v_add_f32_e32 v1, v4, v5
	v_mov_b32_e32 v4, v0
	v_fma_f32 v5, v9, v13, -v6
	v_add_f32_e32 v6, v8, v12
	s_add_u32 s0, s2, s0
	s_addc_u32 s1, s3, s1
	v_lshlrev_b64 v[3:4], 3, v[3:4]
	v_add_f32_e32 v0, v1, v5
	v_mul_f32_e32 v1, s24, v6
	v_mul_f32_e32 v5, s25, v6
	v_add_co_u32 v3, vcc_lo, s0, v3
	v_add_co_ci_u32_e64 v4, null, s1, v4, vcc_lo
	v_fmac_f32_e32 v1, s25, v0
	v_add_co_u32 v2, vcc_lo, v3, v2
	v_fma_f32 v0, s24, v0, -v5
	v_add_co_ci_u32_e64 v3, null, 0, v4, vcc_lo
	flat_store_dwordx2 v[2:3], v[0:1]
.LBB178_15:
	s_endpgm
	.section	.rodata,"a",@progbits
	.p2align	6, 0x0
	.amdhsa_kernel _ZL23rocblas_trmm_rTx_kernelILi16ELb1E19rocblas_complex_numIfEPKS1_KS3_KPS1_Ev13rocblas_fill_17rocblas_diagonal_iiT2_lPT3_llSB_llPT4_lli
		.amdhsa_group_segment_fixed_size 4096
		.amdhsa_private_segment_fixed_size 0
		.amdhsa_kernarg_size 108
		.amdhsa_user_sgpr_count 6
		.amdhsa_user_sgpr_private_segment_buffer 1
		.amdhsa_user_sgpr_dispatch_ptr 0
		.amdhsa_user_sgpr_queue_ptr 0
		.amdhsa_user_sgpr_kernarg_segment_ptr 1
		.amdhsa_user_sgpr_dispatch_id 0
		.amdhsa_user_sgpr_flat_scratch_init 0
		.amdhsa_user_sgpr_private_segment_size 0
		.amdhsa_wavefront_size32 1
		.amdhsa_uses_dynamic_stack 0
		.amdhsa_system_sgpr_private_segment_wavefront_offset 0
		.amdhsa_system_sgpr_workgroup_id_x 1
		.amdhsa_system_sgpr_workgroup_id_y 0
		.amdhsa_system_sgpr_workgroup_id_z 1
		.amdhsa_system_sgpr_workgroup_info 0
		.amdhsa_system_vgpr_workitem_id 1
		.amdhsa_next_free_vgpr 62
		.amdhsa_next_free_sgpr 32
		.amdhsa_reserve_vcc 1
		.amdhsa_reserve_flat_scratch 0
		.amdhsa_float_round_mode_32 0
		.amdhsa_float_round_mode_16_64 0
		.amdhsa_float_denorm_mode_32 3
		.amdhsa_float_denorm_mode_16_64 3
		.amdhsa_dx10_clamp 1
		.amdhsa_ieee_mode 1
		.amdhsa_fp16_overflow 0
		.amdhsa_workgroup_processor_mode 1
		.amdhsa_memory_ordered 1
		.amdhsa_forward_progress 1
		.amdhsa_shared_vgpr_count 0
		.amdhsa_exception_fp_ieee_invalid_op 0
		.amdhsa_exception_fp_denorm_src 0
		.amdhsa_exception_fp_ieee_div_zero 0
		.amdhsa_exception_fp_ieee_overflow 0
		.amdhsa_exception_fp_ieee_underflow 0
		.amdhsa_exception_fp_ieee_inexact 0
		.amdhsa_exception_int_div_zero 0
	.end_amdhsa_kernel
	.section	.text._ZL23rocblas_trmm_rTx_kernelILi16ELb1E19rocblas_complex_numIfEPKS1_KS3_KPS1_Ev13rocblas_fill_17rocblas_diagonal_iiT2_lPT3_llSB_llPT4_lli,"axG",@progbits,_ZL23rocblas_trmm_rTx_kernelILi16ELb1E19rocblas_complex_numIfEPKS1_KS3_KPS1_Ev13rocblas_fill_17rocblas_diagonal_iiT2_lPT3_llSB_llPT4_lli,comdat
.Lfunc_end178:
	.size	_ZL23rocblas_trmm_rTx_kernelILi16ELb1E19rocblas_complex_numIfEPKS1_KS3_KPS1_Ev13rocblas_fill_17rocblas_diagonal_iiT2_lPT3_llSB_llPT4_lli, .Lfunc_end178-_ZL23rocblas_trmm_rTx_kernelILi16ELb1E19rocblas_complex_numIfEPKS1_KS3_KPS1_Ev13rocblas_fill_17rocblas_diagonal_iiT2_lPT3_llSB_llPT4_lli
                                        ; -- End function
	.set _ZL23rocblas_trmm_rTx_kernelILi16ELb1E19rocblas_complex_numIfEPKS1_KS3_KPS1_Ev13rocblas_fill_17rocblas_diagonal_iiT2_lPT3_llSB_llPT4_lli.num_vgpr, 62
	.set _ZL23rocblas_trmm_rTx_kernelILi16ELb1E19rocblas_complex_numIfEPKS1_KS3_KPS1_Ev13rocblas_fill_17rocblas_diagonal_iiT2_lPT3_llSB_llPT4_lli.num_agpr, 0
	.set _ZL23rocblas_trmm_rTx_kernelILi16ELb1E19rocblas_complex_numIfEPKS1_KS3_KPS1_Ev13rocblas_fill_17rocblas_diagonal_iiT2_lPT3_llSB_llPT4_lli.numbered_sgpr, 32
	.set _ZL23rocblas_trmm_rTx_kernelILi16ELb1E19rocblas_complex_numIfEPKS1_KS3_KPS1_Ev13rocblas_fill_17rocblas_diagonal_iiT2_lPT3_llSB_llPT4_lli.num_named_barrier, 0
	.set _ZL23rocblas_trmm_rTx_kernelILi16ELb1E19rocblas_complex_numIfEPKS1_KS3_KPS1_Ev13rocblas_fill_17rocblas_diagonal_iiT2_lPT3_llSB_llPT4_lli.private_seg_size, 0
	.set _ZL23rocblas_trmm_rTx_kernelILi16ELb1E19rocblas_complex_numIfEPKS1_KS3_KPS1_Ev13rocblas_fill_17rocblas_diagonal_iiT2_lPT3_llSB_llPT4_lli.uses_vcc, 1
	.set _ZL23rocblas_trmm_rTx_kernelILi16ELb1E19rocblas_complex_numIfEPKS1_KS3_KPS1_Ev13rocblas_fill_17rocblas_diagonal_iiT2_lPT3_llSB_llPT4_lli.uses_flat_scratch, 0
	.set _ZL23rocblas_trmm_rTx_kernelILi16ELb1E19rocblas_complex_numIfEPKS1_KS3_KPS1_Ev13rocblas_fill_17rocblas_diagonal_iiT2_lPT3_llSB_llPT4_lli.has_dyn_sized_stack, 0
	.set _ZL23rocblas_trmm_rTx_kernelILi16ELb1E19rocblas_complex_numIfEPKS1_KS3_KPS1_Ev13rocblas_fill_17rocblas_diagonal_iiT2_lPT3_llSB_llPT4_lli.has_recursion, 0
	.set _ZL23rocblas_trmm_rTx_kernelILi16ELb1E19rocblas_complex_numIfEPKS1_KS3_KPS1_Ev13rocblas_fill_17rocblas_diagonal_iiT2_lPT3_llSB_llPT4_lli.has_indirect_call, 0
	.section	.AMDGPU.csdata,"",@progbits
; Kernel info:
; codeLenInByte = 1368
; TotalNumSgprs: 34
; NumVgprs: 62
; ScratchSize: 0
; MemoryBound: 0
; FloatMode: 240
; IeeeMode: 1
; LDSByteSize: 4096 bytes/workgroup (compile time only)
; SGPRBlocks: 0
; VGPRBlocks: 7
; NumSGPRsForWavesPerEU: 34
; NumVGPRsForWavesPerEU: 62
; Occupancy: 16
; WaveLimiterHint : 1
; COMPUTE_PGM_RSRC2:SCRATCH_EN: 0
; COMPUTE_PGM_RSRC2:USER_SGPR: 6
; COMPUTE_PGM_RSRC2:TRAP_HANDLER: 0
; COMPUTE_PGM_RSRC2:TGID_X_EN: 1
; COMPUTE_PGM_RSRC2:TGID_Y_EN: 0
; COMPUTE_PGM_RSRC2:TGID_Z_EN: 1
; COMPUTE_PGM_RSRC2:TIDIG_COMP_CNT: 1
	.section	.text._ZL23rocblas_trmm_rTx_kernelILi16ELb1E19rocblas_complex_numIfES1_KPKS1_KPS1_Ev13rocblas_fill_17rocblas_diagonal_iiT2_lPT3_llSB_llPT4_lli,"axG",@progbits,_ZL23rocblas_trmm_rTx_kernelILi16ELb1E19rocblas_complex_numIfES1_KPKS1_KPS1_Ev13rocblas_fill_17rocblas_diagonal_iiT2_lPT3_llSB_llPT4_lli,comdat
	.globl	_ZL23rocblas_trmm_rTx_kernelILi16ELb1E19rocblas_complex_numIfES1_KPKS1_KPS1_Ev13rocblas_fill_17rocblas_diagonal_iiT2_lPT3_llSB_llPT4_lli ; -- Begin function _ZL23rocblas_trmm_rTx_kernelILi16ELb1E19rocblas_complex_numIfES1_KPKS1_KPS1_Ev13rocblas_fill_17rocblas_diagonal_iiT2_lPT3_llSB_llPT4_lli
	.p2align	8
	.type	_ZL23rocblas_trmm_rTx_kernelILi16ELb1E19rocblas_complex_numIfES1_KPKS1_KPS1_Ev13rocblas_fill_17rocblas_diagonal_iiT2_lPT3_llSB_llPT4_lli,@function
_ZL23rocblas_trmm_rTx_kernelILi16ELb1E19rocblas_complex_numIfES1_KPKS1_KPS1_Ev13rocblas_fill_17rocblas_diagonal_iiT2_lPT3_llSB_llPT4_lli: ; @_ZL23rocblas_trmm_rTx_kernelILi16ELb1E19rocblas_complex_numIfES1_KPKS1_KPS1_Ev13rocblas_fill_17rocblas_diagonal_iiT2_lPT3_llSB_llPT4_lli
; %bb.0:
	s_load_dwordx2 s[2:3], s[4:5], 0x10
	s_mov_b32 s29, 0
	s_waitcnt lgkmcnt(0)
	v_cmp_neq_f32_e64 s0, s2, 0
	v_cmp_neq_f32_e64 s1, s3, 0
	s_or_b32 s0, s0, s1
	s_andn2_b32 vcc_lo, exec_lo, s0
	s_cbranch_vccnz .LBB179_15
; %bb.1:
	s_clause 0x1
	s_load_dwordx16 s[8:23], s[4:5], 0x20
	s_load_dwordx4 s[24:27], s[4:5], 0x0
	s_mov_b32 s28, s7
	v_lshlrev_b32_e32 v2, 4, v1
	s_lshl_b64 s[30:31], s[28:29], 3
	s_mov_b32 s28, s29
	v_mov_b32_e32 v4, s28
	v_add_lshl_u32 v3, v2, v0, 3
	v_mov_b32_e32 v5, s29
	v_lshlrev_b32_e32 v2, 3, v0
	s_waitcnt lgkmcnt(0)
	s_add_u32 s0, s14, s30
	s_addc_u32 s1, s15, s31
	s_add_u32 s14, s20, s30
	s_addc_u32 s15, s21, s31
	s_load_dwordx2 s[20:21], s[0:1], 0x0
	s_load_dwordx2 s[14:15], s[14:15], 0x0
	v_cmp_gt_i32_e32 vcc_lo, s27, v1
	v_cmp_gt_i32_e64 s0, s27, v0
	ds_write2st64_b64 v3, v[4:5], v[4:5] offset1:4
	s_and_b32 s0, vcc_lo, s0
	s_and_saveexec_b32 s1, s0
	s_cbranch_execz .LBB179_3
; %bb.2:
	s_add_u32 s8, s8, s30
	s_addc_u32 s9, s9, s31
	v_mad_u64_u32 v[4:5], null, s10, v1, 0
	s_load_dwordx2 s[8:9], s[8:9], 0x0
	v_mad_u64_u32 v[5:6], null, s11, v1, v[5:6]
	s_lshl_b64 s[10:11], s[12:13], 3
	v_lshlrev_b64 v[4:5], 3, v[4:5]
	s_waitcnt lgkmcnt(0)
	s_add_u32 s0, s8, s10
	s_addc_u32 s7, s9, s11
	v_add_co_u32 v4, s0, s0, v4
	v_add_co_ci_u32_e64 v5, null, s7, v5, s0
	v_add_co_u32 v4, s0, v4, v2
	v_add_co_ci_u32_e64 v5, null, 0, v5, s0
	flat_load_dwordx2 v[4:5], v[4:5]
	s_waitcnt vmcnt(0) lgkmcnt(0)
	v_xor_b32_e32 v5, 0x80000000, v5
	ds_write_b64 v3, v[4:5]
.LBB179_3:
	s_or_b32 exec_lo, exec_lo, s1
	s_add_i32 s0, s26, -1
	s_ashr_i32 s1, s0, 31
	s_lshr_b32 s1, s1, 28
	s_add_i32 s0, s0, s1
	s_and_b32 s1, s0, -16
	s_ashr_i32 s0, s0, 4
	s_sub_i32 s1, s26, s1
	s_cmp_ge_i32 s6, s0
	s_cselect_b32 s0, s1, 16
	s_lshl_b32 s6, s6, 4
	v_cmp_gt_i32_e64 s0, s0, v0
	s_ashr_i32 s7, s6, 31
	s_and_b32 s0, vcc_lo, s0
	s_and_saveexec_b32 s1, s0
	s_cbranch_execz .LBB179_5
; %bb.4:
	v_mad_u64_u32 v[4:5], null, s16, v1, 0
	s_lshl_b64 s[8:9], s[18:19], 3
	s_waitcnt lgkmcnt(0)
	s_add_u32 s10, s20, s8
	s_addc_u32 s11, s21, s9
	s_lshl_b64 s[8:9], s[6:7], 3
	s_add_u32 s8, s10, s8
	v_mad_u64_u32 v[5:6], null, s17, v1, v[5:6]
	s_addc_u32 s9, s11, s9
	v_add_nc_u32_e32 v6, 0x800, v3
	v_lshlrev_b64 v[4:5], 3, v[4:5]
	v_add_co_u32 v4, vcc_lo, s8, v4
	v_add_co_ci_u32_e64 v5, null, s9, v5, vcc_lo
	v_add_co_u32 v4, vcc_lo, v4, v2
	v_add_co_ci_u32_e64 v5, null, 0, v5, vcc_lo
	flat_load_dwordx2 v[4:5], v[4:5]
	s_waitcnt vmcnt(0) lgkmcnt(0)
	ds_write_b64 v6, v[4:5]
.LBB179_5:
	s_or_b32 exec_lo, exec_lo, s1
	v_cmp_eq_u32_e32 vcc_lo, v1, v0
	s_cmpk_eq_i32 s25, 0x84
	s_cselect_b32 s1, -1, 0
	s_and_b32 s8, vcc_lo, s1
	s_and_saveexec_b32 s1, s8
; %bb.6:
	v_mov_b32_e32 v4, 1.0
	v_mov_b32_e32 v5, 0
	ds_write_b64 v3, v[4:5]
; %bb.7:
	s_or_b32 exec_lo, exec_lo, s1
	s_cmpk_lg_i32 s24, 0x79
	s_cbranch_scc0 .LBB179_9
; %bb.8:
	v_cmp_lt_u32_e32 vcc_lo, v0, v1
	s_and_b32 s1, vcc_lo, exec_lo
	s_cbranch_execz .LBB179_10
	s_branch .LBB179_11
.LBB179_9:
	s_mov_b32 s1, 0
.LBB179_10:
	v_cmp_gt_u32_e32 vcc_lo, v0, v1
	s_andn2_b32 s1, s1, exec_lo
	s_and_b32 s8, vcc_lo, exec_lo
	s_or_b32 s1, s1, s8
.LBB179_11:
	s_and_saveexec_b32 s8, s1
; %bb.12:
	v_mov_b32_e32 v4, 0
	v_mov_b32_e32 v5, v4
	ds_write_b64 v3, v[4:5]
; %bb.13:
	s_or_b32 exec_lo, exec_lo, s8
	s_waitcnt lgkmcnt(0)
	s_barrier
	buffer_gl0_inv
	s_and_saveexec_b32 s1, s0
	s_cbranch_execz .LBB179_15
; %bb.14:
	v_lshlrev_b32_e32 v0, 3, v1
	v_add_nc_u32_e32 v55, 0x800, v2
	s_load_dwordx2 s[0:1], s[4:5], 0x60
	ds_read2_b64 v[3:6], v0 offset1:16
	ds_read2_b64 v[7:10], v55 offset1:16
	ds_read2_b64 v[11:14], v0 offset0:32 offset1:48
	ds_read2_b64 v[15:18], v55 offset0:32 offset1:48
	;; [unrolled: 1-line block ×11, first 2 shown]
	s_waitcnt lgkmcnt(0)
	s_lshl_b64 s[0:1], s[0:1], 3
	v_mul_f32_e32 v56, v3, v8
	v_mul_f32_e32 v57, v5, v10
	;; [unrolled: 1-line block ×5, first 2 shown]
	v_fmac_f32_e32 v56, v4, v7
	v_fmac_f32_e32 v57, v6, v9
	v_fma_f32 v58, v3, v7, -v8
	v_mul_f32_e32 v7, v12, v16
	v_mul_f32_e32 v8, v14, v18
	v_fmac_f32_e32 v60, v12, v15
	v_add_f32_e32 v12, 0, v56
	v_mul_f32_e32 v61, v13, v18
	v_fma_f32 v59, v5, v9, -v10
	v_fma_f32 v15, v11, v15, -v7
	;; [unrolled: 1-line block ×3, first 2 shown]
	ds_read2_b64 v[7:10], v0 offset0:224 offset1:240
	v_add_f32_e32 v0, v12, v57
	v_fmac_f32_e32 v61, v14, v17
	v_mul_f32_e32 v17, v19, v24
	v_mul_f32_e32 v24, v20, v24
	;; [unrolled: 1-line block ×3, first 2 shown]
	v_add_f32_e32 v0, v0, v60
	v_mul_f32_e32 v26, v22, v26
	v_fmac_f32_e32 v17, v20, v23
	v_add_f32_e32 v20, 0, v58
	v_fmac_f32_e32 v18, v22, v25
	v_add_f32_e32 v0, v0, v61
	v_mul_f32_e32 v22, v27, v32
	v_fma_f32 v19, v19, v23, -v24
	v_add_f32_e32 v20, v20, v59
	v_mul_f32_e32 v23, v29, v34
	v_add_f32_e32 v0, v0, v17
	v_fmac_f32_e32 v22, v28, v31
	ds_read2_b64 v[3:6], v55 offset0:192 offset1:208
	v_add_f32_e32 v15, v20, v15
	v_mul_f32_e32 v24, v35, v40
	v_add_f32_e32 v0, v0, v18
	v_fmac_f32_e32 v23, v30, v33
	v_fma_f32 v21, v21, v25, -v26
	v_add_f32_e32 v15, v15, v16
	v_mul_f32_e32 v18, v28, v32
	v_add_f32_e32 v0, v0, v22
	v_mul_f32_e32 v25, v37, v42
	v_fmac_f32_e32 v24, v36, v39
	v_add_f32_e32 v15, v15, v19
	v_mul_f32_e32 v19, v30, v34
	v_add_f32_e32 v0, v0, v23
	v_fma_f32 v18, v27, v31, -v18
	ds_read2_b64 v[11:14], v55 offset0:224 offset1:240
	v_add_f32_e32 v15, v15, v21
	v_mul_f32_e32 v26, v43, v48
	v_fmac_f32_e32 v25, v38, v41
	v_add_f32_e32 v0, v0, v24
	v_mul_f32_e32 v21, v36, v40
	v_fma_f32 v19, v29, v33, -v19
	v_add_f32_e32 v15, v15, v18
	v_mul_f32_e32 v17, v45, v50
	v_fmac_f32_e32 v26, v44, v47
	v_add_f32_e32 v0, v0, v25
	v_mul_f32_e32 v18, v38, v42
	v_fma_f32 v21, v35, v39, -v21
	v_add_f32_e32 v15, v15, v19
	s_waitcnt lgkmcnt(1)
	v_mul_f32_e32 v20, v51, v4
	v_fmac_f32_e32 v17, v46, v49
	v_add_f32_e32 v0, v0, v26
	v_mul_f32_e32 v19, v44, v48
	v_fma_f32 v18, v37, v41, -v18
	v_add_f32_e32 v15, v15, v21
	v_mul_f32_e32 v16, v53, v6
	v_fmac_f32_e32 v20, v52, v3
	v_add_f32_e32 v0, v0, v17
	v_fma_f32 v19, v43, v47, -v19
	v_add_f32_e32 v15, v15, v18
	v_mul_f32_e32 v4, v52, v4
	v_mul_f32_e32 v21, v46, v50
	v_fmac_f32_e32 v16, v54, v5
	v_add_f32_e32 v0, v0, v20
	s_waitcnt lgkmcnt(0)
	v_mul_f32_e32 v18, v7, v12
	v_add_f32_e32 v15, v15, v19
	v_fma_f32 v19, v51, v3, -v4
	v_mad_u64_u32 v[3:4], null, s22, v1, 0
	v_fma_f32 v17, v45, v49, -v21
	v_mul_f32_e32 v6, v54, v6
	v_add_f32_e32 v0, v0, v16
	v_fmac_f32_e32 v18, v8, v11
	s_add_u32 s4, s14, s0
	v_add_f32_e32 v15, v15, v17
	v_fma_f32 v5, v53, v5, -v6
	v_mul_f32_e32 v6, v8, v12
	v_add_f32_e32 v8, v0, v18
	v_mov_b32_e32 v0, v4
	v_add_f32_e32 v15, v15, v19
	v_mul_f32_e32 v12, v9, v14
	s_addc_u32 s5, s15, s1
	s_lshl_b64 s[0:1], s[6:7], 3
	v_mad_u64_u32 v[0:1], null, s23, v1, v[0:1]
	v_add_f32_e32 v4, v15, v5
	v_fma_f32 v5, v7, v11, -v6
	v_mul_f32_e32 v6, v10, v14
	v_fmac_f32_e32 v12, v10, v13
	s_add_u32 s0, s4, s0
	s_addc_u32 s1, s5, s1
	v_add_f32_e32 v1, v4, v5
	v_mov_b32_e32 v4, v0
	v_fma_f32 v5, v9, v13, -v6
	v_add_f32_e32 v6, v8, v12
	v_lshlrev_b64 v[3:4], 3, v[3:4]
	v_add_f32_e32 v0, v1, v5
	v_mul_f32_e32 v1, s2, v6
	v_mul_f32_e32 v5, s3, v6
	v_add_co_u32 v3, vcc_lo, s0, v3
	v_add_co_ci_u32_e64 v4, null, s1, v4, vcc_lo
	v_fmac_f32_e32 v1, s3, v0
	v_add_co_u32 v2, vcc_lo, v3, v2
	v_fma_f32 v0, s2, v0, -v5
	v_add_co_ci_u32_e64 v3, null, 0, v4, vcc_lo
	flat_store_dwordx2 v[2:3], v[0:1]
.LBB179_15:
	s_endpgm
	.section	.rodata,"a",@progbits
	.p2align	6, 0x0
	.amdhsa_kernel _ZL23rocblas_trmm_rTx_kernelILi16ELb1E19rocblas_complex_numIfES1_KPKS1_KPS1_Ev13rocblas_fill_17rocblas_diagonal_iiT2_lPT3_llSB_llPT4_lli
		.amdhsa_group_segment_fixed_size 4096
		.amdhsa_private_segment_fixed_size 0
		.amdhsa_kernarg_size 108
		.amdhsa_user_sgpr_count 6
		.amdhsa_user_sgpr_private_segment_buffer 1
		.amdhsa_user_sgpr_dispatch_ptr 0
		.amdhsa_user_sgpr_queue_ptr 0
		.amdhsa_user_sgpr_kernarg_segment_ptr 1
		.amdhsa_user_sgpr_dispatch_id 0
		.amdhsa_user_sgpr_flat_scratch_init 0
		.amdhsa_user_sgpr_private_segment_size 0
		.amdhsa_wavefront_size32 1
		.amdhsa_uses_dynamic_stack 0
		.amdhsa_system_sgpr_private_segment_wavefront_offset 0
		.amdhsa_system_sgpr_workgroup_id_x 1
		.amdhsa_system_sgpr_workgroup_id_y 0
		.amdhsa_system_sgpr_workgroup_id_z 1
		.amdhsa_system_sgpr_workgroup_info 0
		.amdhsa_system_vgpr_workitem_id 1
		.amdhsa_next_free_vgpr 62
		.amdhsa_next_free_sgpr 32
		.amdhsa_reserve_vcc 1
		.amdhsa_reserve_flat_scratch 0
		.amdhsa_float_round_mode_32 0
		.amdhsa_float_round_mode_16_64 0
		.amdhsa_float_denorm_mode_32 3
		.amdhsa_float_denorm_mode_16_64 3
		.amdhsa_dx10_clamp 1
		.amdhsa_ieee_mode 1
		.amdhsa_fp16_overflow 0
		.amdhsa_workgroup_processor_mode 1
		.amdhsa_memory_ordered 1
		.amdhsa_forward_progress 1
		.amdhsa_shared_vgpr_count 0
		.amdhsa_exception_fp_ieee_invalid_op 0
		.amdhsa_exception_fp_denorm_src 0
		.amdhsa_exception_fp_ieee_div_zero 0
		.amdhsa_exception_fp_ieee_overflow 0
		.amdhsa_exception_fp_ieee_underflow 0
		.amdhsa_exception_fp_ieee_inexact 0
		.amdhsa_exception_int_div_zero 0
	.end_amdhsa_kernel
	.section	.text._ZL23rocblas_trmm_rTx_kernelILi16ELb1E19rocblas_complex_numIfES1_KPKS1_KPS1_Ev13rocblas_fill_17rocblas_diagonal_iiT2_lPT3_llSB_llPT4_lli,"axG",@progbits,_ZL23rocblas_trmm_rTx_kernelILi16ELb1E19rocblas_complex_numIfES1_KPKS1_KPS1_Ev13rocblas_fill_17rocblas_diagonal_iiT2_lPT3_llSB_llPT4_lli,comdat
.Lfunc_end179:
	.size	_ZL23rocblas_trmm_rTx_kernelILi16ELb1E19rocblas_complex_numIfES1_KPKS1_KPS1_Ev13rocblas_fill_17rocblas_diagonal_iiT2_lPT3_llSB_llPT4_lli, .Lfunc_end179-_ZL23rocblas_trmm_rTx_kernelILi16ELb1E19rocblas_complex_numIfES1_KPKS1_KPS1_Ev13rocblas_fill_17rocblas_diagonal_iiT2_lPT3_llSB_llPT4_lli
                                        ; -- End function
	.set _ZL23rocblas_trmm_rTx_kernelILi16ELb1E19rocblas_complex_numIfES1_KPKS1_KPS1_Ev13rocblas_fill_17rocblas_diagonal_iiT2_lPT3_llSB_llPT4_lli.num_vgpr, 62
	.set _ZL23rocblas_trmm_rTx_kernelILi16ELb1E19rocblas_complex_numIfES1_KPKS1_KPS1_Ev13rocblas_fill_17rocblas_diagonal_iiT2_lPT3_llSB_llPT4_lli.num_agpr, 0
	.set _ZL23rocblas_trmm_rTx_kernelILi16ELb1E19rocblas_complex_numIfES1_KPKS1_KPS1_Ev13rocblas_fill_17rocblas_diagonal_iiT2_lPT3_llSB_llPT4_lli.numbered_sgpr, 32
	.set _ZL23rocblas_trmm_rTx_kernelILi16ELb1E19rocblas_complex_numIfES1_KPKS1_KPS1_Ev13rocblas_fill_17rocblas_diagonal_iiT2_lPT3_llSB_llPT4_lli.num_named_barrier, 0
	.set _ZL23rocblas_trmm_rTx_kernelILi16ELb1E19rocblas_complex_numIfES1_KPKS1_KPS1_Ev13rocblas_fill_17rocblas_diagonal_iiT2_lPT3_llSB_llPT4_lli.private_seg_size, 0
	.set _ZL23rocblas_trmm_rTx_kernelILi16ELb1E19rocblas_complex_numIfES1_KPKS1_KPS1_Ev13rocblas_fill_17rocblas_diagonal_iiT2_lPT3_llSB_llPT4_lli.uses_vcc, 1
	.set _ZL23rocblas_trmm_rTx_kernelILi16ELb1E19rocblas_complex_numIfES1_KPKS1_KPS1_Ev13rocblas_fill_17rocblas_diagonal_iiT2_lPT3_llSB_llPT4_lli.uses_flat_scratch, 0
	.set _ZL23rocblas_trmm_rTx_kernelILi16ELb1E19rocblas_complex_numIfES1_KPKS1_KPS1_Ev13rocblas_fill_17rocblas_diagonal_iiT2_lPT3_llSB_llPT4_lli.has_dyn_sized_stack, 0
	.set _ZL23rocblas_trmm_rTx_kernelILi16ELb1E19rocblas_complex_numIfES1_KPKS1_KPS1_Ev13rocblas_fill_17rocblas_diagonal_iiT2_lPT3_llSB_llPT4_lli.has_recursion, 0
	.set _ZL23rocblas_trmm_rTx_kernelILi16ELb1E19rocblas_complex_numIfES1_KPKS1_KPS1_Ev13rocblas_fill_17rocblas_diagonal_iiT2_lPT3_llSB_llPT4_lli.has_indirect_call, 0
	.section	.AMDGPU.csdata,"",@progbits
; Kernel info:
; codeLenInByte = 1328
; TotalNumSgprs: 34
; NumVgprs: 62
; ScratchSize: 0
; MemoryBound: 0
; FloatMode: 240
; IeeeMode: 1
; LDSByteSize: 4096 bytes/workgroup (compile time only)
; SGPRBlocks: 0
; VGPRBlocks: 7
; NumSGPRsForWavesPerEU: 34
; NumVGPRsForWavesPerEU: 62
; Occupancy: 16
; WaveLimiterHint : 1
; COMPUTE_PGM_RSRC2:SCRATCH_EN: 0
; COMPUTE_PGM_RSRC2:USER_SGPR: 6
; COMPUTE_PGM_RSRC2:TRAP_HANDLER: 0
; COMPUTE_PGM_RSRC2:TGID_X_EN: 1
; COMPUTE_PGM_RSRC2:TGID_Y_EN: 0
; COMPUTE_PGM_RSRC2:TGID_Z_EN: 1
; COMPUTE_PGM_RSRC2:TIDIG_COMP_CNT: 1
	.section	.text._ZL23rocblas_trmm_lNx_kernelILi16E19rocblas_complex_numIdEPKS1_KS3_KPS1_Ev13rocblas_fill_17rocblas_diagonal_iiT1_lPT2_llSB_llPT3_lli,"axG",@progbits,_ZL23rocblas_trmm_lNx_kernelILi16E19rocblas_complex_numIdEPKS1_KS3_KPS1_Ev13rocblas_fill_17rocblas_diagonal_iiT1_lPT2_llSB_llPT3_lli,comdat
	.globl	_ZL23rocblas_trmm_lNx_kernelILi16E19rocblas_complex_numIdEPKS1_KS3_KPS1_Ev13rocblas_fill_17rocblas_diagonal_iiT1_lPT2_llSB_llPT3_lli ; -- Begin function _ZL23rocblas_trmm_lNx_kernelILi16E19rocblas_complex_numIdEPKS1_KS3_KPS1_Ev13rocblas_fill_17rocblas_diagonal_iiT1_lPT2_llSB_llPT3_lli
	.p2align	8
	.type	_ZL23rocblas_trmm_lNx_kernelILi16E19rocblas_complex_numIdEPKS1_KS3_KPS1_Ev13rocblas_fill_17rocblas_diagonal_iiT1_lPT2_llSB_llPT3_lli,@function
_ZL23rocblas_trmm_lNx_kernelILi16E19rocblas_complex_numIdEPKS1_KS3_KPS1_Ev13rocblas_fill_17rocblas_diagonal_iiT1_lPT2_llSB_llPT3_lli: ; @_ZL23rocblas_trmm_lNx_kernelILi16E19rocblas_complex_numIdEPKS1_KS3_KPS1_Ev13rocblas_fill_17rocblas_diagonal_iiT1_lPT2_llSB_llPT3_lli
; %bb.0:
	s_load_dwordx16 s[8:23], s[4:5], 0x10
	s_waitcnt lgkmcnt(0)
	s_mul_i32 s1, s11, s7
	s_mul_hi_u32 s2, s10, s7
	s_mul_i32 s0, s10, s7
	s_add_i32 s1, s2, s1
	s_lshl_b64 s[0:1], s[0:1], 4
	s_add_u32 s0, s8, s0
	s_addc_u32 s1, s9, s1
	s_load_dwordx4 s[8:11], s[0:1], 0x0
	s_waitcnt lgkmcnt(0)
	v_cmp_neq_f64_e64 s0, s[8:9], 0
	v_cmp_neq_f64_e64 s1, s[10:11], 0
	s_or_b32 s0, s0, s1
	s_andn2_b32 vcc_lo, exec_lo, s0
	s_cbranch_vccnz .LBB180_15
; %bb.1:
	s_clause 0x1
	s_load_dwordx4 s[0:3], s[4:5], 0x50
	s_load_dwordx4 s[24:27], s[4:5], 0x0
	s_mov_b32 s28, s7
	s_mov_b32 s29, 0
	v_lshlrev_b32_e32 v3, 4, v1
	s_lshl_b64 s[36:37], s[28:29], 3
	s_mov_b32 s28, s29
	s_add_u32 s18, s18, s36
	s_addc_u32 s19, s19, s37
	s_mov_b32 s30, s29
	s_mov_b32 s31, s29
	v_mov_b32_e32 v5, s28
	v_add_lshl_u32 v4, v3, v0, 4
	v_mov_b32_e32 v6, s29
	v_mov_b32_e32 v7, s30
	v_mov_b32_e32 v8, s31
	v_lshlrev_b32_e32 v2, 4, v0
	s_waitcnt lgkmcnt(0)
	s_add_u32 s0, s0, s36
	s_addc_u32 s1, s1, s37
	s_load_dwordx2 s[34:35], s[18:19], 0x0
	s_load_dwordx2 s[18:19], s[0:1], 0x0
	v_cmp_gt_i32_e64 s0, s26, v1
	v_cmp_gt_i32_e32 vcc_lo, s26, v0
	ds_write_b128 v4, v[5:8]
	ds_write_b128 v4, v[5:8] offset:4096
	s_and_b32 s0, s0, vcc_lo
	s_and_saveexec_b32 s1, s0
	s_cbranch_execz .LBB180_3
; %bb.2:
	s_add_u32 s12, s12, s36
	s_addc_u32 s13, s13, s37
	v_mad_u64_u32 v[5:6], null, s14, v1, 0
	s_load_dwordx2 s[12:13], s[12:13], 0x0
	v_mad_u64_u32 v[6:7], null, s15, v1, v[6:7]
	s_lshl_b64 s[14:15], s[16:17], 4
	v_lshlrev_b64 v[5:6], 4, v[5:6]
	s_waitcnt lgkmcnt(0)
	s_add_u32 s0, s12, s14
	s_addc_u32 s7, s13, s15
	v_add_co_u32 v5, s0, s0, v5
	v_add_co_ci_u32_e64 v6, null, s7, v6, s0
	v_add_co_u32 v5, s0, v5, v2
	v_add_co_ci_u32_e64 v6, null, 0, v6, s0
	flat_load_dwordx4 v[5:8], v[5:6]
	s_waitcnt vmcnt(0) lgkmcnt(0)
	ds_write2_b64 v4, v[5:6], v[7:8] offset1:1
.LBB180_3:
	s_or_b32 exec_lo, exec_lo, s1
	s_add_i32 s0, s27, -1
	s_ashr_i32 s1, s0, 31
	s_lshr_b32 s1, s1, 28
	s_add_i32 s0, s0, s1
	s_and_b32 s1, s0, -16
	s_ashr_i32 s0, s0, 4
	s_sub_i32 s1, s27, s1
	s_cmp_ge_i32 s6, s0
	s_cselect_b32 s0, s1, 16
	s_lshl_b32 s1, s6, 4
	v_cmp_gt_i32_e64 s0, s0, v1
	s_ashr_i32 s6, s1, 31
	s_and_b32 s0, vcc_lo, s0
	s_and_saveexec_b32 s7, s0
	s_cbranch_execz .LBB180_5
; %bb.4:
	v_mad_u64_u32 v[5:6], null, s20, v1, 0
	s_lshl_b64 s[12:13], s[22:23], 4
	s_mul_i32 s14, s20, s6
	s_mul_hi_u32 s15, s20, s1
	s_waitcnt lgkmcnt(0)
	s_add_u32 s17, s34, s12
	s_mul_i32 s16, s21, s1
	s_mul_i32 s12, s20, s1
	v_mad_u64_u32 v[6:7], null, s21, v1, v[6:7]
	s_addc_u32 s21, s35, s13
	s_add_i32 s13, s15, s14
	v_add_nc_u32_e32 v9, 0x1000, v4
	s_add_i32 s13, s13, s16
	s_lshl_b64 s[12:13], s[12:13], 4
	v_lshlrev_b64 v[5:6], 4, v[5:6]
	s_add_u32 s12, s17, s12
	s_addc_u32 s13, s21, s13
	v_add_co_u32 v5, vcc_lo, s12, v5
	v_add_co_ci_u32_e64 v6, null, s13, v6, vcc_lo
	v_add_co_u32 v5, vcc_lo, v5, v2
	v_add_co_ci_u32_e64 v6, null, 0, v6, vcc_lo
	flat_load_dwordx4 v[5:8], v[5:6]
	s_waitcnt vmcnt(0) lgkmcnt(0)
	ds_write2_b64 v9, v[5:6], v[7:8] offset1:1
.LBB180_5:
	s_or_b32 exec_lo, exec_lo, s7
	v_cmp_eq_u32_e32 vcc_lo, v1, v0
	s_cmpk_eq_i32 s25, 0x84
	s_cselect_b32 s7, -1, 0
	s_and_b32 s12, vcc_lo, s7
	s_and_saveexec_b32 s7, s12
	s_cbranch_execz .LBB180_7
; %bb.6:
	v_mov_b32_e32 v5, 0
	v_mov_b32_e32 v6, 0x3ff00000
	;; [unrolled: 1-line block ×4, first 2 shown]
	ds_write_b128 v4, v[5:8]
.LBB180_7:
	s_or_b32 exec_lo, exec_lo, s7
	s_cmpk_lg_i32 s24, 0x79
	s_cbranch_scc0 .LBB180_9
; %bb.8:
	v_cmp_lt_u32_e32 vcc_lo, v0, v1
	s_and_b32 s7, vcc_lo, exec_lo
	s_cbranch_execz .LBB180_10
	s_branch .LBB180_11
.LBB180_9:
	s_mov_b32 s7, 0
.LBB180_10:
	v_cmp_gt_u32_e32 vcc_lo, v0, v1
	s_andn2_b32 s7, s7, exec_lo
	s_and_b32 s12, vcc_lo, exec_lo
	s_or_b32 s7, s7, s12
.LBB180_11:
	s_and_saveexec_b32 s12, s7
	s_cbranch_execz .LBB180_13
; %bb.12:
	v_mov_b32_e32 v5, 0
	v_mov_b32_e32 v6, v5
	;; [unrolled: 1-line block ×4, first 2 shown]
	ds_write_b128 v4, v[5:8]
.LBB180_13:
	s_or_b32 exec_lo, exec_lo, s12
	s_waitcnt lgkmcnt(0)
	s_barrier
	buffer_gl0_inv
	s_and_saveexec_b32 s7, s0
	s_cbranch_execz .LBB180_15
; %bb.14:
	v_lshlrev_b32_e32 v0, 4, v3
	s_load_dwordx2 s[4:5], s[4:5], 0x60
	s_mul_i32 s0, s2, s6
	s_mul_hi_u32 s6, s2, s1
	ds_read_b128 v[3:6], v0 offset:4096
	ds_read_b128 v[7:10], v2
	ds_read_b128 v[11:14], v2 offset:256
	ds_read_b128 v[15:18], v0 offset:4112
	;; [unrolled: 1-line block ×4, first 2 shown]
	s_waitcnt lgkmcnt(0)
	s_lshl_b64 s[4:5], s[4:5], 4
	s_add_u32 s4, s18, s4
	v_mul_f64 v[27:28], v[3:4], v[9:10]
	v_mul_f64 v[35:36], v[15:16], v[13:14]
	v_mul_f64 v[9:10], v[5:6], v[9:10]
	v_mul_f64 v[37:38], v[23:24], v[21:22]
	v_mul_f64 v[13:14], v[17:18], v[13:14]
	v_mul_f64 v[21:22], v[25:26], v[21:22]
	s_addc_u32 s5, s19, s5
	s_add_i32 s0, s6, s0
	v_fma_f64 v[5:6], v[5:6], v[7:8], v[27:28]
	v_fma_f64 v[17:18], v[17:18], v[11:12], v[35:36]
	v_fma_f64 v[35:36], v[3:4], v[7:8], -v[9:10]
	ds_read_b128 v[27:30], v2 offset:768
	ds_read_b128 v[31:34], v0 offset:4144
	v_fma_f64 v[25:26], v[25:26], v[19:20], v[37:38]
	v_fma_f64 v[37:38], v[15:16], v[11:12], -v[13:14]
	v_add_f64 v[39:40], v[5:6], 0
	s_waitcnt lgkmcnt(0)
	v_mul_f64 v[41:42], v[31:32], v[29:30]
	v_add_f64 v[35:36], v[35:36], 0
	ds_read_b128 v[3:6], v2 offset:1024
	ds_read_b128 v[7:10], v0 offset:4160
	v_mul_f64 v[29:30], v[33:34], v[29:30]
	v_add_f64 v[39:40], v[39:40], v[17:18]
	s_waitcnt lgkmcnt(0)
	v_mul_f64 v[43:44], v[7:8], v[5:6]
	v_fma_f64 v[33:34], v[33:34], v[27:28], v[41:42]
	v_fma_f64 v[41:42], v[23:24], v[19:20], -v[21:22]
	v_add_f64 v[35:36], v[35:36], v[37:38]
	ds_read_b128 v[11:14], v2 offset:1280
	ds_read_b128 v[15:18], v0 offset:4176
	v_mul_f64 v[5:6], v[9:10], v[5:6]
	v_add_f64 v[37:38], v[39:40], v[25:26]
	v_fma_f64 v[9:10], v[9:10], v[3:4], v[43:44]
	v_fma_f64 v[43:44], v[31:32], v[27:28], -v[29:30]
	s_waitcnt lgkmcnt(0)
	v_mul_f64 v[39:40], v[15:16], v[13:14]
	v_add_f64 v[35:36], v[35:36], v[41:42]
	ds_read_b128 v[19:22], v2 offset:1536
	ds_read_b128 v[23:26], v0 offset:4192
	v_mul_f64 v[13:14], v[17:18], v[13:14]
	v_add_f64 v[37:38], v[37:38], v[33:34]
	ds_read_b128 v[27:30], v2 offset:1792
	ds_read_b128 v[31:34], v0 offset:4208
	s_waitcnt lgkmcnt(2)
	v_mul_f64 v[41:42], v[23:24], v[21:22]
	v_fma_f64 v[17:18], v[17:18], v[11:12], v[39:40]
	v_fma_f64 v[39:40], v[7:8], v[3:4], -v[5:6]
	v_add_f64 v[35:36], v[35:36], v[43:44]
	v_mul_f64 v[21:22], v[25:26], v[21:22]
	s_waitcnt lgkmcnt(0)
	v_mul_f64 v[43:44], v[31:32], v[29:30]
	v_add_f64 v[37:38], v[37:38], v[9:10]
	ds_read_b128 v[3:6], v2 offset:2048
	ds_read_b128 v[7:10], v0 offset:4224
	v_mul_f64 v[29:30], v[33:34], v[29:30]
	v_fma_f64 v[25:26], v[25:26], v[19:20], v[41:42]
	v_fma_f64 v[41:42], v[15:16], v[11:12], -v[13:14]
	v_add_f64 v[35:36], v[35:36], v[39:40]
	s_waitcnt lgkmcnt(0)
	v_mul_f64 v[39:40], v[7:8], v[5:6]
	v_add_f64 v[37:38], v[37:38], v[17:18]
	v_fma_f64 v[33:34], v[33:34], v[27:28], v[43:44]
	v_fma_f64 v[43:44], v[23:24], v[19:20], -v[21:22]
	ds_read_b128 v[11:14], v2 offset:2304
	ds_read_b128 v[15:18], v0 offset:4240
	v_mul_f64 v[5:6], v[9:10], v[5:6]
	v_add_f64 v[35:36], v[35:36], v[41:42]
	v_fma_f64 v[9:10], v[9:10], v[3:4], v[39:40]
	v_add_f64 v[37:38], v[37:38], v[25:26]
	s_waitcnt lgkmcnt(0)
	v_mul_f64 v[41:42], v[15:16], v[13:14]
	v_fma_f64 v[39:40], v[31:32], v[27:28], -v[29:30]
	ds_read_b128 v[19:22], v2 offset:2560
	ds_read_b128 v[23:26], v0 offset:4256
	v_mul_f64 v[13:14], v[17:18], v[13:14]
	v_add_f64 v[35:36], v[35:36], v[43:44]
	v_add_f64 v[37:38], v[37:38], v[33:34]
	s_waitcnt lgkmcnt(0)
	v_mul_f64 v[43:44], v[23:24], v[21:22]
	v_fma_f64 v[17:18], v[17:18], v[11:12], v[41:42]
	v_fma_f64 v[41:42], v[7:8], v[3:4], -v[5:6]
	ds_read_b128 v[27:30], v2 offset:2816
	ds_read_b128 v[31:34], v0 offset:4272
	v_mul_f64 v[21:22], v[25:26], v[21:22]
	v_add_f64 v[35:36], v[35:36], v[39:40]
	v_add_f64 v[37:38], v[37:38], v[9:10]
	v_fma_f64 v[25:26], v[25:26], v[19:20], v[43:44]
	s_waitcnt lgkmcnt(0)
	v_mul_f64 v[39:40], v[31:32], v[29:30]
	v_fma_f64 v[43:44], v[15:16], v[11:12], -v[13:14]
	ds_read_b128 v[3:6], v2 offset:3072
	ds_read_b128 v[7:10], v0 offset:4288
	v_mul_f64 v[29:30], v[33:34], v[29:30]
	v_add_f64 v[35:36], v[35:36], v[41:42]
	v_add_f64 v[37:38], v[37:38], v[17:18]
	ds_read_b128 v[11:14], v2 offset:3328
	ds_read_b128 v[15:18], v0 offset:4304
	s_waitcnt lgkmcnt(2)
	v_mul_f64 v[41:42], v[7:8], v[5:6]
	v_fma_f64 v[33:34], v[33:34], v[27:28], v[39:40]
	v_fma_f64 v[39:40], v[23:24], v[19:20], -v[21:22]
	v_mul_f64 v[5:6], v[9:10], v[5:6]
	v_add_f64 v[35:36], v[35:36], v[43:44]
	s_waitcnt lgkmcnt(0)
	v_mul_f64 v[43:44], v[15:16], v[13:14]
	v_add_f64 v[37:38], v[37:38], v[25:26]
	ds_read_b128 v[19:22], v2 offset:3584
	ds_read_b128 v[23:26], v0 offset:4320
	v_fma_f64 v[9:10], v[9:10], v[3:4], v[41:42]
	v_fma_f64 v[41:42], v[31:32], v[27:28], -v[29:30]
	v_mul_f64 v[13:14], v[17:18], v[13:14]
	v_fma_f64 v[3:4], v[7:8], v[3:4], -v[5:6]
	v_add_f64 v[35:36], v[35:36], v[39:40]
	s_waitcnt lgkmcnt(0)
	v_mul_f64 v[39:40], v[23:24], v[21:22]
	v_add_f64 v[37:38], v[37:38], v[33:34]
	v_fma_f64 v[17:18], v[17:18], v[11:12], v[43:44]
	ds_read_b128 v[27:30], v2 offset:3840
	ds_read_b128 v[31:34], v0 offset:4336
	v_mul_f64 v[21:22], v[25:26], v[21:22]
	v_fma_f64 v[11:12], v[15:16], v[11:12], -v[13:14]
	v_add_f64 v[5:6], v[35:36], v[41:42]
	v_fma_f64 v[25:26], v[25:26], v[19:20], v[39:40]
	v_add_f64 v[7:8], v[37:38], v[9:10]
	s_waitcnt lgkmcnt(0)
	v_mul_f64 v[9:10], v[31:32], v[29:30]
	v_fma_f64 v[13:14], v[23:24], v[19:20], -v[21:22]
	v_add_f64 v[3:4], v[5:6], v[3:4]
	v_add_f64 v[5:6], v[7:8], v[17:18]
	v_mul_f64 v[7:8], v[33:34], v[29:30]
	v_fma_f64 v[9:10], v[33:34], v[27:28], v[9:10]
	v_add_f64 v[3:4], v[3:4], v[11:12]
	v_add_f64 v[5:6], v[5:6], v[25:26]
	v_fma_f64 v[7:8], v[31:32], v[27:28], -v[7:8]
	v_add_f64 v[3:4], v[3:4], v[13:14]
	v_add_f64 v[5:6], v[5:6], v[9:10]
	v_mad_u64_u32 v[9:10], null, s2, v1, 0
	s_mul_i32 s2, s2, s1
	v_add_f64 v[3:4], v[3:4], v[7:8]
	v_mov_b32_e32 v0, v10
	v_mad_u64_u32 v[0:1], null, s3, v1, v[0:1]
	s_mul_i32 s3, s3, s1
	s_add_i32 s3, s0, s3
	s_lshl_b64 s[0:1], s[2:3], 4
	v_mul_f64 v[7:8], s[8:9], v[5:6]
	v_mul_f64 v[11:12], s[10:11], v[5:6]
	v_mov_b32_e32 v10, v0
	s_add_u32 s0, s4, s0
	s_addc_u32 s1, s5, s1
	v_lshlrev_b64 v[0:1], 4, v[9:10]
	v_add_co_u32 v0, vcc_lo, s0, v0
	v_add_co_ci_u32_e64 v1, null, s1, v1, vcc_lo
	v_add_co_u32 v0, vcc_lo, v0, v2
	v_add_co_ci_u32_e64 v1, null, 0, v1, vcc_lo
	v_fma_f64 v[5:6], s[10:11], v[3:4], v[7:8]
	v_fma_f64 v[3:4], s[8:9], v[3:4], -v[11:12]
	flat_store_dwordx4 v[0:1], v[3:6]
.LBB180_15:
	s_endpgm
	.section	.rodata,"a",@progbits
	.p2align	6, 0x0
	.amdhsa_kernel _ZL23rocblas_trmm_lNx_kernelILi16E19rocblas_complex_numIdEPKS1_KS3_KPS1_Ev13rocblas_fill_17rocblas_diagonal_iiT1_lPT2_llSB_llPT3_lli
		.amdhsa_group_segment_fixed_size 8192
		.amdhsa_private_segment_fixed_size 0
		.amdhsa_kernarg_size 108
		.amdhsa_user_sgpr_count 6
		.amdhsa_user_sgpr_private_segment_buffer 1
		.amdhsa_user_sgpr_dispatch_ptr 0
		.amdhsa_user_sgpr_queue_ptr 0
		.amdhsa_user_sgpr_kernarg_segment_ptr 1
		.amdhsa_user_sgpr_dispatch_id 0
		.amdhsa_user_sgpr_flat_scratch_init 0
		.amdhsa_user_sgpr_private_segment_size 0
		.amdhsa_wavefront_size32 1
		.amdhsa_uses_dynamic_stack 0
		.amdhsa_system_sgpr_private_segment_wavefront_offset 0
		.amdhsa_system_sgpr_workgroup_id_x 1
		.amdhsa_system_sgpr_workgroup_id_y 0
		.amdhsa_system_sgpr_workgroup_id_z 1
		.amdhsa_system_sgpr_workgroup_info 0
		.amdhsa_system_vgpr_workitem_id 1
		.amdhsa_next_free_vgpr 45
		.amdhsa_next_free_sgpr 38
		.amdhsa_reserve_vcc 1
		.amdhsa_reserve_flat_scratch 0
		.amdhsa_float_round_mode_32 0
		.amdhsa_float_round_mode_16_64 0
		.amdhsa_float_denorm_mode_32 3
		.amdhsa_float_denorm_mode_16_64 3
		.amdhsa_dx10_clamp 1
		.amdhsa_ieee_mode 1
		.amdhsa_fp16_overflow 0
		.amdhsa_workgroup_processor_mode 1
		.amdhsa_memory_ordered 1
		.amdhsa_forward_progress 1
		.amdhsa_shared_vgpr_count 0
		.amdhsa_exception_fp_ieee_invalid_op 0
		.amdhsa_exception_fp_denorm_src 0
		.amdhsa_exception_fp_ieee_div_zero 0
		.amdhsa_exception_fp_ieee_overflow 0
		.amdhsa_exception_fp_ieee_underflow 0
		.amdhsa_exception_fp_ieee_inexact 0
		.amdhsa_exception_int_div_zero 0
	.end_amdhsa_kernel
	.section	.text._ZL23rocblas_trmm_lNx_kernelILi16E19rocblas_complex_numIdEPKS1_KS3_KPS1_Ev13rocblas_fill_17rocblas_diagonal_iiT1_lPT2_llSB_llPT3_lli,"axG",@progbits,_ZL23rocblas_trmm_lNx_kernelILi16E19rocblas_complex_numIdEPKS1_KS3_KPS1_Ev13rocblas_fill_17rocblas_diagonal_iiT1_lPT2_llSB_llPT3_lli,comdat
.Lfunc_end180:
	.size	_ZL23rocblas_trmm_lNx_kernelILi16E19rocblas_complex_numIdEPKS1_KS3_KPS1_Ev13rocblas_fill_17rocblas_diagonal_iiT1_lPT2_llSB_llPT3_lli, .Lfunc_end180-_ZL23rocblas_trmm_lNx_kernelILi16E19rocblas_complex_numIdEPKS1_KS3_KPS1_Ev13rocblas_fill_17rocblas_diagonal_iiT1_lPT2_llSB_llPT3_lli
                                        ; -- End function
	.set _ZL23rocblas_trmm_lNx_kernelILi16E19rocblas_complex_numIdEPKS1_KS3_KPS1_Ev13rocblas_fill_17rocblas_diagonal_iiT1_lPT2_llSB_llPT3_lli.num_vgpr, 45
	.set _ZL23rocblas_trmm_lNx_kernelILi16E19rocblas_complex_numIdEPKS1_KS3_KPS1_Ev13rocblas_fill_17rocblas_diagonal_iiT1_lPT2_llSB_llPT3_lli.num_agpr, 0
	.set _ZL23rocblas_trmm_lNx_kernelILi16E19rocblas_complex_numIdEPKS1_KS3_KPS1_Ev13rocblas_fill_17rocblas_diagonal_iiT1_lPT2_llSB_llPT3_lli.numbered_sgpr, 38
	.set _ZL23rocblas_trmm_lNx_kernelILi16E19rocblas_complex_numIdEPKS1_KS3_KPS1_Ev13rocblas_fill_17rocblas_diagonal_iiT1_lPT2_llSB_llPT3_lli.num_named_barrier, 0
	.set _ZL23rocblas_trmm_lNx_kernelILi16E19rocblas_complex_numIdEPKS1_KS3_KPS1_Ev13rocblas_fill_17rocblas_diagonal_iiT1_lPT2_llSB_llPT3_lli.private_seg_size, 0
	.set _ZL23rocblas_trmm_lNx_kernelILi16E19rocblas_complex_numIdEPKS1_KS3_KPS1_Ev13rocblas_fill_17rocblas_diagonal_iiT1_lPT2_llSB_llPT3_lli.uses_vcc, 1
	.set _ZL23rocblas_trmm_lNx_kernelILi16E19rocblas_complex_numIdEPKS1_KS3_KPS1_Ev13rocblas_fill_17rocblas_diagonal_iiT1_lPT2_llSB_llPT3_lli.uses_flat_scratch, 0
	.set _ZL23rocblas_trmm_lNx_kernelILi16E19rocblas_complex_numIdEPKS1_KS3_KPS1_Ev13rocblas_fill_17rocblas_diagonal_iiT1_lPT2_llSB_llPT3_lli.has_dyn_sized_stack, 0
	.set _ZL23rocblas_trmm_lNx_kernelILi16E19rocblas_complex_numIdEPKS1_KS3_KPS1_Ev13rocblas_fill_17rocblas_diagonal_iiT1_lPT2_llSB_llPT3_lli.has_recursion, 0
	.set _ZL23rocblas_trmm_lNx_kernelILi16E19rocblas_complex_numIdEPKS1_KS3_KPS1_Ev13rocblas_fill_17rocblas_diagonal_iiT1_lPT2_llSB_llPT3_lli.has_indirect_call, 0
	.section	.AMDGPU.csdata,"",@progbits
; Kernel info:
; codeLenInByte = 1956
; TotalNumSgprs: 40
; NumVgprs: 45
; ScratchSize: 0
; MemoryBound: 0
; FloatMode: 240
; IeeeMode: 1
; LDSByteSize: 8192 bytes/workgroup (compile time only)
; SGPRBlocks: 0
; VGPRBlocks: 5
; NumSGPRsForWavesPerEU: 40
; NumVGPRsForWavesPerEU: 45
; Occupancy: 16
; WaveLimiterHint : 1
; COMPUTE_PGM_RSRC2:SCRATCH_EN: 0
; COMPUTE_PGM_RSRC2:USER_SGPR: 6
; COMPUTE_PGM_RSRC2:TRAP_HANDLER: 0
; COMPUTE_PGM_RSRC2:TGID_X_EN: 1
; COMPUTE_PGM_RSRC2:TGID_Y_EN: 0
; COMPUTE_PGM_RSRC2:TGID_Z_EN: 1
; COMPUTE_PGM_RSRC2:TIDIG_COMP_CNT: 1
	.section	.text._ZL23rocblas_trmm_lNx_kernelILi16E19rocblas_complex_numIdES1_KPKS1_KPS1_Ev13rocblas_fill_17rocblas_diagonal_iiT1_lPT2_llSB_llPT3_lli,"axG",@progbits,_ZL23rocblas_trmm_lNx_kernelILi16E19rocblas_complex_numIdES1_KPKS1_KPS1_Ev13rocblas_fill_17rocblas_diagonal_iiT1_lPT2_llSB_llPT3_lli,comdat
	.globl	_ZL23rocblas_trmm_lNx_kernelILi16E19rocblas_complex_numIdES1_KPKS1_KPS1_Ev13rocblas_fill_17rocblas_diagonal_iiT1_lPT2_llSB_llPT3_lli ; -- Begin function _ZL23rocblas_trmm_lNx_kernelILi16E19rocblas_complex_numIdES1_KPKS1_KPS1_Ev13rocblas_fill_17rocblas_diagonal_iiT1_lPT2_llSB_llPT3_lli
	.p2align	8
	.type	_ZL23rocblas_trmm_lNx_kernelILi16E19rocblas_complex_numIdES1_KPKS1_KPS1_Ev13rocblas_fill_17rocblas_diagonal_iiT1_lPT2_llSB_llPT3_lli,@function
_ZL23rocblas_trmm_lNx_kernelILi16E19rocblas_complex_numIdES1_KPKS1_KPS1_Ev13rocblas_fill_17rocblas_diagonal_iiT1_lPT2_llSB_llPT3_lli: ; @_ZL23rocblas_trmm_lNx_kernelILi16E19rocblas_complex_numIdES1_KPKS1_KPS1_Ev13rocblas_fill_17rocblas_diagonal_iiT1_lPT2_llSB_llPT3_lli
; %bb.0:
	s_load_dwordx4 s[24:27], s[4:5], 0x10
	s_waitcnt lgkmcnt(0)
	v_cmp_neq_f64_e64 s1, s[24:25], 0
	v_cmp_neq_f64_e64 s2, s[26:27], 0
	s_or_b32 s1, s1, s2
	s_andn2_b32 vcc_lo, exec_lo, s1
	s_cbranch_vccnz .LBB181_15
; %bb.1:
	s_load_dwordx16 s[8:23], s[4:5], 0x28
	s_mov_b32 s0, s7
	s_mov_b32 s1, 0
	s_load_dwordx4 s[28:31], s[4:5], 0x0
	s_lshl_b64 s[34:35], s[0:1], 3
	v_lshlrev_b32_e32 v3, 4, v1
	s_mov_b32 s0, s1
	v_lshlrev_b32_e32 v2, 4, v0
	v_add_lshl_u32 v4, v3, v0, 4
	s_waitcnt lgkmcnt(0)
	s_add_u32 s2, s14, s34
	s_addc_u32 s3, s15, s35
	s_add_u32 s14, s20, s34
	s_addc_u32 s15, s21, s35
	s_load_dwordx2 s[20:21], s[2:3], 0x0
	s_load_dwordx2 s[14:15], s[14:15], 0x0
	s_mov_b32 s3, s1
	s_mov_b32 s2, s1
	v_mov_b32_e32 v8, s3
	v_mov_b32_e32 v7, s2
	;; [unrolled: 1-line block ×4, first 2 shown]
	v_cmp_gt_i32_e64 s0, s30, v1
	v_cmp_gt_i32_e32 vcc_lo, s30, v0
	ds_write_b128 v4, v[5:8]
	ds_write_b128 v4, v[5:8] offset:4096
	s_and_b32 s0, s0, vcc_lo
	s_and_saveexec_b32 s1, s0
	s_cbranch_execz .LBB181_3
; %bb.2:
	s_add_u32 s2, s8, s34
	s_addc_u32 s3, s9, s35
	v_mad_u64_u32 v[5:6], null, s10, v1, 0
	s_load_dwordx2 s[2:3], s[2:3], 0x0
	s_lshl_b64 s[8:9], s[12:13], 4
	v_mad_u64_u32 v[6:7], null, s11, v1, v[6:7]
	v_lshlrev_b64 v[5:6], 4, v[5:6]
	s_waitcnt lgkmcnt(0)
	s_add_u32 s0, s2, s8
	s_addc_u32 s2, s3, s9
	v_add_co_u32 v5, s0, s0, v5
	v_add_co_ci_u32_e64 v6, null, s2, v6, s0
	v_add_co_u32 v5, s0, v5, v2
	v_add_co_ci_u32_e64 v6, null, 0, v6, s0
	flat_load_dwordx4 v[5:8], v[5:6]
	s_waitcnt vmcnt(0) lgkmcnt(0)
	ds_write2_b64 v4, v[5:6], v[7:8] offset1:1
.LBB181_3:
	s_or_b32 exec_lo, exec_lo, s1
	s_add_i32 s0, s31, -1
	s_ashr_i32 s1, s0, 31
	s_lshr_b32 s1, s1, 28
	s_add_i32 s0, s0, s1
	s_and_b32 s1, s0, -16
	s_ashr_i32 s0, s0, 4
	s_sub_i32 s1, s31, s1
	s_cmp_ge_i32 s6, s0
	s_cselect_b32 s0, s1, 16
	s_lshl_b32 s1, s6, 4
	v_cmp_gt_i32_e64 s0, s0, v1
	s_ashr_i32 s2, s1, 31
	s_and_b32 s0, vcc_lo, s0
	s_and_saveexec_b32 s3, s0
	s_cbranch_execz .LBB181_5
; %bb.4:
	v_mad_u64_u32 v[5:6], null, s16, v1, 0
	s_lshl_b64 s[6:7], s[18:19], 4
	s_mul_i32 s8, s16, s2
	s_mul_hi_u32 s9, s16, s1
	s_waitcnt lgkmcnt(0)
	s_add_u32 s11, s20, s6
	s_mul_i32 s10, s17, s1
	s_addc_u32 s12, s21, s7
	v_mad_u64_u32 v[6:7], null, s17, v1, v[6:7]
	s_add_i32 s7, s9, s8
	s_mul_i32 s6, s16, s1
	s_add_i32 s7, s7, s10
	v_add_nc_u32_e32 v9, 0x1000, v4
	s_lshl_b64 s[6:7], s[6:7], 4
	s_add_u32 s6, s11, s6
	v_lshlrev_b64 v[5:6], 4, v[5:6]
	s_addc_u32 s7, s12, s7
	v_add_co_u32 v5, vcc_lo, s6, v5
	v_add_co_ci_u32_e64 v6, null, s7, v6, vcc_lo
	v_add_co_u32 v5, vcc_lo, v5, v2
	v_add_co_ci_u32_e64 v6, null, 0, v6, vcc_lo
	flat_load_dwordx4 v[5:8], v[5:6]
	s_waitcnt vmcnt(0) lgkmcnt(0)
	ds_write2_b64 v9, v[5:6], v[7:8] offset1:1
.LBB181_5:
	s_or_b32 exec_lo, exec_lo, s3
	v_cmp_eq_u32_e32 vcc_lo, v1, v0
	s_cmpk_eq_i32 s29, 0x84
	s_cselect_b32 s3, -1, 0
	s_and_b32 s6, vcc_lo, s3
	s_and_saveexec_b32 s3, s6
	s_cbranch_execz .LBB181_7
; %bb.6:
	v_mov_b32_e32 v5, 0
	v_mov_b32_e32 v6, 0x3ff00000
	;; [unrolled: 1-line block ×4, first 2 shown]
	ds_write_b128 v4, v[5:8]
.LBB181_7:
	s_or_b32 exec_lo, exec_lo, s3
	s_cmpk_lg_i32 s28, 0x79
	s_cbranch_scc0 .LBB181_9
; %bb.8:
	v_cmp_lt_u32_e32 vcc_lo, v0, v1
	s_and_b32 s3, vcc_lo, exec_lo
	s_cbranch_execz .LBB181_10
	s_branch .LBB181_11
.LBB181_9:
	s_mov_b32 s3, 0
.LBB181_10:
	v_cmp_gt_u32_e32 vcc_lo, v0, v1
	s_andn2_b32 s3, s3, exec_lo
	s_and_b32 s6, vcc_lo, exec_lo
	s_or_b32 s3, s3, s6
.LBB181_11:
	s_and_saveexec_b32 s6, s3
	s_cbranch_execz .LBB181_13
; %bb.12:
	v_mov_b32_e32 v5, 0
	v_mov_b32_e32 v6, v5
	;; [unrolled: 1-line block ×4, first 2 shown]
	ds_write_b128 v4, v[5:8]
.LBB181_13:
	s_or_b32 exec_lo, exec_lo, s6
	s_waitcnt lgkmcnt(0)
	s_barrier
	buffer_gl0_inv
	s_and_saveexec_b32 s3, s0
	s_cbranch_execz .LBB181_15
; %bb.14:
	v_lshlrev_b32_e32 v0, 4, v3
	s_load_dwordx2 s[4:5], s[4:5], 0x68
	s_mul_i32 s0, s22, s2
	s_mul_hi_u32 s6, s22, s1
	s_mul_i32 s7, s23, s1
	ds_read_b128 v[3:6], v0 offset:4096
	ds_read_b128 v[7:10], v2
	ds_read_b128 v[11:14], v2 offset:256
	ds_read_b128 v[15:18], v0 offset:4112
	;; [unrolled: 1-line block ×4, first 2 shown]
	s_waitcnt lgkmcnt(0)
	s_lshl_b64 s[2:3], s[4:5], 4
	s_add_u32 s4, s14, s2
	v_mul_f64 v[27:28], v[3:4], v[9:10]
	v_mul_f64 v[35:36], v[15:16], v[13:14]
	;; [unrolled: 1-line block ×6, first 2 shown]
	s_addc_u32 s5, s15, s3
	s_add_i32 s0, s6, s0
	s_mul_i32 s2, s22, s1
	s_add_i32 s3, s0, s7
	s_lshl_b64 s[0:1], s[2:3], 4
	s_add_u32 s0, s4, s0
	s_addc_u32 s1, s5, s1
	v_fma_f64 v[5:6], v[5:6], v[7:8], v[27:28]
	v_fma_f64 v[17:18], v[17:18], v[11:12], v[35:36]
	v_fma_f64 v[35:36], v[3:4], v[7:8], -v[9:10]
	ds_read_b128 v[27:30], v2 offset:768
	ds_read_b128 v[31:34], v0 offset:4144
	v_fma_f64 v[25:26], v[25:26], v[19:20], v[37:38]
	v_fma_f64 v[37:38], v[15:16], v[11:12], -v[13:14]
	v_add_f64 v[39:40], v[5:6], 0
	s_waitcnt lgkmcnt(0)
	v_mul_f64 v[41:42], v[31:32], v[29:30]
	v_add_f64 v[35:36], v[35:36], 0
	ds_read_b128 v[3:6], v2 offset:1024
	ds_read_b128 v[7:10], v0 offset:4160
	v_mul_f64 v[29:30], v[33:34], v[29:30]
	v_add_f64 v[39:40], v[39:40], v[17:18]
	s_waitcnt lgkmcnt(0)
	v_mul_f64 v[43:44], v[7:8], v[5:6]
	v_fma_f64 v[33:34], v[33:34], v[27:28], v[41:42]
	v_fma_f64 v[41:42], v[23:24], v[19:20], -v[21:22]
	v_add_f64 v[35:36], v[35:36], v[37:38]
	ds_read_b128 v[11:14], v2 offset:1280
	ds_read_b128 v[15:18], v0 offset:4176
	v_mul_f64 v[5:6], v[9:10], v[5:6]
	v_add_f64 v[37:38], v[39:40], v[25:26]
	v_fma_f64 v[9:10], v[9:10], v[3:4], v[43:44]
	v_fma_f64 v[43:44], v[31:32], v[27:28], -v[29:30]
	s_waitcnt lgkmcnt(0)
	v_mul_f64 v[39:40], v[15:16], v[13:14]
	v_add_f64 v[35:36], v[35:36], v[41:42]
	ds_read_b128 v[19:22], v2 offset:1536
	ds_read_b128 v[23:26], v0 offset:4192
	v_mul_f64 v[13:14], v[17:18], v[13:14]
	v_add_f64 v[37:38], v[37:38], v[33:34]
	ds_read_b128 v[27:30], v2 offset:1792
	ds_read_b128 v[31:34], v0 offset:4208
	s_waitcnt lgkmcnt(2)
	v_mul_f64 v[41:42], v[23:24], v[21:22]
	v_fma_f64 v[17:18], v[17:18], v[11:12], v[39:40]
	v_fma_f64 v[39:40], v[7:8], v[3:4], -v[5:6]
	v_add_f64 v[35:36], v[35:36], v[43:44]
	v_mul_f64 v[21:22], v[25:26], v[21:22]
	s_waitcnt lgkmcnt(0)
	v_mul_f64 v[43:44], v[31:32], v[29:30]
	v_add_f64 v[37:38], v[37:38], v[9:10]
	ds_read_b128 v[3:6], v2 offset:2048
	ds_read_b128 v[7:10], v0 offset:4224
	v_mul_f64 v[29:30], v[33:34], v[29:30]
	v_fma_f64 v[25:26], v[25:26], v[19:20], v[41:42]
	v_fma_f64 v[41:42], v[15:16], v[11:12], -v[13:14]
	v_add_f64 v[35:36], v[35:36], v[39:40]
	s_waitcnt lgkmcnt(0)
	v_mul_f64 v[39:40], v[7:8], v[5:6]
	v_add_f64 v[37:38], v[37:38], v[17:18]
	v_fma_f64 v[33:34], v[33:34], v[27:28], v[43:44]
	v_fma_f64 v[43:44], v[23:24], v[19:20], -v[21:22]
	ds_read_b128 v[11:14], v2 offset:2304
	ds_read_b128 v[15:18], v0 offset:4240
	v_mul_f64 v[5:6], v[9:10], v[5:6]
	v_add_f64 v[35:36], v[35:36], v[41:42]
	v_fma_f64 v[9:10], v[9:10], v[3:4], v[39:40]
	v_add_f64 v[37:38], v[37:38], v[25:26]
	s_waitcnt lgkmcnt(0)
	v_mul_f64 v[41:42], v[15:16], v[13:14]
	v_fma_f64 v[39:40], v[31:32], v[27:28], -v[29:30]
	ds_read_b128 v[19:22], v2 offset:2560
	ds_read_b128 v[23:26], v0 offset:4256
	v_mul_f64 v[13:14], v[17:18], v[13:14]
	v_add_f64 v[35:36], v[35:36], v[43:44]
	v_add_f64 v[37:38], v[37:38], v[33:34]
	s_waitcnt lgkmcnt(0)
	v_mul_f64 v[43:44], v[23:24], v[21:22]
	v_fma_f64 v[17:18], v[17:18], v[11:12], v[41:42]
	v_fma_f64 v[41:42], v[7:8], v[3:4], -v[5:6]
	ds_read_b128 v[27:30], v2 offset:2816
	ds_read_b128 v[31:34], v0 offset:4272
	v_mul_f64 v[21:22], v[25:26], v[21:22]
	v_add_f64 v[35:36], v[35:36], v[39:40]
	v_add_f64 v[37:38], v[37:38], v[9:10]
	v_fma_f64 v[25:26], v[25:26], v[19:20], v[43:44]
	s_waitcnt lgkmcnt(0)
	v_mul_f64 v[39:40], v[31:32], v[29:30]
	v_fma_f64 v[43:44], v[15:16], v[11:12], -v[13:14]
	ds_read_b128 v[3:6], v2 offset:3072
	ds_read_b128 v[7:10], v0 offset:4288
	v_mul_f64 v[29:30], v[33:34], v[29:30]
	v_add_f64 v[35:36], v[35:36], v[41:42]
	v_add_f64 v[37:38], v[37:38], v[17:18]
	ds_read_b128 v[11:14], v2 offset:3328
	ds_read_b128 v[15:18], v0 offset:4304
	s_waitcnt lgkmcnt(2)
	v_mul_f64 v[41:42], v[7:8], v[5:6]
	v_fma_f64 v[33:34], v[33:34], v[27:28], v[39:40]
	v_fma_f64 v[39:40], v[23:24], v[19:20], -v[21:22]
	v_mul_f64 v[5:6], v[9:10], v[5:6]
	v_add_f64 v[35:36], v[35:36], v[43:44]
	s_waitcnt lgkmcnt(0)
	v_mul_f64 v[43:44], v[15:16], v[13:14]
	v_add_f64 v[37:38], v[37:38], v[25:26]
	ds_read_b128 v[19:22], v2 offset:3584
	ds_read_b128 v[23:26], v0 offset:4320
	v_fma_f64 v[9:10], v[9:10], v[3:4], v[41:42]
	v_fma_f64 v[41:42], v[31:32], v[27:28], -v[29:30]
	v_mul_f64 v[13:14], v[17:18], v[13:14]
	v_fma_f64 v[3:4], v[7:8], v[3:4], -v[5:6]
	v_add_f64 v[35:36], v[35:36], v[39:40]
	s_waitcnt lgkmcnt(0)
	v_mul_f64 v[39:40], v[23:24], v[21:22]
	v_add_f64 v[37:38], v[37:38], v[33:34]
	v_fma_f64 v[17:18], v[17:18], v[11:12], v[43:44]
	ds_read_b128 v[27:30], v2 offset:3840
	ds_read_b128 v[31:34], v0 offset:4336
	v_mul_f64 v[21:22], v[25:26], v[21:22]
	v_fma_f64 v[11:12], v[15:16], v[11:12], -v[13:14]
	v_add_f64 v[5:6], v[35:36], v[41:42]
	v_fma_f64 v[25:26], v[25:26], v[19:20], v[39:40]
	v_add_f64 v[7:8], v[37:38], v[9:10]
	s_waitcnt lgkmcnt(0)
	v_mul_f64 v[9:10], v[31:32], v[29:30]
	v_fma_f64 v[13:14], v[23:24], v[19:20], -v[21:22]
	v_add_f64 v[3:4], v[5:6], v[3:4]
	v_add_f64 v[5:6], v[7:8], v[17:18]
	v_mul_f64 v[7:8], v[33:34], v[29:30]
	v_fma_f64 v[9:10], v[33:34], v[27:28], v[9:10]
	v_add_f64 v[3:4], v[3:4], v[11:12]
	v_add_f64 v[5:6], v[5:6], v[25:26]
	v_fma_f64 v[7:8], v[31:32], v[27:28], -v[7:8]
	v_add_f64 v[3:4], v[3:4], v[13:14]
	v_add_f64 v[5:6], v[5:6], v[9:10]
	v_mad_u64_u32 v[9:10], null, s22, v1, 0
	v_add_f64 v[3:4], v[3:4], v[7:8]
	v_mov_b32_e32 v0, v10
	v_mad_u64_u32 v[0:1], null, s23, v1, v[0:1]
	v_mov_b32_e32 v10, v0
	v_mul_f64 v[7:8], s[24:25], v[5:6]
	v_mul_f64 v[11:12], s[26:27], v[5:6]
	v_lshlrev_b64 v[0:1], 4, v[9:10]
	v_add_co_u32 v0, vcc_lo, s0, v0
	v_add_co_ci_u32_e64 v1, null, s1, v1, vcc_lo
	v_add_co_u32 v0, vcc_lo, v0, v2
	v_add_co_ci_u32_e64 v1, null, 0, v1, vcc_lo
	v_fma_f64 v[5:6], s[26:27], v[3:4], v[7:8]
	v_fma_f64 v[3:4], s[24:25], v[3:4], -v[11:12]
	flat_store_dwordx4 v[0:1], v[3:6]
.LBB181_15:
	s_endpgm
	.section	.rodata,"a",@progbits
	.p2align	6, 0x0
	.amdhsa_kernel _ZL23rocblas_trmm_lNx_kernelILi16E19rocblas_complex_numIdES1_KPKS1_KPS1_Ev13rocblas_fill_17rocblas_diagonal_iiT1_lPT2_llSB_llPT3_lli
		.amdhsa_group_segment_fixed_size 8192
		.amdhsa_private_segment_fixed_size 0
		.amdhsa_kernarg_size 116
		.amdhsa_user_sgpr_count 6
		.amdhsa_user_sgpr_private_segment_buffer 1
		.amdhsa_user_sgpr_dispatch_ptr 0
		.amdhsa_user_sgpr_queue_ptr 0
		.amdhsa_user_sgpr_kernarg_segment_ptr 1
		.amdhsa_user_sgpr_dispatch_id 0
		.amdhsa_user_sgpr_flat_scratch_init 0
		.amdhsa_user_sgpr_private_segment_size 0
		.amdhsa_wavefront_size32 1
		.amdhsa_uses_dynamic_stack 0
		.amdhsa_system_sgpr_private_segment_wavefront_offset 0
		.amdhsa_system_sgpr_workgroup_id_x 1
		.amdhsa_system_sgpr_workgroup_id_y 0
		.amdhsa_system_sgpr_workgroup_id_z 1
		.amdhsa_system_sgpr_workgroup_info 0
		.amdhsa_system_vgpr_workitem_id 1
		.amdhsa_next_free_vgpr 45
		.amdhsa_next_free_sgpr 36
		.amdhsa_reserve_vcc 1
		.amdhsa_reserve_flat_scratch 0
		.amdhsa_float_round_mode_32 0
		.amdhsa_float_round_mode_16_64 0
		.amdhsa_float_denorm_mode_32 3
		.amdhsa_float_denorm_mode_16_64 3
		.amdhsa_dx10_clamp 1
		.amdhsa_ieee_mode 1
		.amdhsa_fp16_overflow 0
		.amdhsa_workgroup_processor_mode 1
		.amdhsa_memory_ordered 1
		.amdhsa_forward_progress 1
		.amdhsa_shared_vgpr_count 0
		.amdhsa_exception_fp_ieee_invalid_op 0
		.amdhsa_exception_fp_denorm_src 0
		.amdhsa_exception_fp_ieee_div_zero 0
		.amdhsa_exception_fp_ieee_overflow 0
		.amdhsa_exception_fp_ieee_underflow 0
		.amdhsa_exception_fp_ieee_inexact 0
		.amdhsa_exception_int_div_zero 0
	.end_amdhsa_kernel
	.section	.text._ZL23rocblas_trmm_lNx_kernelILi16E19rocblas_complex_numIdES1_KPKS1_KPS1_Ev13rocblas_fill_17rocblas_diagonal_iiT1_lPT2_llSB_llPT3_lli,"axG",@progbits,_ZL23rocblas_trmm_lNx_kernelILi16E19rocblas_complex_numIdES1_KPKS1_KPS1_Ev13rocblas_fill_17rocblas_diagonal_iiT1_lPT2_llSB_llPT3_lli,comdat
.Lfunc_end181:
	.size	_ZL23rocblas_trmm_lNx_kernelILi16E19rocblas_complex_numIdES1_KPKS1_KPS1_Ev13rocblas_fill_17rocblas_diagonal_iiT1_lPT2_llSB_llPT3_lli, .Lfunc_end181-_ZL23rocblas_trmm_lNx_kernelILi16E19rocblas_complex_numIdES1_KPKS1_KPS1_Ev13rocblas_fill_17rocblas_diagonal_iiT1_lPT2_llSB_llPT3_lli
                                        ; -- End function
	.set _ZL23rocblas_trmm_lNx_kernelILi16E19rocblas_complex_numIdES1_KPKS1_KPS1_Ev13rocblas_fill_17rocblas_diagonal_iiT1_lPT2_llSB_llPT3_lli.num_vgpr, 45
	.set _ZL23rocblas_trmm_lNx_kernelILi16E19rocblas_complex_numIdES1_KPKS1_KPS1_Ev13rocblas_fill_17rocblas_diagonal_iiT1_lPT2_llSB_llPT3_lli.num_agpr, 0
	.set _ZL23rocblas_trmm_lNx_kernelILi16E19rocblas_complex_numIdES1_KPKS1_KPS1_Ev13rocblas_fill_17rocblas_diagonal_iiT1_lPT2_llSB_llPT3_lli.numbered_sgpr, 36
	.set _ZL23rocblas_trmm_lNx_kernelILi16E19rocblas_complex_numIdES1_KPKS1_KPS1_Ev13rocblas_fill_17rocblas_diagonal_iiT1_lPT2_llSB_llPT3_lli.num_named_barrier, 0
	.set _ZL23rocblas_trmm_lNx_kernelILi16E19rocblas_complex_numIdES1_KPKS1_KPS1_Ev13rocblas_fill_17rocblas_diagonal_iiT1_lPT2_llSB_llPT3_lli.private_seg_size, 0
	.set _ZL23rocblas_trmm_lNx_kernelILi16E19rocblas_complex_numIdES1_KPKS1_KPS1_Ev13rocblas_fill_17rocblas_diagonal_iiT1_lPT2_llSB_llPT3_lli.uses_vcc, 1
	.set _ZL23rocblas_trmm_lNx_kernelILi16E19rocblas_complex_numIdES1_KPKS1_KPS1_Ev13rocblas_fill_17rocblas_diagonal_iiT1_lPT2_llSB_llPT3_lli.uses_flat_scratch, 0
	.set _ZL23rocblas_trmm_lNx_kernelILi16E19rocblas_complex_numIdES1_KPKS1_KPS1_Ev13rocblas_fill_17rocblas_diagonal_iiT1_lPT2_llSB_llPT3_lli.has_dyn_sized_stack, 0
	.set _ZL23rocblas_trmm_lNx_kernelILi16E19rocblas_complex_numIdES1_KPKS1_KPS1_Ev13rocblas_fill_17rocblas_diagonal_iiT1_lPT2_llSB_llPT3_lli.has_recursion, 0
	.set _ZL23rocblas_trmm_lNx_kernelILi16E19rocblas_complex_numIdES1_KPKS1_KPS1_Ev13rocblas_fill_17rocblas_diagonal_iiT1_lPT2_llSB_llPT3_lli.has_indirect_call, 0
	.section	.AMDGPU.csdata,"",@progbits
; Kernel info:
; codeLenInByte = 1912
; TotalNumSgprs: 38
; NumVgprs: 45
; ScratchSize: 0
; MemoryBound: 0
; FloatMode: 240
; IeeeMode: 1
; LDSByteSize: 8192 bytes/workgroup (compile time only)
; SGPRBlocks: 0
; VGPRBlocks: 5
; NumSGPRsForWavesPerEU: 38
; NumVGPRsForWavesPerEU: 45
; Occupancy: 16
; WaveLimiterHint : 1
; COMPUTE_PGM_RSRC2:SCRATCH_EN: 0
; COMPUTE_PGM_RSRC2:USER_SGPR: 6
; COMPUTE_PGM_RSRC2:TRAP_HANDLER: 0
; COMPUTE_PGM_RSRC2:TGID_X_EN: 1
; COMPUTE_PGM_RSRC2:TGID_Y_EN: 0
; COMPUTE_PGM_RSRC2:TGID_Z_EN: 1
; COMPUTE_PGM_RSRC2:TIDIG_COMP_CNT: 1
	.section	.text._ZL23rocblas_trmm_lTx_kernelILi16ELb0E19rocblas_complex_numIdEPKS1_KS3_KPS1_Ev13rocblas_fill_17rocblas_diagonal_iiT2_lPT3_llSB_llPT4_lli,"axG",@progbits,_ZL23rocblas_trmm_lTx_kernelILi16ELb0E19rocblas_complex_numIdEPKS1_KS3_KPS1_Ev13rocblas_fill_17rocblas_diagonal_iiT2_lPT3_llSB_llPT4_lli,comdat
	.globl	_ZL23rocblas_trmm_lTx_kernelILi16ELb0E19rocblas_complex_numIdEPKS1_KS3_KPS1_Ev13rocblas_fill_17rocblas_diagonal_iiT2_lPT3_llSB_llPT4_lli ; -- Begin function _ZL23rocblas_trmm_lTx_kernelILi16ELb0E19rocblas_complex_numIdEPKS1_KS3_KPS1_Ev13rocblas_fill_17rocblas_diagonal_iiT2_lPT3_llSB_llPT4_lli
	.p2align	8
	.type	_ZL23rocblas_trmm_lTx_kernelILi16ELb0E19rocblas_complex_numIdEPKS1_KS3_KPS1_Ev13rocblas_fill_17rocblas_diagonal_iiT2_lPT3_llSB_llPT4_lli,@function
_ZL23rocblas_trmm_lTx_kernelILi16ELb0E19rocblas_complex_numIdEPKS1_KS3_KPS1_Ev13rocblas_fill_17rocblas_diagonal_iiT2_lPT3_llSB_llPT4_lli: ; @_ZL23rocblas_trmm_lTx_kernelILi16ELb0E19rocblas_complex_numIdEPKS1_KS3_KPS1_Ev13rocblas_fill_17rocblas_diagonal_iiT2_lPT3_llSB_llPT4_lli
; %bb.0:
	s_load_dwordx16 s[8:23], s[4:5], 0x10
	s_waitcnt lgkmcnt(0)
	s_mul_i32 s1, s11, s7
	s_mul_hi_u32 s2, s10, s7
	s_mul_i32 s0, s10, s7
	s_add_i32 s1, s2, s1
	s_lshl_b64 s[0:1], s[0:1], 4
	s_add_u32 s0, s8, s0
	s_addc_u32 s1, s9, s1
	s_load_dwordx4 s[8:11], s[0:1], 0x0
	s_waitcnt lgkmcnt(0)
	v_cmp_neq_f64_e64 s0, s[8:9], 0
	v_cmp_neq_f64_e64 s1, s[10:11], 0
	s_or_b32 s0, s0, s1
	s_andn2_b32 vcc_lo, exec_lo, s0
	s_cbranch_vccnz .LBB182_15
; %bb.1:
	s_clause 0x1
	s_load_dwordx4 s[0:3], s[4:5], 0x50
	s_load_dwordx4 s[24:27], s[4:5], 0x0
	s_mov_b32 s28, s7
	s_mov_b32 s29, 0
	v_lshlrev_b32_e32 v3, 4, v1
	s_lshl_b64 s[30:31], s[28:29], 3
	s_mov_b32 s28, s29
	s_add_u32 s12, s12, s30
	s_addc_u32 s13, s13, s31
	s_add_u32 s18, s18, s30
	s_addc_u32 s19, s19, s31
	s_load_dwordx2 s[34:35], s[12:13], 0x0
	v_add_lshl_u32 v4, v3, v0, 4
	v_lshlrev_b32_e32 v2, 4, v0
	s_waitcnt lgkmcnt(0)
	s_add_u32 s0, s0, s30
	s_addc_u32 s1, s1, s31
	s_load_dwordx2 s[18:19], s[18:19], 0x0
	s_load_dwordx2 s[12:13], s[0:1], 0x0
	s_mov_b32 s30, s29
	s_mov_b32 s31, s29
	v_cmp_gt_i32_e64 s0, s26, v1
	v_cmp_gt_i32_e32 vcc_lo, s26, v0
	v_mov_b32_e32 v5, s28
	v_mov_b32_e32 v6, s29
	v_mov_b32_e32 v7, s30
	v_mov_b32_e32 v8, s31
	s_and_b32 s0, s0, vcc_lo
	ds_write_b128 v4, v[5:8]
	ds_write_b128 v4, v[5:8] offset:4096
	s_waitcnt lgkmcnt(0)
	s_barrier
	buffer_gl0_inv
	s_and_saveexec_b32 s1, s0
	s_cbranch_execz .LBB182_3
; %bb.2:
	v_mad_u64_u32 v[5:6], null, s14, v1, 0
	v_lshl_add_u32 v9, v0, 8, v3
	v_mad_u64_u32 v[6:7], null, s15, v1, v[6:7]
	s_lshl_b64 s[14:15], s[16:17], 4
	s_add_u32 s0, s34, s14
	s_addc_u32 s7, s35, s15
	v_lshlrev_b64 v[5:6], 4, v[5:6]
	v_add_co_u32 v5, s0, s0, v5
	v_add_co_ci_u32_e64 v6, null, s7, v6, s0
	v_add_co_u32 v5, s0, v5, v2
	v_add_co_ci_u32_e64 v6, null, 0, v6, s0
	flat_load_dwordx4 v[5:8], v[5:6]
	s_waitcnt vmcnt(0) lgkmcnt(0)
	ds_write2_b64 v9, v[5:6], v[7:8] offset1:1
.LBB182_3:
	s_or_b32 exec_lo, exec_lo, s1
	s_add_i32 s0, s27, -1
	s_ashr_i32 s1, s0, 31
	s_lshr_b32 s1, s1, 28
	s_add_i32 s0, s0, s1
	s_and_b32 s1, s0, -16
	s_ashr_i32 s0, s0, 4
	s_sub_i32 s1, s27, s1
	s_cmp_ge_i32 s6, s0
	s_cselect_b32 s0, s1, 16
	s_lshl_b32 s1, s6, 4
	v_cmp_gt_i32_e64 s0, s0, v1
	s_ashr_i32 s6, s1, 31
	s_and_b32 s0, vcc_lo, s0
	s_and_saveexec_b32 s7, s0
	s_cbranch_execz .LBB182_5
; %bb.4:
	v_mad_u64_u32 v[5:6], null, s20, v1, 0
	s_lshl_b64 s[14:15], s[22:23], 4
	s_mul_i32 s16, s20, s6
	s_mul_hi_u32 s17, s20, s1
	s_add_u32 s18, s18, s14
	s_addc_u32 s19, s19, s15
	s_add_i32 s15, s17, s16
	v_mad_u64_u32 v[6:7], null, s21, v1, v[6:7]
	s_mul_i32 s21, s21, s1
	s_mul_i32 s14, s20, s1
	s_add_i32 s15, s15, s21
	v_add_nc_u32_e32 v9, 0x1000, v4
	s_lshl_b64 s[14:15], s[14:15], 4
	s_add_u32 s14, s18, s14
	v_lshlrev_b64 v[5:6], 4, v[5:6]
	s_addc_u32 s15, s19, s15
	v_add_co_u32 v5, vcc_lo, s14, v5
	v_add_co_ci_u32_e64 v6, null, s15, v6, vcc_lo
	v_add_co_u32 v5, vcc_lo, v5, v2
	v_add_co_ci_u32_e64 v6, null, 0, v6, vcc_lo
	flat_load_dwordx4 v[5:8], v[5:6]
	s_waitcnt vmcnt(0) lgkmcnt(0)
	ds_write2_b64 v9, v[5:6], v[7:8] offset1:1
.LBB182_5:
	s_or_b32 exec_lo, exec_lo, s7
	v_cmp_eq_u32_e32 vcc_lo, v1, v0
	s_cmpk_eq_i32 s25, 0x84
	s_cselect_b32 s7, -1, 0
	s_and_b32 s14, vcc_lo, s7
	s_and_saveexec_b32 s7, s14
	s_cbranch_execz .LBB182_7
; %bb.6:
	v_mov_b32_e32 v5, 0
	v_mov_b32_e32 v6, 0x3ff00000
	;; [unrolled: 1-line block ×4, first 2 shown]
	ds_write_b128 v4, v[5:8]
.LBB182_7:
	s_or_b32 exec_lo, exec_lo, s7
	s_cmpk_lg_i32 s24, 0x7a
	s_waitcnt lgkmcnt(0)
	s_barrier
	buffer_gl0_inv
	s_cbranch_scc0 .LBB182_9
; %bb.8:
	v_cmp_lt_u32_e32 vcc_lo, v0, v1
	s_and_b32 s7, vcc_lo, exec_lo
	s_cbranch_execz .LBB182_10
	s_branch .LBB182_11
.LBB182_9:
	s_mov_b32 s7, 0
.LBB182_10:
	v_cmp_gt_u32_e32 vcc_lo, v0, v1
	s_andn2_b32 s7, s7, exec_lo
	s_and_b32 s14, vcc_lo, exec_lo
	s_or_b32 s7, s7, s14
.LBB182_11:
	s_and_saveexec_b32 s14, s7
	s_cbranch_execz .LBB182_13
; %bb.12:
	v_mov_b32_e32 v5, 0
	v_mov_b32_e32 v6, v5
	;; [unrolled: 1-line block ×4, first 2 shown]
	ds_write_b128 v4, v[5:8]
.LBB182_13:
	s_or_b32 exec_lo, exec_lo, s14
	s_waitcnt lgkmcnt(0)
	s_barrier
	buffer_gl0_inv
	s_and_saveexec_b32 s7, s0
	s_cbranch_execz .LBB182_15
; %bb.14:
	v_lshlrev_b32_e32 v0, 4, v3
	s_load_dwordx2 s[4:5], s[4:5], 0x60
	s_mul_i32 s0, s2, s6
	s_mul_hi_u32 s6, s2, s1
	ds_read_b128 v[3:6], v0 offset:4096
	ds_read_b128 v[7:10], v2
	ds_read_b128 v[11:14], v2 offset:256
	ds_read_b128 v[15:18], v0 offset:4112
	;; [unrolled: 1-line block ×4, first 2 shown]
	s_waitcnt lgkmcnt(0)
	s_lshl_b64 s[4:5], s[4:5], 4
	s_add_u32 s4, s12, s4
	v_mul_f64 v[27:28], v[3:4], v[9:10]
	v_mul_f64 v[35:36], v[15:16], v[13:14]
	;; [unrolled: 1-line block ×6, first 2 shown]
	s_addc_u32 s5, s13, s5
	s_add_i32 s0, s6, s0
	v_fma_f64 v[5:6], v[5:6], v[7:8], v[27:28]
	v_fma_f64 v[17:18], v[17:18], v[11:12], v[35:36]
	v_fma_f64 v[35:36], v[3:4], v[7:8], -v[9:10]
	ds_read_b128 v[27:30], v2 offset:768
	ds_read_b128 v[31:34], v0 offset:4144
	v_fma_f64 v[25:26], v[25:26], v[19:20], v[37:38]
	v_fma_f64 v[37:38], v[15:16], v[11:12], -v[13:14]
	v_add_f64 v[39:40], v[5:6], 0
	s_waitcnt lgkmcnt(0)
	v_mul_f64 v[41:42], v[31:32], v[29:30]
	v_add_f64 v[35:36], v[35:36], 0
	ds_read_b128 v[3:6], v2 offset:1024
	ds_read_b128 v[7:10], v0 offset:4160
	v_mul_f64 v[29:30], v[33:34], v[29:30]
	v_add_f64 v[39:40], v[39:40], v[17:18]
	s_waitcnt lgkmcnt(0)
	v_mul_f64 v[43:44], v[7:8], v[5:6]
	v_fma_f64 v[33:34], v[33:34], v[27:28], v[41:42]
	v_fma_f64 v[41:42], v[23:24], v[19:20], -v[21:22]
	v_add_f64 v[35:36], v[35:36], v[37:38]
	ds_read_b128 v[11:14], v2 offset:1280
	ds_read_b128 v[15:18], v0 offset:4176
	v_mul_f64 v[5:6], v[9:10], v[5:6]
	v_add_f64 v[37:38], v[39:40], v[25:26]
	v_fma_f64 v[9:10], v[9:10], v[3:4], v[43:44]
	v_fma_f64 v[43:44], v[31:32], v[27:28], -v[29:30]
	s_waitcnt lgkmcnt(0)
	v_mul_f64 v[39:40], v[15:16], v[13:14]
	v_add_f64 v[35:36], v[35:36], v[41:42]
	ds_read_b128 v[19:22], v2 offset:1536
	ds_read_b128 v[23:26], v0 offset:4192
	v_mul_f64 v[13:14], v[17:18], v[13:14]
	v_add_f64 v[37:38], v[37:38], v[33:34]
	ds_read_b128 v[27:30], v2 offset:1792
	ds_read_b128 v[31:34], v0 offset:4208
	s_waitcnt lgkmcnt(2)
	v_mul_f64 v[41:42], v[23:24], v[21:22]
	v_fma_f64 v[17:18], v[17:18], v[11:12], v[39:40]
	v_fma_f64 v[39:40], v[7:8], v[3:4], -v[5:6]
	v_add_f64 v[35:36], v[35:36], v[43:44]
	v_mul_f64 v[21:22], v[25:26], v[21:22]
	s_waitcnt lgkmcnt(0)
	v_mul_f64 v[43:44], v[31:32], v[29:30]
	v_add_f64 v[37:38], v[37:38], v[9:10]
	ds_read_b128 v[3:6], v2 offset:2048
	ds_read_b128 v[7:10], v0 offset:4224
	v_mul_f64 v[29:30], v[33:34], v[29:30]
	v_fma_f64 v[25:26], v[25:26], v[19:20], v[41:42]
	v_fma_f64 v[41:42], v[15:16], v[11:12], -v[13:14]
	v_add_f64 v[35:36], v[35:36], v[39:40]
	s_waitcnt lgkmcnt(0)
	v_mul_f64 v[39:40], v[7:8], v[5:6]
	v_add_f64 v[37:38], v[37:38], v[17:18]
	v_fma_f64 v[33:34], v[33:34], v[27:28], v[43:44]
	v_fma_f64 v[43:44], v[23:24], v[19:20], -v[21:22]
	ds_read_b128 v[11:14], v2 offset:2304
	ds_read_b128 v[15:18], v0 offset:4240
	v_mul_f64 v[5:6], v[9:10], v[5:6]
	v_add_f64 v[35:36], v[35:36], v[41:42]
	v_fma_f64 v[9:10], v[9:10], v[3:4], v[39:40]
	v_add_f64 v[37:38], v[37:38], v[25:26]
	s_waitcnt lgkmcnt(0)
	v_mul_f64 v[41:42], v[15:16], v[13:14]
	v_fma_f64 v[39:40], v[31:32], v[27:28], -v[29:30]
	ds_read_b128 v[19:22], v2 offset:2560
	ds_read_b128 v[23:26], v0 offset:4256
	v_mul_f64 v[13:14], v[17:18], v[13:14]
	v_add_f64 v[35:36], v[35:36], v[43:44]
	v_add_f64 v[37:38], v[37:38], v[33:34]
	s_waitcnt lgkmcnt(0)
	v_mul_f64 v[43:44], v[23:24], v[21:22]
	v_fma_f64 v[17:18], v[17:18], v[11:12], v[41:42]
	v_fma_f64 v[41:42], v[7:8], v[3:4], -v[5:6]
	ds_read_b128 v[27:30], v2 offset:2816
	ds_read_b128 v[31:34], v0 offset:4272
	v_mul_f64 v[21:22], v[25:26], v[21:22]
	v_add_f64 v[35:36], v[35:36], v[39:40]
	v_add_f64 v[37:38], v[37:38], v[9:10]
	v_fma_f64 v[25:26], v[25:26], v[19:20], v[43:44]
	s_waitcnt lgkmcnt(0)
	v_mul_f64 v[39:40], v[31:32], v[29:30]
	v_fma_f64 v[43:44], v[15:16], v[11:12], -v[13:14]
	ds_read_b128 v[3:6], v2 offset:3072
	ds_read_b128 v[7:10], v0 offset:4288
	v_mul_f64 v[29:30], v[33:34], v[29:30]
	v_add_f64 v[35:36], v[35:36], v[41:42]
	v_add_f64 v[37:38], v[37:38], v[17:18]
	ds_read_b128 v[11:14], v2 offset:3328
	ds_read_b128 v[15:18], v0 offset:4304
	s_waitcnt lgkmcnt(2)
	v_mul_f64 v[41:42], v[7:8], v[5:6]
	v_fma_f64 v[33:34], v[33:34], v[27:28], v[39:40]
	v_fma_f64 v[39:40], v[23:24], v[19:20], -v[21:22]
	v_mul_f64 v[5:6], v[9:10], v[5:6]
	v_add_f64 v[35:36], v[35:36], v[43:44]
	s_waitcnt lgkmcnt(0)
	v_mul_f64 v[43:44], v[15:16], v[13:14]
	v_add_f64 v[37:38], v[37:38], v[25:26]
	ds_read_b128 v[19:22], v2 offset:3584
	ds_read_b128 v[23:26], v0 offset:4320
	v_fma_f64 v[9:10], v[9:10], v[3:4], v[41:42]
	v_fma_f64 v[41:42], v[31:32], v[27:28], -v[29:30]
	v_mul_f64 v[13:14], v[17:18], v[13:14]
	v_fma_f64 v[3:4], v[7:8], v[3:4], -v[5:6]
	v_add_f64 v[35:36], v[35:36], v[39:40]
	s_waitcnt lgkmcnt(0)
	v_mul_f64 v[39:40], v[23:24], v[21:22]
	v_add_f64 v[37:38], v[37:38], v[33:34]
	v_fma_f64 v[17:18], v[17:18], v[11:12], v[43:44]
	ds_read_b128 v[27:30], v2 offset:3840
	ds_read_b128 v[31:34], v0 offset:4336
	v_mul_f64 v[21:22], v[25:26], v[21:22]
	v_fma_f64 v[11:12], v[15:16], v[11:12], -v[13:14]
	v_add_f64 v[5:6], v[35:36], v[41:42]
	v_fma_f64 v[25:26], v[25:26], v[19:20], v[39:40]
	v_add_f64 v[7:8], v[37:38], v[9:10]
	s_waitcnt lgkmcnt(0)
	v_mul_f64 v[9:10], v[31:32], v[29:30]
	v_fma_f64 v[13:14], v[23:24], v[19:20], -v[21:22]
	v_add_f64 v[3:4], v[5:6], v[3:4]
	v_add_f64 v[5:6], v[7:8], v[17:18]
	v_mul_f64 v[7:8], v[33:34], v[29:30]
	v_fma_f64 v[9:10], v[33:34], v[27:28], v[9:10]
	v_add_f64 v[3:4], v[3:4], v[11:12]
	v_add_f64 v[5:6], v[5:6], v[25:26]
	v_fma_f64 v[7:8], v[31:32], v[27:28], -v[7:8]
	v_add_f64 v[3:4], v[3:4], v[13:14]
	v_add_f64 v[5:6], v[5:6], v[9:10]
	v_mad_u64_u32 v[9:10], null, s2, v1, 0
	s_mul_i32 s2, s2, s1
	v_add_f64 v[3:4], v[3:4], v[7:8]
	v_mov_b32_e32 v0, v10
	v_mad_u64_u32 v[0:1], null, s3, v1, v[0:1]
	s_mul_i32 s3, s3, s1
	s_add_i32 s3, s0, s3
	s_lshl_b64 s[0:1], s[2:3], 4
	v_mul_f64 v[7:8], s[8:9], v[5:6]
	v_mul_f64 v[11:12], s[10:11], v[5:6]
	v_mov_b32_e32 v10, v0
	s_add_u32 s0, s4, s0
	s_addc_u32 s1, s5, s1
	v_lshlrev_b64 v[0:1], 4, v[9:10]
	v_add_co_u32 v0, vcc_lo, s0, v0
	v_add_co_ci_u32_e64 v1, null, s1, v1, vcc_lo
	v_add_co_u32 v0, vcc_lo, v0, v2
	v_add_co_ci_u32_e64 v1, null, 0, v1, vcc_lo
	v_fma_f64 v[5:6], s[10:11], v[3:4], v[7:8]
	v_fma_f64 v[3:4], s[8:9], v[3:4], -v[11:12]
	flat_store_dwordx4 v[0:1], v[3:6]
.LBB182_15:
	s_endpgm
	.section	.rodata,"a",@progbits
	.p2align	6, 0x0
	.amdhsa_kernel _ZL23rocblas_trmm_lTx_kernelILi16ELb0E19rocblas_complex_numIdEPKS1_KS3_KPS1_Ev13rocblas_fill_17rocblas_diagonal_iiT2_lPT3_llSB_llPT4_lli
		.amdhsa_group_segment_fixed_size 8192
		.amdhsa_private_segment_fixed_size 0
		.amdhsa_kernarg_size 108
		.amdhsa_user_sgpr_count 6
		.amdhsa_user_sgpr_private_segment_buffer 1
		.amdhsa_user_sgpr_dispatch_ptr 0
		.amdhsa_user_sgpr_queue_ptr 0
		.amdhsa_user_sgpr_kernarg_segment_ptr 1
		.amdhsa_user_sgpr_dispatch_id 0
		.amdhsa_user_sgpr_flat_scratch_init 0
		.amdhsa_user_sgpr_private_segment_size 0
		.amdhsa_wavefront_size32 1
		.amdhsa_uses_dynamic_stack 0
		.amdhsa_system_sgpr_private_segment_wavefront_offset 0
		.amdhsa_system_sgpr_workgroup_id_x 1
		.amdhsa_system_sgpr_workgroup_id_y 0
		.amdhsa_system_sgpr_workgroup_id_z 1
		.amdhsa_system_sgpr_workgroup_info 0
		.amdhsa_system_vgpr_workitem_id 1
		.amdhsa_next_free_vgpr 45
		.amdhsa_next_free_sgpr 36
		.amdhsa_reserve_vcc 1
		.amdhsa_reserve_flat_scratch 0
		.amdhsa_float_round_mode_32 0
		.amdhsa_float_round_mode_16_64 0
		.amdhsa_float_denorm_mode_32 3
		.amdhsa_float_denorm_mode_16_64 3
		.amdhsa_dx10_clamp 1
		.amdhsa_ieee_mode 1
		.amdhsa_fp16_overflow 0
		.amdhsa_workgroup_processor_mode 1
		.amdhsa_memory_ordered 1
		.amdhsa_forward_progress 1
		.amdhsa_shared_vgpr_count 0
		.amdhsa_exception_fp_ieee_invalid_op 0
		.amdhsa_exception_fp_denorm_src 0
		.amdhsa_exception_fp_ieee_div_zero 0
		.amdhsa_exception_fp_ieee_overflow 0
		.amdhsa_exception_fp_ieee_underflow 0
		.amdhsa_exception_fp_ieee_inexact 0
		.amdhsa_exception_int_div_zero 0
	.end_amdhsa_kernel
	.section	.text._ZL23rocblas_trmm_lTx_kernelILi16ELb0E19rocblas_complex_numIdEPKS1_KS3_KPS1_Ev13rocblas_fill_17rocblas_diagonal_iiT2_lPT3_llSB_llPT4_lli,"axG",@progbits,_ZL23rocblas_trmm_lTx_kernelILi16ELb0E19rocblas_complex_numIdEPKS1_KS3_KPS1_Ev13rocblas_fill_17rocblas_diagonal_iiT2_lPT3_llSB_llPT4_lli,comdat
.Lfunc_end182:
	.size	_ZL23rocblas_trmm_lTx_kernelILi16ELb0E19rocblas_complex_numIdEPKS1_KS3_KPS1_Ev13rocblas_fill_17rocblas_diagonal_iiT2_lPT3_llSB_llPT4_lli, .Lfunc_end182-_ZL23rocblas_trmm_lTx_kernelILi16ELb0E19rocblas_complex_numIdEPKS1_KS3_KPS1_Ev13rocblas_fill_17rocblas_diagonal_iiT2_lPT3_llSB_llPT4_lli
                                        ; -- End function
	.set _ZL23rocblas_trmm_lTx_kernelILi16ELb0E19rocblas_complex_numIdEPKS1_KS3_KPS1_Ev13rocblas_fill_17rocblas_diagonal_iiT2_lPT3_llSB_llPT4_lli.num_vgpr, 45
	.set _ZL23rocblas_trmm_lTx_kernelILi16ELb0E19rocblas_complex_numIdEPKS1_KS3_KPS1_Ev13rocblas_fill_17rocblas_diagonal_iiT2_lPT3_llSB_llPT4_lli.num_agpr, 0
	.set _ZL23rocblas_trmm_lTx_kernelILi16ELb0E19rocblas_complex_numIdEPKS1_KS3_KPS1_Ev13rocblas_fill_17rocblas_diagonal_iiT2_lPT3_llSB_llPT4_lli.numbered_sgpr, 36
	.set _ZL23rocblas_trmm_lTx_kernelILi16ELb0E19rocblas_complex_numIdEPKS1_KS3_KPS1_Ev13rocblas_fill_17rocblas_diagonal_iiT2_lPT3_llSB_llPT4_lli.num_named_barrier, 0
	.set _ZL23rocblas_trmm_lTx_kernelILi16ELb0E19rocblas_complex_numIdEPKS1_KS3_KPS1_Ev13rocblas_fill_17rocblas_diagonal_iiT2_lPT3_llSB_llPT4_lli.private_seg_size, 0
	.set _ZL23rocblas_trmm_lTx_kernelILi16ELb0E19rocblas_complex_numIdEPKS1_KS3_KPS1_Ev13rocblas_fill_17rocblas_diagonal_iiT2_lPT3_llSB_llPT4_lli.uses_vcc, 1
	.set _ZL23rocblas_trmm_lTx_kernelILi16ELb0E19rocblas_complex_numIdEPKS1_KS3_KPS1_Ev13rocblas_fill_17rocblas_diagonal_iiT2_lPT3_llSB_llPT4_lli.uses_flat_scratch, 0
	.set _ZL23rocblas_trmm_lTx_kernelILi16ELb0E19rocblas_complex_numIdEPKS1_KS3_KPS1_Ev13rocblas_fill_17rocblas_diagonal_iiT2_lPT3_llSB_llPT4_lli.has_dyn_sized_stack, 0
	.set _ZL23rocblas_trmm_lTx_kernelILi16ELb0E19rocblas_complex_numIdEPKS1_KS3_KPS1_Ev13rocblas_fill_17rocblas_diagonal_iiT2_lPT3_llSB_llPT4_lli.has_recursion, 0
	.set _ZL23rocblas_trmm_lTx_kernelILi16ELb0E19rocblas_complex_numIdEPKS1_KS3_KPS1_Ev13rocblas_fill_17rocblas_diagonal_iiT2_lPT3_llSB_llPT4_lli.has_indirect_call, 0
	.section	.AMDGPU.csdata,"",@progbits
; Kernel info:
; codeLenInByte = 1988
; TotalNumSgprs: 38
; NumVgprs: 45
; ScratchSize: 0
; MemoryBound: 0
; FloatMode: 240
; IeeeMode: 1
; LDSByteSize: 8192 bytes/workgroup (compile time only)
; SGPRBlocks: 0
; VGPRBlocks: 5
; NumSGPRsForWavesPerEU: 38
; NumVGPRsForWavesPerEU: 45
; Occupancy: 16
; WaveLimiterHint : 1
; COMPUTE_PGM_RSRC2:SCRATCH_EN: 0
; COMPUTE_PGM_RSRC2:USER_SGPR: 6
; COMPUTE_PGM_RSRC2:TRAP_HANDLER: 0
; COMPUTE_PGM_RSRC2:TGID_X_EN: 1
; COMPUTE_PGM_RSRC2:TGID_Y_EN: 0
; COMPUTE_PGM_RSRC2:TGID_Z_EN: 1
; COMPUTE_PGM_RSRC2:TIDIG_COMP_CNT: 1
	.section	.text._ZL23rocblas_trmm_lTx_kernelILi16ELb0E19rocblas_complex_numIdES1_KPKS1_KPS1_Ev13rocblas_fill_17rocblas_diagonal_iiT2_lPT3_llSB_llPT4_lli,"axG",@progbits,_ZL23rocblas_trmm_lTx_kernelILi16ELb0E19rocblas_complex_numIdES1_KPKS1_KPS1_Ev13rocblas_fill_17rocblas_diagonal_iiT2_lPT3_llSB_llPT4_lli,comdat
	.globl	_ZL23rocblas_trmm_lTx_kernelILi16ELb0E19rocblas_complex_numIdES1_KPKS1_KPS1_Ev13rocblas_fill_17rocblas_diagonal_iiT2_lPT3_llSB_llPT4_lli ; -- Begin function _ZL23rocblas_trmm_lTx_kernelILi16ELb0E19rocblas_complex_numIdES1_KPKS1_KPS1_Ev13rocblas_fill_17rocblas_diagonal_iiT2_lPT3_llSB_llPT4_lli
	.p2align	8
	.type	_ZL23rocblas_trmm_lTx_kernelILi16ELb0E19rocblas_complex_numIdES1_KPKS1_KPS1_Ev13rocblas_fill_17rocblas_diagonal_iiT2_lPT3_llSB_llPT4_lli,@function
_ZL23rocblas_trmm_lTx_kernelILi16ELb0E19rocblas_complex_numIdES1_KPKS1_KPS1_Ev13rocblas_fill_17rocblas_diagonal_iiT2_lPT3_llSB_llPT4_lli: ; @_ZL23rocblas_trmm_lTx_kernelILi16ELb0E19rocblas_complex_numIdES1_KPKS1_KPS1_Ev13rocblas_fill_17rocblas_diagonal_iiT2_lPT3_llSB_llPT4_lli
; %bb.0:
	s_load_dwordx4 s[24:27], s[4:5], 0x10
	s_waitcnt lgkmcnt(0)
	v_cmp_neq_f64_e64 s1, s[24:25], 0
	v_cmp_neq_f64_e64 s2, s[26:27], 0
	s_or_b32 s1, s1, s2
	s_andn2_b32 vcc_lo, exec_lo, s1
	s_cbranch_vccnz .LBB183_15
; %bb.1:
	s_load_dwordx16 s[8:23], s[4:5], 0x28
	s_mov_b32 s0, s7
	s_mov_b32 s1, 0
	s_load_dwordx4 s[28:31], s[4:5], 0x0
	s_lshl_b64 s[2:3], s[0:1], 3
	v_lshlrev_b32_e32 v3, 4, v1
	s_mov_b32 s0, s1
	v_lshlrev_b32_e32 v2, 4, v0
	v_add_lshl_u32 v4, v3, v0, 4
	s_waitcnt lgkmcnt(0)
	s_add_u32 s8, s8, s2
	s_addc_u32 s9, s9, s3
	s_add_u32 s14, s14, s2
	s_addc_u32 s15, s15, s3
	;; [unrolled: 2-line block ×3, first 2 shown]
	s_load_dwordx2 s[34:35], s[8:9], 0x0
	s_load_dwordx2 s[14:15], s[14:15], 0x0
	;; [unrolled: 1-line block ×3, first 2 shown]
	s_mov_b32 s3, s1
	s_mov_b32 s2, s1
	v_mov_b32_e32 v8, s3
	v_mov_b32_e32 v7, s2
	;; [unrolled: 1-line block ×4, first 2 shown]
	v_cmp_gt_i32_e64 s0, s30, v1
	v_cmp_gt_i32_e32 vcc_lo, s30, v0
	ds_write_b128 v4, v[5:8]
	ds_write_b128 v4, v[5:8] offset:4096
	s_and_b32 s0, s0, vcc_lo
	s_waitcnt lgkmcnt(0)
	s_barrier
	buffer_gl0_inv
	s_and_saveexec_b32 s1, s0
	s_cbranch_execz .LBB183_3
; %bb.2:
	v_mad_u64_u32 v[5:6], null, s10, v1, 0
	s_lshl_b64 s[2:3], s[12:13], 4
	v_lshl_add_u32 v9, v0, 8, v3
	s_add_u32 s0, s34, s2
	s_addc_u32 s2, s35, s3
	v_mad_u64_u32 v[6:7], null, s11, v1, v[6:7]
	v_lshlrev_b64 v[5:6], 4, v[5:6]
	v_add_co_u32 v5, s0, s0, v5
	v_add_co_ci_u32_e64 v6, null, s2, v6, s0
	v_add_co_u32 v5, s0, v5, v2
	v_add_co_ci_u32_e64 v6, null, 0, v6, s0
	flat_load_dwordx4 v[5:8], v[5:6]
	s_waitcnt vmcnt(0) lgkmcnt(0)
	ds_write2_b64 v9, v[5:6], v[7:8] offset1:1
.LBB183_3:
	s_or_b32 exec_lo, exec_lo, s1
	s_add_i32 s0, s31, -1
	s_ashr_i32 s1, s0, 31
	s_lshr_b32 s1, s1, 28
	s_add_i32 s0, s0, s1
	s_and_b32 s1, s0, -16
	s_ashr_i32 s0, s0, 4
	s_sub_i32 s1, s31, s1
	s_cmp_ge_i32 s6, s0
	s_cselect_b32 s0, s1, 16
	s_lshl_b32 s1, s6, 4
	v_cmp_gt_i32_e64 s0, s0, v1
	s_ashr_i32 s2, s1, 31
	s_and_b32 s0, vcc_lo, s0
	s_and_saveexec_b32 s3, s0
	s_cbranch_execz .LBB183_5
; %bb.4:
	v_mad_u64_u32 v[5:6], null, s16, v1, 0
	s_lshl_b64 s[6:7], s[18:19], 4
	s_mul_i32 s10, s16, s2
	s_mul_hi_u32 s11, s16, s1
	s_add_u32 s13, s14, s6
	s_mul_i32 s12, s17, s1
	s_addc_u32 s14, s15, s7
	v_mad_u64_u32 v[6:7], null, s17, v1, v[6:7]
	s_add_i32 s7, s11, s10
	s_mul_i32 s6, s16, s1
	s_add_i32 s7, s7, s12
	v_add_nc_u32_e32 v9, 0x1000, v4
	s_lshl_b64 s[6:7], s[6:7], 4
	s_add_u32 s6, s13, s6
	v_lshlrev_b64 v[5:6], 4, v[5:6]
	s_addc_u32 s7, s14, s7
	v_add_co_u32 v5, vcc_lo, s6, v5
	v_add_co_ci_u32_e64 v6, null, s7, v6, vcc_lo
	v_add_co_u32 v5, vcc_lo, v5, v2
	v_add_co_ci_u32_e64 v6, null, 0, v6, vcc_lo
	flat_load_dwordx4 v[5:8], v[5:6]
	s_waitcnt vmcnt(0) lgkmcnt(0)
	ds_write2_b64 v9, v[5:6], v[7:8] offset1:1
.LBB183_5:
	s_or_b32 exec_lo, exec_lo, s3
	v_cmp_eq_u32_e32 vcc_lo, v1, v0
	s_cmpk_eq_i32 s29, 0x84
	s_cselect_b32 s3, -1, 0
	s_and_b32 s6, vcc_lo, s3
	s_and_saveexec_b32 s3, s6
	s_cbranch_execz .LBB183_7
; %bb.6:
	v_mov_b32_e32 v5, 0
	v_mov_b32_e32 v6, 0x3ff00000
	;; [unrolled: 1-line block ×4, first 2 shown]
	ds_write_b128 v4, v[5:8]
.LBB183_7:
	s_or_b32 exec_lo, exec_lo, s3
	s_cmpk_lg_i32 s28, 0x7a
	s_waitcnt lgkmcnt(0)
	s_barrier
	buffer_gl0_inv
	s_cbranch_scc0 .LBB183_9
; %bb.8:
	v_cmp_lt_u32_e32 vcc_lo, v0, v1
	s_and_b32 s3, vcc_lo, exec_lo
	s_cbranch_execz .LBB183_10
	s_branch .LBB183_11
.LBB183_9:
	s_mov_b32 s3, 0
.LBB183_10:
	v_cmp_gt_u32_e32 vcc_lo, v0, v1
	s_andn2_b32 s3, s3, exec_lo
	s_and_b32 s6, vcc_lo, exec_lo
	s_or_b32 s3, s3, s6
.LBB183_11:
	s_and_saveexec_b32 s6, s3
	s_cbranch_execz .LBB183_13
; %bb.12:
	v_mov_b32_e32 v5, 0
	v_mov_b32_e32 v6, v5
	v_mov_b32_e32 v7, v5
	v_mov_b32_e32 v8, v5
	ds_write_b128 v4, v[5:8]
.LBB183_13:
	s_or_b32 exec_lo, exec_lo, s6
	s_waitcnt lgkmcnt(0)
	s_barrier
	buffer_gl0_inv
	s_and_saveexec_b32 s3, s0
	s_cbranch_execz .LBB183_15
; %bb.14:
	v_lshlrev_b32_e32 v0, 4, v3
	s_load_dwordx2 s[4:5], s[4:5], 0x68
	s_mul_i32 s0, s22, s2
	s_mul_hi_u32 s6, s22, s1
	s_mul_i32 s7, s23, s1
	ds_read_b128 v[3:6], v0 offset:4096
	ds_read_b128 v[7:10], v2
	ds_read_b128 v[11:14], v2 offset:256
	ds_read_b128 v[15:18], v0 offset:4112
	;; [unrolled: 1-line block ×4, first 2 shown]
	s_waitcnt lgkmcnt(0)
	s_lshl_b64 s[2:3], s[4:5], 4
	s_add_u32 s4, s8, s2
	v_mul_f64 v[27:28], v[3:4], v[9:10]
	v_mul_f64 v[35:36], v[15:16], v[13:14]
	;; [unrolled: 1-line block ×6, first 2 shown]
	s_addc_u32 s5, s9, s3
	s_add_i32 s0, s6, s0
	s_mul_i32 s2, s22, s1
	s_add_i32 s3, s0, s7
	s_lshl_b64 s[0:1], s[2:3], 4
	s_add_u32 s0, s4, s0
	s_addc_u32 s1, s5, s1
	v_fma_f64 v[5:6], v[5:6], v[7:8], v[27:28]
	v_fma_f64 v[17:18], v[17:18], v[11:12], v[35:36]
	v_fma_f64 v[35:36], v[3:4], v[7:8], -v[9:10]
	ds_read_b128 v[27:30], v2 offset:768
	ds_read_b128 v[31:34], v0 offset:4144
	v_fma_f64 v[25:26], v[25:26], v[19:20], v[37:38]
	v_fma_f64 v[37:38], v[15:16], v[11:12], -v[13:14]
	v_add_f64 v[39:40], v[5:6], 0
	s_waitcnt lgkmcnt(0)
	v_mul_f64 v[41:42], v[31:32], v[29:30]
	v_add_f64 v[35:36], v[35:36], 0
	ds_read_b128 v[3:6], v2 offset:1024
	ds_read_b128 v[7:10], v0 offset:4160
	v_mul_f64 v[29:30], v[33:34], v[29:30]
	v_add_f64 v[39:40], v[39:40], v[17:18]
	s_waitcnt lgkmcnt(0)
	v_mul_f64 v[43:44], v[7:8], v[5:6]
	v_fma_f64 v[33:34], v[33:34], v[27:28], v[41:42]
	v_fma_f64 v[41:42], v[23:24], v[19:20], -v[21:22]
	v_add_f64 v[35:36], v[35:36], v[37:38]
	ds_read_b128 v[11:14], v2 offset:1280
	ds_read_b128 v[15:18], v0 offset:4176
	v_mul_f64 v[5:6], v[9:10], v[5:6]
	v_add_f64 v[37:38], v[39:40], v[25:26]
	v_fma_f64 v[9:10], v[9:10], v[3:4], v[43:44]
	v_fma_f64 v[43:44], v[31:32], v[27:28], -v[29:30]
	s_waitcnt lgkmcnt(0)
	v_mul_f64 v[39:40], v[15:16], v[13:14]
	v_add_f64 v[35:36], v[35:36], v[41:42]
	ds_read_b128 v[19:22], v2 offset:1536
	ds_read_b128 v[23:26], v0 offset:4192
	v_mul_f64 v[13:14], v[17:18], v[13:14]
	v_add_f64 v[37:38], v[37:38], v[33:34]
	ds_read_b128 v[27:30], v2 offset:1792
	ds_read_b128 v[31:34], v0 offset:4208
	s_waitcnt lgkmcnt(2)
	v_mul_f64 v[41:42], v[23:24], v[21:22]
	v_fma_f64 v[17:18], v[17:18], v[11:12], v[39:40]
	v_fma_f64 v[39:40], v[7:8], v[3:4], -v[5:6]
	v_add_f64 v[35:36], v[35:36], v[43:44]
	v_mul_f64 v[21:22], v[25:26], v[21:22]
	s_waitcnt lgkmcnt(0)
	v_mul_f64 v[43:44], v[31:32], v[29:30]
	v_add_f64 v[37:38], v[37:38], v[9:10]
	ds_read_b128 v[3:6], v2 offset:2048
	ds_read_b128 v[7:10], v0 offset:4224
	v_mul_f64 v[29:30], v[33:34], v[29:30]
	v_fma_f64 v[25:26], v[25:26], v[19:20], v[41:42]
	v_fma_f64 v[41:42], v[15:16], v[11:12], -v[13:14]
	v_add_f64 v[35:36], v[35:36], v[39:40]
	s_waitcnt lgkmcnt(0)
	v_mul_f64 v[39:40], v[7:8], v[5:6]
	v_add_f64 v[37:38], v[37:38], v[17:18]
	v_fma_f64 v[33:34], v[33:34], v[27:28], v[43:44]
	v_fma_f64 v[43:44], v[23:24], v[19:20], -v[21:22]
	ds_read_b128 v[11:14], v2 offset:2304
	ds_read_b128 v[15:18], v0 offset:4240
	v_mul_f64 v[5:6], v[9:10], v[5:6]
	v_add_f64 v[35:36], v[35:36], v[41:42]
	v_fma_f64 v[9:10], v[9:10], v[3:4], v[39:40]
	v_add_f64 v[37:38], v[37:38], v[25:26]
	s_waitcnt lgkmcnt(0)
	v_mul_f64 v[41:42], v[15:16], v[13:14]
	v_fma_f64 v[39:40], v[31:32], v[27:28], -v[29:30]
	ds_read_b128 v[19:22], v2 offset:2560
	ds_read_b128 v[23:26], v0 offset:4256
	v_mul_f64 v[13:14], v[17:18], v[13:14]
	v_add_f64 v[35:36], v[35:36], v[43:44]
	v_add_f64 v[37:38], v[37:38], v[33:34]
	s_waitcnt lgkmcnt(0)
	v_mul_f64 v[43:44], v[23:24], v[21:22]
	v_fma_f64 v[17:18], v[17:18], v[11:12], v[41:42]
	v_fma_f64 v[41:42], v[7:8], v[3:4], -v[5:6]
	ds_read_b128 v[27:30], v2 offset:2816
	ds_read_b128 v[31:34], v0 offset:4272
	v_mul_f64 v[21:22], v[25:26], v[21:22]
	v_add_f64 v[35:36], v[35:36], v[39:40]
	v_add_f64 v[37:38], v[37:38], v[9:10]
	v_fma_f64 v[25:26], v[25:26], v[19:20], v[43:44]
	s_waitcnt lgkmcnt(0)
	v_mul_f64 v[39:40], v[31:32], v[29:30]
	v_fma_f64 v[43:44], v[15:16], v[11:12], -v[13:14]
	ds_read_b128 v[3:6], v2 offset:3072
	ds_read_b128 v[7:10], v0 offset:4288
	v_mul_f64 v[29:30], v[33:34], v[29:30]
	v_add_f64 v[35:36], v[35:36], v[41:42]
	v_add_f64 v[37:38], v[37:38], v[17:18]
	ds_read_b128 v[11:14], v2 offset:3328
	ds_read_b128 v[15:18], v0 offset:4304
	s_waitcnt lgkmcnt(2)
	v_mul_f64 v[41:42], v[7:8], v[5:6]
	v_fma_f64 v[33:34], v[33:34], v[27:28], v[39:40]
	v_fma_f64 v[39:40], v[23:24], v[19:20], -v[21:22]
	v_mul_f64 v[5:6], v[9:10], v[5:6]
	v_add_f64 v[35:36], v[35:36], v[43:44]
	s_waitcnt lgkmcnt(0)
	v_mul_f64 v[43:44], v[15:16], v[13:14]
	v_add_f64 v[37:38], v[37:38], v[25:26]
	ds_read_b128 v[19:22], v2 offset:3584
	ds_read_b128 v[23:26], v0 offset:4320
	v_fma_f64 v[9:10], v[9:10], v[3:4], v[41:42]
	v_fma_f64 v[41:42], v[31:32], v[27:28], -v[29:30]
	v_mul_f64 v[13:14], v[17:18], v[13:14]
	v_fma_f64 v[3:4], v[7:8], v[3:4], -v[5:6]
	v_add_f64 v[35:36], v[35:36], v[39:40]
	s_waitcnt lgkmcnt(0)
	v_mul_f64 v[39:40], v[23:24], v[21:22]
	v_add_f64 v[37:38], v[37:38], v[33:34]
	v_fma_f64 v[17:18], v[17:18], v[11:12], v[43:44]
	ds_read_b128 v[27:30], v2 offset:3840
	ds_read_b128 v[31:34], v0 offset:4336
	v_mul_f64 v[21:22], v[25:26], v[21:22]
	v_fma_f64 v[11:12], v[15:16], v[11:12], -v[13:14]
	v_add_f64 v[5:6], v[35:36], v[41:42]
	v_fma_f64 v[25:26], v[25:26], v[19:20], v[39:40]
	v_add_f64 v[7:8], v[37:38], v[9:10]
	s_waitcnt lgkmcnt(0)
	v_mul_f64 v[9:10], v[31:32], v[29:30]
	v_fma_f64 v[13:14], v[23:24], v[19:20], -v[21:22]
	v_add_f64 v[3:4], v[5:6], v[3:4]
	v_add_f64 v[5:6], v[7:8], v[17:18]
	v_mul_f64 v[7:8], v[33:34], v[29:30]
	v_fma_f64 v[9:10], v[33:34], v[27:28], v[9:10]
	v_add_f64 v[3:4], v[3:4], v[11:12]
	v_add_f64 v[5:6], v[5:6], v[25:26]
	v_fma_f64 v[7:8], v[31:32], v[27:28], -v[7:8]
	v_add_f64 v[3:4], v[3:4], v[13:14]
	v_add_f64 v[5:6], v[5:6], v[9:10]
	v_mad_u64_u32 v[9:10], null, s22, v1, 0
	v_add_f64 v[3:4], v[3:4], v[7:8]
	v_mov_b32_e32 v0, v10
	v_mad_u64_u32 v[0:1], null, s23, v1, v[0:1]
	v_mov_b32_e32 v10, v0
	v_mul_f64 v[7:8], s[24:25], v[5:6]
	v_mul_f64 v[11:12], s[26:27], v[5:6]
	v_lshlrev_b64 v[0:1], 4, v[9:10]
	v_add_co_u32 v0, vcc_lo, s0, v0
	v_add_co_ci_u32_e64 v1, null, s1, v1, vcc_lo
	v_add_co_u32 v0, vcc_lo, v0, v2
	v_add_co_ci_u32_e64 v1, null, 0, v1, vcc_lo
	v_fma_f64 v[5:6], s[26:27], v[3:4], v[7:8]
	v_fma_f64 v[3:4], s[24:25], v[3:4], -v[11:12]
	flat_store_dwordx4 v[0:1], v[3:6]
.LBB183_15:
	s_endpgm
	.section	.rodata,"a",@progbits
	.p2align	6, 0x0
	.amdhsa_kernel _ZL23rocblas_trmm_lTx_kernelILi16ELb0E19rocblas_complex_numIdES1_KPKS1_KPS1_Ev13rocblas_fill_17rocblas_diagonal_iiT2_lPT3_llSB_llPT4_lli
		.amdhsa_group_segment_fixed_size 8192
		.amdhsa_private_segment_fixed_size 0
		.amdhsa_kernarg_size 116
		.amdhsa_user_sgpr_count 6
		.amdhsa_user_sgpr_private_segment_buffer 1
		.amdhsa_user_sgpr_dispatch_ptr 0
		.amdhsa_user_sgpr_queue_ptr 0
		.amdhsa_user_sgpr_kernarg_segment_ptr 1
		.amdhsa_user_sgpr_dispatch_id 0
		.amdhsa_user_sgpr_flat_scratch_init 0
		.amdhsa_user_sgpr_private_segment_size 0
		.amdhsa_wavefront_size32 1
		.amdhsa_uses_dynamic_stack 0
		.amdhsa_system_sgpr_private_segment_wavefront_offset 0
		.amdhsa_system_sgpr_workgroup_id_x 1
		.amdhsa_system_sgpr_workgroup_id_y 0
		.amdhsa_system_sgpr_workgroup_id_z 1
		.amdhsa_system_sgpr_workgroup_info 0
		.amdhsa_system_vgpr_workitem_id 1
		.amdhsa_next_free_vgpr 45
		.amdhsa_next_free_sgpr 36
		.amdhsa_reserve_vcc 1
		.amdhsa_reserve_flat_scratch 0
		.amdhsa_float_round_mode_32 0
		.amdhsa_float_round_mode_16_64 0
		.amdhsa_float_denorm_mode_32 3
		.amdhsa_float_denorm_mode_16_64 3
		.amdhsa_dx10_clamp 1
		.amdhsa_ieee_mode 1
		.amdhsa_fp16_overflow 0
		.amdhsa_workgroup_processor_mode 1
		.amdhsa_memory_ordered 1
		.amdhsa_forward_progress 1
		.amdhsa_shared_vgpr_count 0
		.amdhsa_exception_fp_ieee_invalid_op 0
		.amdhsa_exception_fp_denorm_src 0
		.amdhsa_exception_fp_ieee_div_zero 0
		.amdhsa_exception_fp_ieee_overflow 0
		.amdhsa_exception_fp_ieee_underflow 0
		.amdhsa_exception_fp_ieee_inexact 0
		.amdhsa_exception_int_div_zero 0
	.end_amdhsa_kernel
	.section	.text._ZL23rocblas_trmm_lTx_kernelILi16ELb0E19rocblas_complex_numIdES1_KPKS1_KPS1_Ev13rocblas_fill_17rocblas_diagonal_iiT2_lPT3_llSB_llPT4_lli,"axG",@progbits,_ZL23rocblas_trmm_lTx_kernelILi16ELb0E19rocblas_complex_numIdES1_KPKS1_KPS1_Ev13rocblas_fill_17rocblas_diagonal_iiT2_lPT3_llSB_llPT4_lli,comdat
.Lfunc_end183:
	.size	_ZL23rocblas_trmm_lTx_kernelILi16ELb0E19rocblas_complex_numIdES1_KPKS1_KPS1_Ev13rocblas_fill_17rocblas_diagonal_iiT2_lPT3_llSB_llPT4_lli, .Lfunc_end183-_ZL23rocblas_trmm_lTx_kernelILi16ELb0E19rocblas_complex_numIdES1_KPKS1_KPS1_Ev13rocblas_fill_17rocblas_diagonal_iiT2_lPT3_llSB_llPT4_lli
                                        ; -- End function
	.set _ZL23rocblas_trmm_lTx_kernelILi16ELb0E19rocblas_complex_numIdES1_KPKS1_KPS1_Ev13rocblas_fill_17rocblas_diagonal_iiT2_lPT3_llSB_llPT4_lli.num_vgpr, 45
	.set _ZL23rocblas_trmm_lTx_kernelILi16ELb0E19rocblas_complex_numIdES1_KPKS1_KPS1_Ev13rocblas_fill_17rocblas_diagonal_iiT2_lPT3_llSB_llPT4_lli.num_agpr, 0
	.set _ZL23rocblas_trmm_lTx_kernelILi16ELb0E19rocblas_complex_numIdES1_KPKS1_KPS1_Ev13rocblas_fill_17rocblas_diagonal_iiT2_lPT3_llSB_llPT4_lli.numbered_sgpr, 36
	.set _ZL23rocblas_trmm_lTx_kernelILi16ELb0E19rocblas_complex_numIdES1_KPKS1_KPS1_Ev13rocblas_fill_17rocblas_diagonal_iiT2_lPT3_llSB_llPT4_lli.num_named_barrier, 0
	.set _ZL23rocblas_trmm_lTx_kernelILi16ELb0E19rocblas_complex_numIdES1_KPKS1_KPS1_Ev13rocblas_fill_17rocblas_diagonal_iiT2_lPT3_llSB_llPT4_lli.private_seg_size, 0
	.set _ZL23rocblas_trmm_lTx_kernelILi16ELb0E19rocblas_complex_numIdES1_KPKS1_KPS1_Ev13rocblas_fill_17rocblas_diagonal_iiT2_lPT3_llSB_llPT4_lli.uses_vcc, 1
	.set _ZL23rocblas_trmm_lTx_kernelILi16ELb0E19rocblas_complex_numIdES1_KPKS1_KPS1_Ev13rocblas_fill_17rocblas_diagonal_iiT2_lPT3_llSB_llPT4_lli.uses_flat_scratch, 0
	.set _ZL23rocblas_trmm_lTx_kernelILi16ELb0E19rocblas_complex_numIdES1_KPKS1_KPS1_Ev13rocblas_fill_17rocblas_diagonal_iiT2_lPT3_llSB_llPT4_lli.has_dyn_sized_stack, 0
	.set _ZL23rocblas_trmm_lTx_kernelILi16ELb0E19rocblas_complex_numIdES1_KPKS1_KPS1_Ev13rocblas_fill_17rocblas_diagonal_iiT2_lPT3_llSB_llPT4_lli.has_recursion, 0
	.set _ZL23rocblas_trmm_lTx_kernelILi16ELb0E19rocblas_complex_numIdES1_KPKS1_KPS1_Ev13rocblas_fill_17rocblas_diagonal_iiT2_lPT3_llSB_llPT4_lli.has_indirect_call, 0
	.section	.AMDGPU.csdata,"",@progbits
; Kernel info:
; codeLenInByte = 1944
; TotalNumSgprs: 38
; NumVgprs: 45
; ScratchSize: 0
; MemoryBound: 0
; FloatMode: 240
; IeeeMode: 1
; LDSByteSize: 8192 bytes/workgroup (compile time only)
; SGPRBlocks: 0
; VGPRBlocks: 5
; NumSGPRsForWavesPerEU: 38
; NumVGPRsForWavesPerEU: 45
; Occupancy: 16
; WaveLimiterHint : 1
; COMPUTE_PGM_RSRC2:SCRATCH_EN: 0
; COMPUTE_PGM_RSRC2:USER_SGPR: 6
; COMPUTE_PGM_RSRC2:TRAP_HANDLER: 0
; COMPUTE_PGM_RSRC2:TGID_X_EN: 1
; COMPUTE_PGM_RSRC2:TGID_Y_EN: 0
; COMPUTE_PGM_RSRC2:TGID_Z_EN: 1
; COMPUTE_PGM_RSRC2:TIDIG_COMP_CNT: 1
	.section	.text._ZL23rocblas_trmm_lTx_kernelILi16ELb1E19rocblas_complex_numIdEPKS1_KS3_KPS1_Ev13rocblas_fill_17rocblas_diagonal_iiT2_lPT3_llSB_llPT4_lli,"axG",@progbits,_ZL23rocblas_trmm_lTx_kernelILi16ELb1E19rocblas_complex_numIdEPKS1_KS3_KPS1_Ev13rocblas_fill_17rocblas_diagonal_iiT2_lPT3_llSB_llPT4_lli,comdat
	.globl	_ZL23rocblas_trmm_lTx_kernelILi16ELb1E19rocblas_complex_numIdEPKS1_KS3_KPS1_Ev13rocblas_fill_17rocblas_diagonal_iiT2_lPT3_llSB_llPT4_lli ; -- Begin function _ZL23rocblas_trmm_lTx_kernelILi16ELb1E19rocblas_complex_numIdEPKS1_KS3_KPS1_Ev13rocblas_fill_17rocblas_diagonal_iiT2_lPT3_llSB_llPT4_lli
	.p2align	8
	.type	_ZL23rocblas_trmm_lTx_kernelILi16ELb1E19rocblas_complex_numIdEPKS1_KS3_KPS1_Ev13rocblas_fill_17rocblas_diagonal_iiT2_lPT3_llSB_llPT4_lli,@function
_ZL23rocblas_trmm_lTx_kernelILi16ELb1E19rocblas_complex_numIdEPKS1_KS3_KPS1_Ev13rocblas_fill_17rocblas_diagonal_iiT2_lPT3_llSB_llPT4_lli: ; @_ZL23rocblas_trmm_lTx_kernelILi16ELb1E19rocblas_complex_numIdEPKS1_KS3_KPS1_Ev13rocblas_fill_17rocblas_diagonal_iiT2_lPT3_llSB_llPT4_lli
; %bb.0:
	s_load_dwordx16 s[8:23], s[4:5], 0x10
	s_waitcnt lgkmcnt(0)
	s_mul_i32 s1, s11, s7
	s_mul_hi_u32 s2, s10, s7
	s_mul_i32 s0, s10, s7
	s_add_i32 s1, s2, s1
	s_lshl_b64 s[0:1], s[0:1], 4
	s_add_u32 s0, s8, s0
	s_addc_u32 s1, s9, s1
	s_load_dwordx4 s[8:11], s[0:1], 0x0
	s_waitcnt lgkmcnt(0)
	v_cmp_neq_f64_e64 s0, s[8:9], 0
	v_cmp_neq_f64_e64 s1, s[10:11], 0
	s_or_b32 s0, s0, s1
	s_andn2_b32 vcc_lo, exec_lo, s0
	s_cbranch_vccnz .LBB184_15
; %bb.1:
	s_clause 0x1
	s_load_dwordx4 s[0:3], s[4:5], 0x50
	s_load_dwordx4 s[24:27], s[4:5], 0x0
	s_mov_b32 s28, s7
	s_mov_b32 s29, 0
	v_lshlrev_b32_e32 v3, 4, v1
	s_lshl_b64 s[30:31], s[28:29], 3
	s_mov_b32 s28, s29
	s_add_u32 s12, s12, s30
	s_addc_u32 s13, s13, s31
	s_add_u32 s18, s18, s30
	s_addc_u32 s19, s19, s31
	s_load_dwordx2 s[34:35], s[12:13], 0x0
	v_add_lshl_u32 v4, v3, v0, 4
	v_lshlrev_b32_e32 v2, 4, v0
	s_waitcnt lgkmcnt(0)
	s_add_u32 s0, s0, s30
	s_addc_u32 s1, s1, s31
	s_load_dwordx2 s[18:19], s[18:19], 0x0
	s_load_dwordx2 s[12:13], s[0:1], 0x0
	s_mov_b32 s30, s29
	s_mov_b32 s31, s29
	v_cmp_gt_i32_e64 s0, s26, v1
	v_cmp_gt_i32_e32 vcc_lo, s26, v0
	v_mov_b32_e32 v5, s28
	v_mov_b32_e32 v6, s29
	;; [unrolled: 1-line block ×4, first 2 shown]
	s_and_b32 s0, s0, vcc_lo
	ds_write_b128 v4, v[5:8]
	ds_write_b128 v4, v[5:8] offset:4096
	s_waitcnt lgkmcnt(0)
	s_barrier
	buffer_gl0_inv
	s_and_saveexec_b32 s1, s0
	s_cbranch_execz .LBB184_3
; %bb.2:
	v_mad_u64_u32 v[5:6], null, s14, v1, 0
	v_lshl_add_u32 v9, v0, 8, v3
	v_mad_u64_u32 v[6:7], null, s15, v1, v[6:7]
	s_lshl_b64 s[14:15], s[16:17], 4
	s_add_u32 s0, s34, s14
	s_addc_u32 s7, s35, s15
	v_lshlrev_b64 v[5:6], 4, v[5:6]
	v_add_co_u32 v5, s0, s0, v5
	v_add_co_ci_u32_e64 v6, null, s7, v6, s0
	v_add_co_u32 v5, s0, v5, v2
	v_add_co_ci_u32_e64 v6, null, 0, v6, s0
	flat_load_dwordx4 v[5:8], v[5:6]
	s_waitcnt vmcnt(0) lgkmcnt(0)
	v_xor_b32_e32 v8, 0x80000000, v8
	ds_write_b128 v9, v[5:8]
.LBB184_3:
	s_or_b32 exec_lo, exec_lo, s1
	s_add_i32 s0, s27, -1
	s_ashr_i32 s1, s0, 31
	s_lshr_b32 s1, s1, 28
	s_add_i32 s0, s0, s1
	s_and_b32 s1, s0, -16
	s_ashr_i32 s0, s0, 4
	s_sub_i32 s1, s27, s1
	s_cmp_ge_i32 s6, s0
	s_cselect_b32 s0, s1, 16
	s_lshl_b32 s1, s6, 4
	v_cmp_gt_i32_e64 s0, s0, v1
	s_ashr_i32 s6, s1, 31
	s_and_b32 s0, vcc_lo, s0
	s_and_saveexec_b32 s7, s0
	s_cbranch_execz .LBB184_5
; %bb.4:
	v_mad_u64_u32 v[5:6], null, s20, v1, 0
	s_lshl_b64 s[14:15], s[22:23], 4
	s_mul_i32 s16, s20, s6
	s_mul_hi_u32 s17, s20, s1
	s_add_u32 s18, s18, s14
	s_addc_u32 s19, s19, s15
	s_add_i32 s15, s17, s16
	v_mad_u64_u32 v[6:7], null, s21, v1, v[6:7]
	s_mul_i32 s21, s21, s1
	s_mul_i32 s14, s20, s1
	s_add_i32 s15, s15, s21
	v_add_nc_u32_e32 v9, 0x1000, v4
	s_lshl_b64 s[14:15], s[14:15], 4
	s_add_u32 s14, s18, s14
	v_lshlrev_b64 v[5:6], 4, v[5:6]
	s_addc_u32 s15, s19, s15
	v_add_co_u32 v5, vcc_lo, s14, v5
	v_add_co_ci_u32_e64 v6, null, s15, v6, vcc_lo
	v_add_co_u32 v5, vcc_lo, v5, v2
	v_add_co_ci_u32_e64 v6, null, 0, v6, vcc_lo
	flat_load_dwordx4 v[5:8], v[5:6]
	s_waitcnt vmcnt(0) lgkmcnt(0)
	ds_write2_b64 v9, v[5:6], v[7:8] offset1:1
.LBB184_5:
	s_or_b32 exec_lo, exec_lo, s7
	v_cmp_eq_u32_e32 vcc_lo, v1, v0
	s_cmpk_eq_i32 s25, 0x84
	s_cselect_b32 s7, -1, 0
	s_and_b32 s14, vcc_lo, s7
	s_and_saveexec_b32 s7, s14
	s_cbranch_execz .LBB184_7
; %bb.6:
	v_mov_b32_e32 v5, 0
	v_mov_b32_e32 v6, 0x3ff00000
	;; [unrolled: 1-line block ×4, first 2 shown]
	ds_write_b128 v4, v[5:8]
.LBB184_7:
	s_or_b32 exec_lo, exec_lo, s7
	s_cmpk_lg_i32 s24, 0x7a
	s_waitcnt lgkmcnt(0)
	s_barrier
	buffer_gl0_inv
	s_cbranch_scc0 .LBB184_9
; %bb.8:
	v_cmp_lt_u32_e32 vcc_lo, v0, v1
	s_and_b32 s7, vcc_lo, exec_lo
	s_cbranch_execz .LBB184_10
	s_branch .LBB184_11
.LBB184_9:
	s_mov_b32 s7, 0
.LBB184_10:
	v_cmp_gt_u32_e32 vcc_lo, v0, v1
	s_andn2_b32 s7, s7, exec_lo
	s_and_b32 s14, vcc_lo, exec_lo
	s_or_b32 s7, s7, s14
.LBB184_11:
	s_and_saveexec_b32 s14, s7
	s_cbranch_execz .LBB184_13
; %bb.12:
	v_mov_b32_e32 v5, 0
	v_mov_b32_e32 v6, v5
	;; [unrolled: 1-line block ×4, first 2 shown]
	ds_write_b128 v4, v[5:8]
.LBB184_13:
	s_or_b32 exec_lo, exec_lo, s14
	s_waitcnt lgkmcnt(0)
	s_barrier
	buffer_gl0_inv
	s_and_saveexec_b32 s7, s0
	s_cbranch_execz .LBB184_15
; %bb.14:
	v_lshlrev_b32_e32 v0, 4, v3
	s_load_dwordx2 s[4:5], s[4:5], 0x60
	s_mul_i32 s0, s2, s6
	s_mul_hi_u32 s6, s2, s1
	ds_read_b128 v[3:6], v0 offset:4096
	ds_read_b128 v[7:10], v2
	ds_read_b128 v[11:14], v2 offset:256
	ds_read_b128 v[15:18], v0 offset:4112
	;; [unrolled: 1-line block ×4, first 2 shown]
	s_waitcnt lgkmcnt(0)
	s_lshl_b64 s[4:5], s[4:5], 4
	s_add_u32 s4, s12, s4
	v_mul_f64 v[27:28], v[3:4], v[9:10]
	v_mul_f64 v[35:36], v[15:16], v[13:14]
	;; [unrolled: 1-line block ×6, first 2 shown]
	s_addc_u32 s5, s13, s5
	s_add_i32 s0, s6, s0
	v_fma_f64 v[5:6], v[5:6], v[7:8], v[27:28]
	v_fma_f64 v[17:18], v[17:18], v[11:12], v[35:36]
	v_fma_f64 v[35:36], v[3:4], v[7:8], -v[9:10]
	ds_read_b128 v[27:30], v2 offset:768
	ds_read_b128 v[31:34], v0 offset:4144
	v_fma_f64 v[25:26], v[25:26], v[19:20], v[37:38]
	v_fma_f64 v[37:38], v[15:16], v[11:12], -v[13:14]
	v_add_f64 v[39:40], v[5:6], 0
	s_waitcnt lgkmcnt(0)
	v_mul_f64 v[41:42], v[31:32], v[29:30]
	v_add_f64 v[35:36], v[35:36], 0
	ds_read_b128 v[3:6], v2 offset:1024
	ds_read_b128 v[7:10], v0 offset:4160
	v_mul_f64 v[29:30], v[33:34], v[29:30]
	v_add_f64 v[39:40], v[39:40], v[17:18]
	s_waitcnt lgkmcnt(0)
	v_mul_f64 v[43:44], v[7:8], v[5:6]
	v_fma_f64 v[33:34], v[33:34], v[27:28], v[41:42]
	v_fma_f64 v[41:42], v[23:24], v[19:20], -v[21:22]
	v_add_f64 v[35:36], v[35:36], v[37:38]
	ds_read_b128 v[11:14], v2 offset:1280
	ds_read_b128 v[15:18], v0 offset:4176
	v_mul_f64 v[5:6], v[9:10], v[5:6]
	v_add_f64 v[37:38], v[39:40], v[25:26]
	v_fma_f64 v[9:10], v[9:10], v[3:4], v[43:44]
	v_fma_f64 v[43:44], v[31:32], v[27:28], -v[29:30]
	s_waitcnt lgkmcnt(0)
	v_mul_f64 v[39:40], v[15:16], v[13:14]
	v_add_f64 v[35:36], v[35:36], v[41:42]
	ds_read_b128 v[19:22], v2 offset:1536
	ds_read_b128 v[23:26], v0 offset:4192
	v_mul_f64 v[13:14], v[17:18], v[13:14]
	v_add_f64 v[37:38], v[37:38], v[33:34]
	ds_read_b128 v[27:30], v2 offset:1792
	ds_read_b128 v[31:34], v0 offset:4208
	s_waitcnt lgkmcnt(2)
	v_mul_f64 v[41:42], v[23:24], v[21:22]
	v_fma_f64 v[17:18], v[17:18], v[11:12], v[39:40]
	v_fma_f64 v[39:40], v[7:8], v[3:4], -v[5:6]
	v_add_f64 v[35:36], v[35:36], v[43:44]
	v_mul_f64 v[21:22], v[25:26], v[21:22]
	s_waitcnt lgkmcnt(0)
	v_mul_f64 v[43:44], v[31:32], v[29:30]
	v_add_f64 v[37:38], v[37:38], v[9:10]
	ds_read_b128 v[3:6], v2 offset:2048
	ds_read_b128 v[7:10], v0 offset:4224
	v_mul_f64 v[29:30], v[33:34], v[29:30]
	v_fma_f64 v[25:26], v[25:26], v[19:20], v[41:42]
	v_fma_f64 v[41:42], v[15:16], v[11:12], -v[13:14]
	v_add_f64 v[35:36], v[35:36], v[39:40]
	s_waitcnt lgkmcnt(0)
	v_mul_f64 v[39:40], v[7:8], v[5:6]
	v_add_f64 v[37:38], v[37:38], v[17:18]
	v_fma_f64 v[33:34], v[33:34], v[27:28], v[43:44]
	v_fma_f64 v[43:44], v[23:24], v[19:20], -v[21:22]
	ds_read_b128 v[11:14], v2 offset:2304
	ds_read_b128 v[15:18], v0 offset:4240
	v_mul_f64 v[5:6], v[9:10], v[5:6]
	v_add_f64 v[35:36], v[35:36], v[41:42]
	v_fma_f64 v[9:10], v[9:10], v[3:4], v[39:40]
	v_add_f64 v[37:38], v[37:38], v[25:26]
	s_waitcnt lgkmcnt(0)
	v_mul_f64 v[41:42], v[15:16], v[13:14]
	v_fma_f64 v[39:40], v[31:32], v[27:28], -v[29:30]
	ds_read_b128 v[19:22], v2 offset:2560
	ds_read_b128 v[23:26], v0 offset:4256
	v_mul_f64 v[13:14], v[17:18], v[13:14]
	v_add_f64 v[35:36], v[35:36], v[43:44]
	v_add_f64 v[37:38], v[37:38], v[33:34]
	s_waitcnt lgkmcnt(0)
	v_mul_f64 v[43:44], v[23:24], v[21:22]
	v_fma_f64 v[17:18], v[17:18], v[11:12], v[41:42]
	v_fma_f64 v[41:42], v[7:8], v[3:4], -v[5:6]
	ds_read_b128 v[27:30], v2 offset:2816
	ds_read_b128 v[31:34], v0 offset:4272
	v_mul_f64 v[21:22], v[25:26], v[21:22]
	v_add_f64 v[35:36], v[35:36], v[39:40]
	v_add_f64 v[37:38], v[37:38], v[9:10]
	v_fma_f64 v[25:26], v[25:26], v[19:20], v[43:44]
	s_waitcnt lgkmcnt(0)
	v_mul_f64 v[39:40], v[31:32], v[29:30]
	v_fma_f64 v[43:44], v[15:16], v[11:12], -v[13:14]
	ds_read_b128 v[3:6], v2 offset:3072
	ds_read_b128 v[7:10], v0 offset:4288
	v_mul_f64 v[29:30], v[33:34], v[29:30]
	v_add_f64 v[35:36], v[35:36], v[41:42]
	v_add_f64 v[37:38], v[37:38], v[17:18]
	ds_read_b128 v[11:14], v2 offset:3328
	ds_read_b128 v[15:18], v0 offset:4304
	s_waitcnt lgkmcnt(2)
	v_mul_f64 v[41:42], v[7:8], v[5:6]
	v_fma_f64 v[33:34], v[33:34], v[27:28], v[39:40]
	v_fma_f64 v[39:40], v[23:24], v[19:20], -v[21:22]
	v_mul_f64 v[5:6], v[9:10], v[5:6]
	v_add_f64 v[35:36], v[35:36], v[43:44]
	s_waitcnt lgkmcnt(0)
	v_mul_f64 v[43:44], v[15:16], v[13:14]
	v_add_f64 v[37:38], v[37:38], v[25:26]
	ds_read_b128 v[19:22], v2 offset:3584
	ds_read_b128 v[23:26], v0 offset:4320
	v_fma_f64 v[9:10], v[9:10], v[3:4], v[41:42]
	v_fma_f64 v[41:42], v[31:32], v[27:28], -v[29:30]
	v_mul_f64 v[13:14], v[17:18], v[13:14]
	v_fma_f64 v[3:4], v[7:8], v[3:4], -v[5:6]
	v_add_f64 v[35:36], v[35:36], v[39:40]
	s_waitcnt lgkmcnt(0)
	v_mul_f64 v[39:40], v[23:24], v[21:22]
	v_add_f64 v[37:38], v[37:38], v[33:34]
	v_fma_f64 v[17:18], v[17:18], v[11:12], v[43:44]
	ds_read_b128 v[27:30], v2 offset:3840
	ds_read_b128 v[31:34], v0 offset:4336
	v_mul_f64 v[21:22], v[25:26], v[21:22]
	v_fma_f64 v[11:12], v[15:16], v[11:12], -v[13:14]
	v_add_f64 v[5:6], v[35:36], v[41:42]
	v_fma_f64 v[25:26], v[25:26], v[19:20], v[39:40]
	v_add_f64 v[7:8], v[37:38], v[9:10]
	s_waitcnt lgkmcnt(0)
	v_mul_f64 v[9:10], v[31:32], v[29:30]
	v_fma_f64 v[13:14], v[23:24], v[19:20], -v[21:22]
	v_add_f64 v[3:4], v[5:6], v[3:4]
	v_add_f64 v[5:6], v[7:8], v[17:18]
	v_mul_f64 v[7:8], v[33:34], v[29:30]
	v_fma_f64 v[9:10], v[33:34], v[27:28], v[9:10]
	v_add_f64 v[3:4], v[3:4], v[11:12]
	v_add_f64 v[5:6], v[5:6], v[25:26]
	v_fma_f64 v[7:8], v[31:32], v[27:28], -v[7:8]
	v_add_f64 v[3:4], v[3:4], v[13:14]
	v_add_f64 v[5:6], v[5:6], v[9:10]
	v_mad_u64_u32 v[9:10], null, s2, v1, 0
	s_mul_i32 s2, s2, s1
	v_add_f64 v[3:4], v[3:4], v[7:8]
	v_mov_b32_e32 v0, v10
	v_mad_u64_u32 v[0:1], null, s3, v1, v[0:1]
	s_mul_i32 s3, s3, s1
	s_add_i32 s3, s0, s3
	s_lshl_b64 s[0:1], s[2:3], 4
	v_mul_f64 v[7:8], s[8:9], v[5:6]
	v_mul_f64 v[11:12], s[10:11], v[5:6]
	v_mov_b32_e32 v10, v0
	s_add_u32 s0, s4, s0
	s_addc_u32 s1, s5, s1
	v_lshlrev_b64 v[0:1], 4, v[9:10]
	v_add_co_u32 v0, vcc_lo, s0, v0
	v_add_co_ci_u32_e64 v1, null, s1, v1, vcc_lo
	v_add_co_u32 v0, vcc_lo, v0, v2
	v_add_co_ci_u32_e64 v1, null, 0, v1, vcc_lo
	v_fma_f64 v[5:6], s[10:11], v[3:4], v[7:8]
	v_fma_f64 v[3:4], s[8:9], v[3:4], -v[11:12]
	flat_store_dwordx4 v[0:1], v[3:6]
.LBB184_15:
	s_endpgm
	.section	.rodata,"a",@progbits
	.p2align	6, 0x0
	.amdhsa_kernel _ZL23rocblas_trmm_lTx_kernelILi16ELb1E19rocblas_complex_numIdEPKS1_KS3_KPS1_Ev13rocblas_fill_17rocblas_diagonal_iiT2_lPT3_llSB_llPT4_lli
		.amdhsa_group_segment_fixed_size 8192
		.amdhsa_private_segment_fixed_size 0
		.amdhsa_kernarg_size 108
		.amdhsa_user_sgpr_count 6
		.amdhsa_user_sgpr_private_segment_buffer 1
		.amdhsa_user_sgpr_dispatch_ptr 0
		.amdhsa_user_sgpr_queue_ptr 0
		.amdhsa_user_sgpr_kernarg_segment_ptr 1
		.amdhsa_user_sgpr_dispatch_id 0
		.amdhsa_user_sgpr_flat_scratch_init 0
		.amdhsa_user_sgpr_private_segment_size 0
		.amdhsa_wavefront_size32 1
		.amdhsa_uses_dynamic_stack 0
		.amdhsa_system_sgpr_private_segment_wavefront_offset 0
		.amdhsa_system_sgpr_workgroup_id_x 1
		.amdhsa_system_sgpr_workgroup_id_y 0
		.amdhsa_system_sgpr_workgroup_id_z 1
		.amdhsa_system_sgpr_workgroup_info 0
		.amdhsa_system_vgpr_workitem_id 1
		.amdhsa_next_free_vgpr 45
		.amdhsa_next_free_sgpr 36
		.amdhsa_reserve_vcc 1
		.amdhsa_reserve_flat_scratch 0
		.amdhsa_float_round_mode_32 0
		.amdhsa_float_round_mode_16_64 0
		.amdhsa_float_denorm_mode_32 3
		.amdhsa_float_denorm_mode_16_64 3
		.amdhsa_dx10_clamp 1
		.amdhsa_ieee_mode 1
		.amdhsa_fp16_overflow 0
		.amdhsa_workgroup_processor_mode 1
		.amdhsa_memory_ordered 1
		.amdhsa_forward_progress 1
		.amdhsa_shared_vgpr_count 0
		.amdhsa_exception_fp_ieee_invalid_op 0
		.amdhsa_exception_fp_denorm_src 0
		.amdhsa_exception_fp_ieee_div_zero 0
		.amdhsa_exception_fp_ieee_overflow 0
		.amdhsa_exception_fp_ieee_underflow 0
		.amdhsa_exception_fp_ieee_inexact 0
		.amdhsa_exception_int_div_zero 0
	.end_amdhsa_kernel
	.section	.text._ZL23rocblas_trmm_lTx_kernelILi16ELb1E19rocblas_complex_numIdEPKS1_KS3_KPS1_Ev13rocblas_fill_17rocblas_diagonal_iiT2_lPT3_llSB_llPT4_lli,"axG",@progbits,_ZL23rocblas_trmm_lTx_kernelILi16ELb1E19rocblas_complex_numIdEPKS1_KS3_KPS1_Ev13rocblas_fill_17rocblas_diagonal_iiT2_lPT3_llSB_llPT4_lli,comdat
.Lfunc_end184:
	.size	_ZL23rocblas_trmm_lTx_kernelILi16ELb1E19rocblas_complex_numIdEPKS1_KS3_KPS1_Ev13rocblas_fill_17rocblas_diagonal_iiT2_lPT3_llSB_llPT4_lli, .Lfunc_end184-_ZL23rocblas_trmm_lTx_kernelILi16ELb1E19rocblas_complex_numIdEPKS1_KS3_KPS1_Ev13rocblas_fill_17rocblas_diagonal_iiT2_lPT3_llSB_llPT4_lli
                                        ; -- End function
	.set _ZL23rocblas_trmm_lTx_kernelILi16ELb1E19rocblas_complex_numIdEPKS1_KS3_KPS1_Ev13rocblas_fill_17rocblas_diagonal_iiT2_lPT3_llSB_llPT4_lli.num_vgpr, 45
	.set _ZL23rocblas_trmm_lTx_kernelILi16ELb1E19rocblas_complex_numIdEPKS1_KS3_KPS1_Ev13rocblas_fill_17rocblas_diagonal_iiT2_lPT3_llSB_llPT4_lli.num_agpr, 0
	.set _ZL23rocblas_trmm_lTx_kernelILi16ELb1E19rocblas_complex_numIdEPKS1_KS3_KPS1_Ev13rocblas_fill_17rocblas_diagonal_iiT2_lPT3_llSB_llPT4_lli.numbered_sgpr, 36
	.set _ZL23rocblas_trmm_lTx_kernelILi16ELb1E19rocblas_complex_numIdEPKS1_KS3_KPS1_Ev13rocblas_fill_17rocblas_diagonal_iiT2_lPT3_llSB_llPT4_lli.num_named_barrier, 0
	.set _ZL23rocblas_trmm_lTx_kernelILi16ELb1E19rocblas_complex_numIdEPKS1_KS3_KPS1_Ev13rocblas_fill_17rocblas_diagonal_iiT2_lPT3_llSB_llPT4_lli.private_seg_size, 0
	.set _ZL23rocblas_trmm_lTx_kernelILi16ELb1E19rocblas_complex_numIdEPKS1_KS3_KPS1_Ev13rocblas_fill_17rocblas_diagonal_iiT2_lPT3_llSB_llPT4_lli.uses_vcc, 1
	.set _ZL23rocblas_trmm_lTx_kernelILi16ELb1E19rocblas_complex_numIdEPKS1_KS3_KPS1_Ev13rocblas_fill_17rocblas_diagonal_iiT2_lPT3_llSB_llPT4_lli.uses_flat_scratch, 0
	.set _ZL23rocblas_trmm_lTx_kernelILi16ELb1E19rocblas_complex_numIdEPKS1_KS3_KPS1_Ev13rocblas_fill_17rocblas_diagonal_iiT2_lPT3_llSB_llPT4_lli.has_dyn_sized_stack, 0
	.set _ZL23rocblas_trmm_lTx_kernelILi16ELb1E19rocblas_complex_numIdEPKS1_KS3_KPS1_Ev13rocblas_fill_17rocblas_diagonal_iiT2_lPT3_llSB_llPT4_lli.has_recursion, 0
	.set _ZL23rocblas_trmm_lTx_kernelILi16ELb1E19rocblas_complex_numIdEPKS1_KS3_KPS1_Ev13rocblas_fill_17rocblas_diagonal_iiT2_lPT3_llSB_llPT4_lli.has_indirect_call, 0
	.section	.AMDGPU.csdata,"",@progbits
; Kernel info:
; codeLenInByte = 1996
; TotalNumSgprs: 38
; NumVgprs: 45
; ScratchSize: 0
; MemoryBound: 0
; FloatMode: 240
; IeeeMode: 1
; LDSByteSize: 8192 bytes/workgroup (compile time only)
; SGPRBlocks: 0
; VGPRBlocks: 5
; NumSGPRsForWavesPerEU: 38
; NumVGPRsForWavesPerEU: 45
; Occupancy: 16
; WaveLimiterHint : 1
; COMPUTE_PGM_RSRC2:SCRATCH_EN: 0
; COMPUTE_PGM_RSRC2:USER_SGPR: 6
; COMPUTE_PGM_RSRC2:TRAP_HANDLER: 0
; COMPUTE_PGM_RSRC2:TGID_X_EN: 1
; COMPUTE_PGM_RSRC2:TGID_Y_EN: 0
; COMPUTE_PGM_RSRC2:TGID_Z_EN: 1
; COMPUTE_PGM_RSRC2:TIDIG_COMP_CNT: 1
	.section	.text._ZL23rocblas_trmm_lTx_kernelILi16ELb1E19rocblas_complex_numIdES1_KPKS1_KPS1_Ev13rocblas_fill_17rocblas_diagonal_iiT2_lPT3_llSB_llPT4_lli,"axG",@progbits,_ZL23rocblas_trmm_lTx_kernelILi16ELb1E19rocblas_complex_numIdES1_KPKS1_KPS1_Ev13rocblas_fill_17rocblas_diagonal_iiT2_lPT3_llSB_llPT4_lli,comdat
	.globl	_ZL23rocblas_trmm_lTx_kernelILi16ELb1E19rocblas_complex_numIdES1_KPKS1_KPS1_Ev13rocblas_fill_17rocblas_diagonal_iiT2_lPT3_llSB_llPT4_lli ; -- Begin function _ZL23rocblas_trmm_lTx_kernelILi16ELb1E19rocblas_complex_numIdES1_KPKS1_KPS1_Ev13rocblas_fill_17rocblas_diagonal_iiT2_lPT3_llSB_llPT4_lli
	.p2align	8
	.type	_ZL23rocblas_trmm_lTx_kernelILi16ELb1E19rocblas_complex_numIdES1_KPKS1_KPS1_Ev13rocblas_fill_17rocblas_diagonal_iiT2_lPT3_llSB_llPT4_lli,@function
_ZL23rocblas_trmm_lTx_kernelILi16ELb1E19rocblas_complex_numIdES1_KPKS1_KPS1_Ev13rocblas_fill_17rocblas_diagonal_iiT2_lPT3_llSB_llPT4_lli: ; @_ZL23rocblas_trmm_lTx_kernelILi16ELb1E19rocblas_complex_numIdES1_KPKS1_KPS1_Ev13rocblas_fill_17rocblas_diagonal_iiT2_lPT3_llSB_llPT4_lli
; %bb.0:
	s_load_dwordx4 s[24:27], s[4:5], 0x10
	s_waitcnt lgkmcnt(0)
	v_cmp_neq_f64_e64 s1, s[24:25], 0
	v_cmp_neq_f64_e64 s2, s[26:27], 0
	s_or_b32 s1, s1, s2
	s_andn2_b32 vcc_lo, exec_lo, s1
	s_cbranch_vccnz .LBB185_15
; %bb.1:
	s_load_dwordx16 s[8:23], s[4:5], 0x28
	s_mov_b32 s0, s7
	s_mov_b32 s1, 0
	s_load_dwordx4 s[28:31], s[4:5], 0x0
	s_lshl_b64 s[2:3], s[0:1], 3
	v_lshlrev_b32_e32 v3, 4, v1
	s_mov_b32 s0, s1
	v_lshlrev_b32_e32 v2, 4, v0
	v_add_lshl_u32 v4, v3, v0, 4
	s_waitcnt lgkmcnt(0)
	s_add_u32 s8, s8, s2
	s_addc_u32 s9, s9, s3
	s_add_u32 s14, s14, s2
	s_addc_u32 s15, s15, s3
	s_add_u32 s2, s20, s2
	s_addc_u32 s3, s21, s3
	s_load_dwordx2 s[34:35], s[8:9], 0x0
	s_load_dwordx2 s[14:15], s[14:15], 0x0
	;; [unrolled: 1-line block ×3, first 2 shown]
	s_mov_b32 s3, s1
	s_mov_b32 s2, s1
	v_mov_b32_e32 v8, s3
	v_mov_b32_e32 v7, s2
	;; [unrolled: 1-line block ×4, first 2 shown]
	v_cmp_gt_i32_e64 s0, s30, v1
	v_cmp_gt_i32_e32 vcc_lo, s30, v0
	ds_write_b128 v4, v[5:8]
	ds_write_b128 v4, v[5:8] offset:4096
	s_and_b32 s0, s0, vcc_lo
	s_waitcnt lgkmcnt(0)
	s_barrier
	buffer_gl0_inv
	s_and_saveexec_b32 s1, s0
	s_cbranch_execz .LBB185_3
; %bb.2:
	v_mad_u64_u32 v[5:6], null, s10, v1, 0
	s_lshl_b64 s[2:3], s[12:13], 4
	v_lshl_add_u32 v9, v0, 8, v3
	s_add_u32 s0, s34, s2
	s_addc_u32 s2, s35, s3
	v_mad_u64_u32 v[6:7], null, s11, v1, v[6:7]
	v_lshlrev_b64 v[5:6], 4, v[5:6]
	v_add_co_u32 v5, s0, s0, v5
	v_add_co_ci_u32_e64 v6, null, s2, v6, s0
	v_add_co_u32 v5, s0, v5, v2
	v_add_co_ci_u32_e64 v6, null, 0, v6, s0
	flat_load_dwordx4 v[5:8], v[5:6]
	s_waitcnt vmcnt(0) lgkmcnt(0)
	v_xor_b32_e32 v8, 0x80000000, v8
	ds_write_b128 v9, v[5:8]
.LBB185_3:
	s_or_b32 exec_lo, exec_lo, s1
	s_add_i32 s0, s31, -1
	s_ashr_i32 s1, s0, 31
	s_lshr_b32 s1, s1, 28
	s_add_i32 s0, s0, s1
	s_and_b32 s1, s0, -16
	s_ashr_i32 s0, s0, 4
	s_sub_i32 s1, s31, s1
	s_cmp_ge_i32 s6, s0
	s_cselect_b32 s0, s1, 16
	s_lshl_b32 s1, s6, 4
	v_cmp_gt_i32_e64 s0, s0, v1
	s_ashr_i32 s2, s1, 31
	s_and_b32 s0, vcc_lo, s0
	s_and_saveexec_b32 s3, s0
	s_cbranch_execz .LBB185_5
; %bb.4:
	v_mad_u64_u32 v[5:6], null, s16, v1, 0
	s_lshl_b64 s[6:7], s[18:19], 4
	s_mul_i32 s10, s16, s2
	s_mul_hi_u32 s11, s16, s1
	s_add_u32 s13, s14, s6
	s_mul_i32 s12, s17, s1
	s_addc_u32 s14, s15, s7
	v_mad_u64_u32 v[6:7], null, s17, v1, v[6:7]
	s_add_i32 s7, s11, s10
	s_mul_i32 s6, s16, s1
	s_add_i32 s7, s7, s12
	v_add_nc_u32_e32 v9, 0x1000, v4
	s_lshl_b64 s[6:7], s[6:7], 4
	s_add_u32 s6, s13, s6
	v_lshlrev_b64 v[5:6], 4, v[5:6]
	s_addc_u32 s7, s14, s7
	v_add_co_u32 v5, vcc_lo, s6, v5
	v_add_co_ci_u32_e64 v6, null, s7, v6, vcc_lo
	v_add_co_u32 v5, vcc_lo, v5, v2
	v_add_co_ci_u32_e64 v6, null, 0, v6, vcc_lo
	flat_load_dwordx4 v[5:8], v[5:6]
	s_waitcnt vmcnt(0) lgkmcnt(0)
	ds_write2_b64 v9, v[5:6], v[7:8] offset1:1
.LBB185_5:
	s_or_b32 exec_lo, exec_lo, s3
	v_cmp_eq_u32_e32 vcc_lo, v1, v0
	s_cmpk_eq_i32 s29, 0x84
	s_cselect_b32 s3, -1, 0
	s_and_b32 s6, vcc_lo, s3
	s_and_saveexec_b32 s3, s6
	s_cbranch_execz .LBB185_7
; %bb.6:
	v_mov_b32_e32 v5, 0
	v_mov_b32_e32 v6, 0x3ff00000
	;; [unrolled: 1-line block ×4, first 2 shown]
	ds_write_b128 v4, v[5:8]
.LBB185_7:
	s_or_b32 exec_lo, exec_lo, s3
	s_cmpk_lg_i32 s28, 0x7a
	s_waitcnt lgkmcnt(0)
	s_barrier
	buffer_gl0_inv
	s_cbranch_scc0 .LBB185_9
; %bb.8:
	v_cmp_lt_u32_e32 vcc_lo, v0, v1
	s_and_b32 s3, vcc_lo, exec_lo
	s_cbranch_execz .LBB185_10
	s_branch .LBB185_11
.LBB185_9:
	s_mov_b32 s3, 0
.LBB185_10:
	v_cmp_gt_u32_e32 vcc_lo, v0, v1
	s_andn2_b32 s3, s3, exec_lo
	s_and_b32 s6, vcc_lo, exec_lo
	s_or_b32 s3, s3, s6
.LBB185_11:
	s_and_saveexec_b32 s6, s3
	s_cbranch_execz .LBB185_13
; %bb.12:
	v_mov_b32_e32 v5, 0
	v_mov_b32_e32 v6, v5
	;; [unrolled: 1-line block ×4, first 2 shown]
	ds_write_b128 v4, v[5:8]
.LBB185_13:
	s_or_b32 exec_lo, exec_lo, s6
	s_waitcnt lgkmcnt(0)
	s_barrier
	buffer_gl0_inv
	s_and_saveexec_b32 s3, s0
	s_cbranch_execz .LBB185_15
; %bb.14:
	v_lshlrev_b32_e32 v0, 4, v3
	s_load_dwordx2 s[4:5], s[4:5], 0x68
	s_mul_i32 s0, s22, s2
	s_mul_hi_u32 s6, s22, s1
	s_mul_i32 s7, s23, s1
	ds_read_b128 v[3:6], v0 offset:4096
	ds_read_b128 v[7:10], v2
	ds_read_b128 v[11:14], v2 offset:256
	ds_read_b128 v[15:18], v0 offset:4112
	;; [unrolled: 1-line block ×4, first 2 shown]
	s_waitcnt lgkmcnt(0)
	s_lshl_b64 s[2:3], s[4:5], 4
	s_add_u32 s4, s8, s2
	v_mul_f64 v[27:28], v[3:4], v[9:10]
	v_mul_f64 v[35:36], v[15:16], v[13:14]
	;; [unrolled: 1-line block ×6, first 2 shown]
	s_addc_u32 s5, s9, s3
	s_add_i32 s0, s6, s0
	s_mul_i32 s2, s22, s1
	s_add_i32 s3, s0, s7
	s_lshl_b64 s[0:1], s[2:3], 4
	s_add_u32 s0, s4, s0
	s_addc_u32 s1, s5, s1
	v_fma_f64 v[5:6], v[5:6], v[7:8], v[27:28]
	v_fma_f64 v[17:18], v[17:18], v[11:12], v[35:36]
	v_fma_f64 v[35:36], v[3:4], v[7:8], -v[9:10]
	ds_read_b128 v[27:30], v2 offset:768
	ds_read_b128 v[31:34], v0 offset:4144
	v_fma_f64 v[25:26], v[25:26], v[19:20], v[37:38]
	v_fma_f64 v[37:38], v[15:16], v[11:12], -v[13:14]
	v_add_f64 v[39:40], v[5:6], 0
	s_waitcnt lgkmcnt(0)
	v_mul_f64 v[41:42], v[31:32], v[29:30]
	v_add_f64 v[35:36], v[35:36], 0
	ds_read_b128 v[3:6], v2 offset:1024
	ds_read_b128 v[7:10], v0 offset:4160
	v_mul_f64 v[29:30], v[33:34], v[29:30]
	v_add_f64 v[39:40], v[39:40], v[17:18]
	s_waitcnt lgkmcnt(0)
	v_mul_f64 v[43:44], v[7:8], v[5:6]
	v_fma_f64 v[33:34], v[33:34], v[27:28], v[41:42]
	v_fma_f64 v[41:42], v[23:24], v[19:20], -v[21:22]
	v_add_f64 v[35:36], v[35:36], v[37:38]
	ds_read_b128 v[11:14], v2 offset:1280
	ds_read_b128 v[15:18], v0 offset:4176
	v_mul_f64 v[5:6], v[9:10], v[5:6]
	v_add_f64 v[37:38], v[39:40], v[25:26]
	v_fma_f64 v[9:10], v[9:10], v[3:4], v[43:44]
	v_fma_f64 v[43:44], v[31:32], v[27:28], -v[29:30]
	s_waitcnt lgkmcnt(0)
	v_mul_f64 v[39:40], v[15:16], v[13:14]
	v_add_f64 v[35:36], v[35:36], v[41:42]
	ds_read_b128 v[19:22], v2 offset:1536
	ds_read_b128 v[23:26], v0 offset:4192
	v_mul_f64 v[13:14], v[17:18], v[13:14]
	v_add_f64 v[37:38], v[37:38], v[33:34]
	ds_read_b128 v[27:30], v2 offset:1792
	ds_read_b128 v[31:34], v0 offset:4208
	s_waitcnt lgkmcnt(2)
	v_mul_f64 v[41:42], v[23:24], v[21:22]
	v_fma_f64 v[17:18], v[17:18], v[11:12], v[39:40]
	v_fma_f64 v[39:40], v[7:8], v[3:4], -v[5:6]
	v_add_f64 v[35:36], v[35:36], v[43:44]
	v_mul_f64 v[21:22], v[25:26], v[21:22]
	s_waitcnt lgkmcnt(0)
	v_mul_f64 v[43:44], v[31:32], v[29:30]
	v_add_f64 v[37:38], v[37:38], v[9:10]
	ds_read_b128 v[3:6], v2 offset:2048
	ds_read_b128 v[7:10], v0 offset:4224
	v_mul_f64 v[29:30], v[33:34], v[29:30]
	v_fma_f64 v[25:26], v[25:26], v[19:20], v[41:42]
	v_fma_f64 v[41:42], v[15:16], v[11:12], -v[13:14]
	v_add_f64 v[35:36], v[35:36], v[39:40]
	s_waitcnt lgkmcnt(0)
	v_mul_f64 v[39:40], v[7:8], v[5:6]
	v_add_f64 v[37:38], v[37:38], v[17:18]
	v_fma_f64 v[33:34], v[33:34], v[27:28], v[43:44]
	v_fma_f64 v[43:44], v[23:24], v[19:20], -v[21:22]
	ds_read_b128 v[11:14], v2 offset:2304
	ds_read_b128 v[15:18], v0 offset:4240
	v_mul_f64 v[5:6], v[9:10], v[5:6]
	v_add_f64 v[35:36], v[35:36], v[41:42]
	v_fma_f64 v[9:10], v[9:10], v[3:4], v[39:40]
	v_add_f64 v[37:38], v[37:38], v[25:26]
	s_waitcnt lgkmcnt(0)
	v_mul_f64 v[41:42], v[15:16], v[13:14]
	v_fma_f64 v[39:40], v[31:32], v[27:28], -v[29:30]
	ds_read_b128 v[19:22], v2 offset:2560
	ds_read_b128 v[23:26], v0 offset:4256
	v_mul_f64 v[13:14], v[17:18], v[13:14]
	v_add_f64 v[35:36], v[35:36], v[43:44]
	v_add_f64 v[37:38], v[37:38], v[33:34]
	s_waitcnt lgkmcnt(0)
	v_mul_f64 v[43:44], v[23:24], v[21:22]
	v_fma_f64 v[17:18], v[17:18], v[11:12], v[41:42]
	v_fma_f64 v[41:42], v[7:8], v[3:4], -v[5:6]
	ds_read_b128 v[27:30], v2 offset:2816
	ds_read_b128 v[31:34], v0 offset:4272
	v_mul_f64 v[21:22], v[25:26], v[21:22]
	v_add_f64 v[35:36], v[35:36], v[39:40]
	v_add_f64 v[37:38], v[37:38], v[9:10]
	v_fma_f64 v[25:26], v[25:26], v[19:20], v[43:44]
	s_waitcnt lgkmcnt(0)
	v_mul_f64 v[39:40], v[31:32], v[29:30]
	v_fma_f64 v[43:44], v[15:16], v[11:12], -v[13:14]
	ds_read_b128 v[3:6], v2 offset:3072
	ds_read_b128 v[7:10], v0 offset:4288
	v_mul_f64 v[29:30], v[33:34], v[29:30]
	v_add_f64 v[35:36], v[35:36], v[41:42]
	v_add_f64 v[37:38], v[37:38], v[17:18]
	ds_read_b128 v[11:14], v2 offset:3328
	ds_read_b128 v[15:18], v0 offset:4304
	s_waitcnt lgkmcnt(2)
	v_mul_f64 v[41:42], v[7:8], v[5:6]
	v_fma_f64 v[33:34], v[33:34], v[27:28], v[39:40]
	v_fma_f64 v[39:40], v[23:24], v[19:20], -v[21:22]
	v_mul_f64 v[5:6], v[9:10], v[5:6]
	v_add_f64 v[35:36], v[35:36], v[43:44]
	s_waitcnt lgkmcnt(0)
	v_mul_f64 v[43:44], v[15:16], v[13:14]
	v_add_f64 v[37:38], v[37:38], v[25:26]
	ds_read_b128 v[19:22], v2 offset:3584
	ds_read_b128 v[23:26], v0 offset:4320
	v_fma_f64 v[9:10], v[9:10], v[3:4], v[41:42]
	v_fma_f64 v[41:42], v[31:32], v[27:28], -v[29:30]
	v_mul_f64 v[13:14], v[17:18], v[13:14]
	v_fma_f64 v[3:4], v[7:8], v[3:4], -v[5:6]
	v_add_f64 v[35:36], v[35:36], v[39:40]
	s_waitcnt lgkmcnt(0)
	v_mul_f64 v[39:40], v[23:24], v[21:22]
	v_add_f64 v[37:38], v[37:38], v[33:34]
	v_fma_f64 v[17:18], v[17:18], v[11:12], v[43:44]
	ds_read_b128 v[27:30], v2 offset:3840
	ds_read_b128 v[31:34], v0 offset:4336
	v_mul_f64 v[21:22], v[25:26], v[21:22]
	v_fma_f64 v[11:12], v[15:16], v[11:12], -v[13:14]
	v_add_f64 v[5:6], v[35:36], v[41:42]
	v_fma_f64 v[25:26], v[25:26], v[19:20], v[39:40]
	v_add_f64 v[7:8], v[37:38], v[9:10]
	s_waitcnt lgkmcnt(0)
	v_mul_f64 v[9:10], v[31:32], v[29:30]
	v_fma_f64 v[13:14], v[23:24], v[19:20], -v[21:22]
	v_add_f64 v[3:4], v[5:6], v[3:4]
	v_add_f64 v[5:6], v[7:8], v[17:18]
	v_mul_f64 v[7:8], v[33:34], v[29:30]
	v_fma_f64 v[9:10], v[33:34], v[27:28], v[9:10]
	v_add_f64 v[3:4], v[3:4], v[11:12]
	v_add_f64 v[5:6], v[5:6], v[25:26]
	v_fma_f64 v[7:8], v[31:32], v[27:28], -v[7:8]
	v_add_f64 v[3:4], v[3:4], v[13:14]
	v_add_f64 v[5:6], v[5:6], v[9:10]
	v_mad_u64_u32 v[9:10], null, s22, v1, 0
	v_add_f64 v[3:4], v[3:4], v[7:8]
	v_mov_b32_e32 v0, v10
	v_mad_u64_u32 v[0:1], null, s23, v1, v[0:1]
	v_mov_b32_e32 v10, v0
	v_mul_f64 v[7:8], s[24:25], v[5:6]
	v_mul_f64 v[11:12], s[26:27], v[5:6]
	v_lshlrev_b64 v[0:1], 4, v[9:10]
	v_add_co_u32 v0, vcc_lo, s0, v0
	v_add_co_ci_u32_e64 v1, null, s1, v1, vcc_lo
	v_add_co_u32 v0, vcc_lo, v0, v2
	v_add_co_ci_u32_e64 v1, null, 0, v1, vcc_lo
	v_fma_f64 v[5:6], s[26:27], v[3:4], v[7:8]
	v_fma_f64 v[3:4], s[24:25], v[3:4], -v[11:12]
	flat_store_dwordx4 v[0:1], v[3:6]
.LBB185_15:
	s_endpgm
	.section	.rodata,"a",@progbits
	.p2align	6, 0x0
	.amdhsa_kernel _ZL23rocblas_trmm_lTx_kernelILi16ELb1E19rocblas_complex_numIdES1_KPKS1_KPS1_Ev13rocblas_fill_17rocblas_diagonal_iiT2_lPT3_llSB_llPT4_lli
		.amdhsa_group_segment_fixed_size 8192
		.amdhsa_private_segment_fixed_size 0
		.amdhsa_kernarg_size 116
		.amdhsa_user_sgpr_count 6
		.amdhsa_user_sgpr_private_segment_buffer 1
		.amdhsa_user_sgpr_dispatch_ptr 0
		.amdhsa_user_sgpr_queue_ptr 0
		.amdhsa_user_sgpr_kernarg_segment_ptr 1
		.amdhsa_user_sgpr_dispatch_id 0
		.amdhsa_user_sgpr_flat_scratch_init 0
		.amdhsa_user_sgpr_private_segment_size 0
		.amdhsa_wavefront_size32 1
		.amdhsa_uses_dynamic_stack 0
		.amdhsa_system_sgpr_private_segment_wavefront_offset 0
		.amdhsa_system_sgpr_workgroup_id_x 1
		.amdhsa_system_sgpr_workgroup_id_y 0
		.amdhsa_system_sgpr_workgroup_id_z 1
		.amdhsa_system_sgpr_workgroup_info 0
		.amdhsa_system_vgpr_workitem_id 1
		.amdhsa_next_free_vgpr 45
		.amdhsa_next_free_sgpr 36
		.amdhsa_reserve_vcc 1
		.amdhsa_reserve_flat_scratch 0
		.amdhsa_float_round_mode_32 0
		.amdhsa_float_round_mode_16_64 0
		.amdhsa_float_denorm_mode_32 3
		.amdhsa_float_denorm_mode_16_64 3
		.amdhsa_dx10_clamp 1
		.amdhsa_ieee_mode 1
		.amdhsa_fp16_overflow 0
		.amdhsa_workgroup_processor_mode 1
		.amdhsa_memory_ordered 1
		.amdhsa_forward_progress 1
		.amdhsa_shared_vgpr_count 0
		.amdhsa_exception_fp_ieee_invalid_op 0
		.amdhsa_exception_fp_denorm_src 0
		.amdhsa_exception_fp_ieee_div_zero 0
		.amdhsa_exception_fp_ieee_overflow 0
		.amdhsa_exception_fp_ieee_underflow 0
		.amdhsa_exception_fp_ieee_inexact 0
		.amdhsa_exception_int_div_zero 0
	.end_amdhsa_kernel
	.section	.text._ZL23rocblas_trmm_lTx_kernelILi16ELb1E19rocblas_complex_numIdES1_KPKS1_KPS1_Ev13rocblas_fill_17rocblas_diagonal_iiT2_lPT3_llSB_llPT4_lli,"axG",@progbits,_ZL23rocblas_trmm_lTx_kernelILi16ELb1E19rocblas_complex_numIdES1_KPKS1_KPS1_Ev13rocblas_fill_17rocblas_diagonal_iiT2_lPT3_llSB_llPT4_lli,comdat
.Lfunc_end185:
	.size	_ZL23rocblas_trmm_lTx_kernelILi16ELb1E19rocblas_complex_numIdES1_KPKS1_KPS1_Ev13rocblas_fill_17rocblas_diagonal_iiT2_lPT3_llSB_llPT4_lli, .Lfunc_end185-_ZL23rocblas_trmm_lTx_kernelILi16ELb1E19rocblas_complex_numIdES1_KPKS1_KPS1_Ev13rocblas_fill_17rocblas_diagonal_iiT2_lPT3_llSB_llPT4_lli
                                        ; -- End function
	.set _ZL23rocblas_trmm_lTx_kernelILi16ELb1E19rocblas_complex_numIdES1_KPKS1_KPS1_Ev13rocblas_fill_17rocblas_diagonal_iiT2_lPT3_llSB_llPT4_lli.num_vgpr, 45
	.set _ZL23rocblas_trmm_lTx_kernelILi16ELb1E19rocblas_complex_numIdES1_KPKS1_KPS1_Ev13rocblas_fill_17rocblas_diagonal_iiT2_lPT3_llSB_llPT4_lli.num_agpr, 0
	.set _ZL23rocblas_trmm_lTx_kernelILi16ELb1E19rocblas_complex_numIdES1_KPKS1_KPS1_Ev13rocblas_fill_17rocblas_diagonal_iiT2_lPT3_llSB_llPT4_lli.numbered_sgpr, 36
	.set _ZL23rocblas_trmm_lTx_kernelILi16ELb1E19rocblas_complex_numIdES1_KPKS1_KPS1_Ev13rocblas_fill_17rocblas_diagonal_iiT2_lPT3_llSB_llPT4_lli.num_named_barrier, 0
	.set _ZL23rocblas_trmm_lTx_kernelILi16ELb1E19rocblas_complex_numIdES1_KPKS1_KPS1_Ev13rocblas_fill_17rocblas_diagonal_iiT2_lPT3_llSB_llPT4_lli.private_seg_size, 0
	.set _ZL23rocblas_trmm_lTx_kernelILi16ELb1E19rocblas_complex_numIdES1_KPKS1_KPS1_Ev13rocblas_fill_17rocblas_diagonal_iiT2_lPT3_llSB_llPT4_lli.uses_vcc, 1
	.set _ZL23rocblas_trmm_lTx_kernelILi16ELb1E19rocblas_complex_numIdES1_KPKS1_KPS1_Ev13rocblas_fill_17rocblas_diagonal_iiT2_lPT3_llSB_llPT4_lli.uses_flat_scratch, 0
	.set _ZL23rocblas_trmm_lTx_kernelILi16ELb1E19rocblas_complex_numIdES1_KPKS1_KPS1_Ev13rocblas_fill_17rocblas_diagonal_iiT2_lPT3_llSB_llPT4_lli.has_dyn_sized_stack, 0
	.set _ZL23rocblas_trmm_lTx_kernelILi16ELb1E19rocblas_complex_numIdES1_KPKS1_KPS1_Ev13rocblas_fill_17rocblas_diagonal_iiT2_lPT3_llSB_llPT4_lli.has_recursion, 0
	.set _ZL23rocblas_trmm_lTx_kernelILi16ELb1E19rocblas_complex_numIdES1_KPKS1_KPS1_Ev13rocblas_fill_17rocblas_diagonal_iiT2_lPT3_llSB_llPT4_lli.has_indirect_call, 0
	.section	.AMDGPU.csdata,"",@progbits
; Kernel info:
; codeLenInByte = 1952
; TotalNumSgprs: 38
; NumVgprs: 45
; ScratchSize: 0
; MemoryBound: 0
; FloatMode: 240
; IeeeMode: 1
; LDSByteSize: 8192 bytes/workgroup (compile time only)
; SGPRBlocks: 0
; VGPRBlocks: 5
; NumSGPRsForWavesPerEU: 38
; NumVGPRsForWavesPerEU: 45
; Occupancy: 16
; WaveLimiterHint : 1
; COMPUTE_PGM_RSRC2:SCRATCH_EN: 0
; COMPUTE_PGM_RSRC2:USER_SGPR: 6
; COMPUTE_PGM_RSRC2:TRAP_HANDLER: 0
; COMPUTE_PGM_RSRC2:TGID_X_EN: 1
; COMPUTE_PGM_RSRC2:TGID_Y_EN: 0
; COMPUTE_PGM_RSRC2:TGID_Z_EN: 1
; COMPUTE_PGM_RSRC2:TIDIG_COMP_CNT: 1
	.section	.text._ZL23rocblas_trmm_rNx_kernelILi16E19rocblas_complex_numIdEPKS1_KS3_KPS1_Ev13rocblas_fill_17rocblas_diagonal_iiT1_lPT2_llSB_llPT3_lli,"axG",@progbits,_ZL23rocblas_trmm_rNx_kernelILi16E19rocblas_complex_numIdEPKS1_KS3_KPS1_Ev13rocblas_fill_17rocblas_diagonal_iiT1_lPT2_llSB_llPT3_lli,comdat
	.globl	_ZL23rocblas_trmm_rNx_kernelILi16E19rocblas_complex_numIdEPKS1_KS3_KPS1_Ev13rocblas_fill_17rocblas_diagonal_iiT1_lPT2_llSB_llPT3_lli ; -- Begin function _ZL23rocblas_trmm_rNx_kernelILi16E19rocblas_complex_numIdEPKS1_KS3_KPS1_Ev13rocblas_fill_17rocblas_diagonal_iiT1_lPT2_llSB_llPT3_lli
	.p2align	8
	.type	_ZL23rocblas_trmm_rNx_kernelILi16E19rocblas_complex_numIdEPKS1_KS3_KPS1_Ev13rocblas_fill_17rocblas_diagonal_iiT1_lPT2_llSB_llPT3_lli,@function
_ZL23rocblas_trmm_rNx_kernelILi16E19rocblas_complex_numIdEPKS1_KS3_KPS1_Ev13rocblas_fill_17rocblas_diagonal_iiT1_lPT2_llSB_llPT3_lli: ; @_ZL23rocblas_trmm_rNx_kernelILi16E19rocblas_complex_numIdEPKS1_KS3_KPS1_Ev13rocblas_fill_17rocblas_diagonal_iiT1_lPT2_llSB_llPT3_lli
; %bb.0:
	s_load_dwordx16 s[8:23], s[4:5], 0x10
	s_waitcnt lgkmcnt(0)
	s_mul_i32 s1, s11, s7
	s_mul_hi_u32 s2, s10, s7
	s_mul_i32 s0, s10, s7
	s_add_i32 s1, s2, s1
	s_lshl_b64 s[0:1], s[0:1], 4
	s_add_u32 s0, s8, s0
	s_addc_u32 s1, s9, s1
	s_load_dwordx4 s[8:11], s[0:1], 0x0
	s_waitcnt lgkmcnt(0)
	v_cmp_neq_f64_e64 s0, s[8:9], 0
	v_cmp_neq_f64_e64 s1, s[10:11], 0
	s_or_b32 s0, s0, s1
	s_andn2_b32 vcc_lo, exec_lo, s0
	s_cbranch_vccnz .LBB186_15
; %bb.1:
	s_clause 0x1
	s_load_dwordx4 s[0:3], s[4:5], 0x50
	s_load_dwordx4 s[24:27], s[4:5], 0x0
	s_mov_b32 s28, s7
	s_mov_b32 s29, 0
	v_lshlrev_b32_e32 v3, 4, v1
	s_lshl_b64 s[36:37], s[28:29], 3
	s_mov_b32 s28, s29
	s_add_u32 s18, s18, s36
	s_addc_u32 s19, s19, s37
	s_mov_b32 s30, s29
	s_mov_b32 s31, s29
	v_mov_b32_e32 v5, s28
	v_add_lshl_u32 v4, v3, v0, 4
	v_mov_b32_e32 v6, s29
	v_mov_b32_e32 v7, s30
	;; [unrolled: 1-line block ×3, first 2 shown]
	v_lshlrev_b32_e32 v2, 4, v0
	s_waitcnt lgkmcnt(0)
	s_add_u32 s0, s0, s36
	s_addc_u32 s1, s1, s37
	s_load_dwordx2 s[34:35], s[18:19], 0x0
	s_load_dwordx2 s[18:19], s[0:1], 0x0
	v_cmp_gt_i32_e32 vcc_lo, s27, v1
	v_cmp_gt_i32_e64 s0, s27, v0
	ds_write_b128 v4, v[5:8]
	ds_write_b128 v4, v[5:8] offset:4096
	s_and_b32 s0, vcc_lo, s0
	s_and_saveexec_b32 s1, s0
	s_cbranch_execz .LBB186_3
; %bb.2:
	s_add_u32 s12, s12, s36
	s_addc_u32 s13, s13, s37
	v_mad_u64_u32 v[5:6], null, s14, v1, 0
	s_load_dwordx2 s[12:13], s[12:13], 0x0
	v_mad_u64_u32 v[6:7], null, s15, v1, v[6:7]
	s_lshl_b64 s[14:15], s[16:17], 4
	v_lshlrev_b64 v[5:6], 4, v[5:6]
	s_waitcnt lgkmcnt(0)
	s_add_u32 s0, s12, s14
	s_addc_u32 s7, s13, s15
	v_add_co_u32 v5, s0, s0, v5
	v_add_co_ci_u32_e64 v6, null, s7, v6, s0
	v_add_co_u32 v5, s0, v5, v2
	v_add_co_ci_u32_e64 v6, null, 0, v6, s0
	flat_load_dwordx4 v[5:8], v[5:6]
	s_waitcnt vmcnt(0) lgkmcnt(0)
	ds_write2_b64 v4, v[5:6], v[7:8] offset1:1
.LBB186_3:
	s_or_b32 exec_lo, exec_lo, s1
	s_add_i32 s0, s26, -1
	s_ashr_i32 s1, s0, 31
	s_lshr_b32 s1, s1, 28
	s_add_i32 s0, s0, s1
	s_and_b32 s1, s0, -16
	s_ashr_i32 s0, s0, 4
	s_sub_i32 s1, s26, s1
	s_cmp_ge_i32 s6, s0
	s_cselect_b32 s0, s1, 16
	s_lshl_b32 s6, s6, 4
	v_cmp_gt_i32_e64 s0, s0, v0
	s_ashr_i32 s7, s6, 31
	s_and_b32 s0, vcc_lo, s0
	s_and_saveexec_b32 s1, s0
	s_cbranch_execz .LBB186_5
; %bb.4:
	v_mad_u64_u32 v[5:6], null, s20, v1, 0
	s_lshl_b64 s[12:13], s[22:23], 4
	v_add_nc_u32_e32 v9, 0x1000, v4
	s_waitcnt lgkmcnt(0)
	s_add_u32 s14, s34, s12
	s_addc_u32 s15, s35, s13
	s_lshl_b64 s[12:13], s[6:7], 4
	s_add_u32 s12, s14, s12
	v_mad_u64_u32 v[6:7], null, s21, v1, v[6:7]
	s_addc_u32 s13, s15, s13
	v_lshlrev_b64 v[5:6], 4, v[5:6]
	v_add_co_u32 v5, vcc_lo, s12, v5
	v_add_co_ci_u32_e64 v6, null, s13, v6, vcc_lo
	v_add_co_u32 v5, vcc_lo, v5, v2
	v_add_co_ci_u32_e64 v6, null, 0, v6, vcc_lo
	flat_load_dwordx4 v[5:8], v[5:6]
	s_waitcnt vmcnt(0) lgkmcnt(0)
	ds_write2_b64 v9, v[5:6], v[7:8] offset1:1
.LBB186_5:
	s_or_b32 exec_lo, exec_lo, s1
	v_cmp_eq_u32_e32 vcc_lo, v1, v0
	s_cmpk_eq_i32 s25, 0x84
	s_cselect_b32 s1, -1, 0
	s_and_b32 s12, vcc_lo, s1
	s_and_saveexec_b32 s1, s12
	s_cbranch_execz .LBB186_7
; %bb.6:
	v_mov_b32_e32 v5, 0
	v_mov_b32_e32 v6, 0x3ff00000
	;; [unrolled: 1-line block ×4, first 2 shown]
	ds_write_b128 v4, v[5:8]
.LBB186_7:
	s_or_b32 exec_lo, exec_lo, s1
	s_cmpk_lg_i32 s24, 0x79
	s_cbranch_scc0 .LBB186_9
; %bb.8:
	v_cmp_lt_u32_e32 vcc_lo, v0, v1
	s_and_b32 s1, vcc_lo, exec_lo
	s_cbranch_execz .LBB186_10
	s_branch .LBB186_11
.LBB186_9:
	s_mov_b32 s1, 0
.LBB186_10:
	v_cmp_gt_u32_e32 vcc_lo, v0, v1
	s_andn2_b32 s1, s1, exec_lo
	s_and_b32 s12, vcc_lo, exec_lo
	s_or_b32 s1, s1, s12
.LBB186_11:
	s_and_saveexec_b32 s12, s1
	s_cbranch_execz .LBB186_13
; %bb.12:
	v_mov_b32_e32 v5, 0
	v_mov_b32_e32 v6, v5
	;; [unrolled: 1-line block ×4, first 2 shown]
	ds_write_b128 v4, v[5:8]
.LBB186_13:
	s_or_b32 exec_lo, exec_lo, s12
	s_waitcnt lgkmcnt(0)
	s_barrier
	buffer_gl0_inv
	s_and_saveexec_b32 s1, s0
	s_cbranch_execz .LBB186_15
; %bb.14:
	v_lshlrev_b32_e32 v0, 4, v3
	s_load_dwordx2 s[0:1], s[4:5], 0x60
	ds_read_b128 v[3:6], v0
	ds_read_b128 v[7:10], v2 offset:4096
	ds_read_b128 v[11:14], v2 offset:4352
	;; [unrolled: 1-line block ×5, first 2 shown]
	s_waitcnt lgkmcnt(0)
	s_lshl_b64 s[0:1], s[0:1], 4
	v_mul_f64 v[27:28], v[3:4], v[9:10]
	v_mul_f64 v[9:10], v[5:6], v[9:10]
	v_mul_f64 v[35:36], v[15:16], v[13:14]
	v_mul_f64 v[37:38], v[23:24], v[21:22]
	v_mul_f64 v[13:14], v[17:18], v[13:14]
	v_mul_f64 v[21:22], v[25:26], v[21:22]
	v_fma_f64 v[5:6], v[5:6], v[7:8], v[27:28]
	ds_read_b128 v[27:30], v2 offset:4864
	ds_read_b128 v[31:34], v0 offset:48
	v_fma_f64 v[17:18], v[17:18], v[11:12], v[35:36]
	v_fma_f64 v[35:36], v[3:4], v[7:8], -v[9:10]
	v_fma_f64 v[25:26], v[25:26], v[19:20], v[37:38]
	v_fma_f64 v[37:38], v[15:16], v[11:12], -v[13:14]
	s_waitcnt lgkmcnt(0)
	v_mul_f64 v[41:42], v[31:32], v[29:30]
	v_add_f64 v[39:40], v[5:6], 0
	ds_read_b128 v[3:6], v2 offset:5120
	ds_read_b128 v[7:10], v0 offset:64
	v_mul_f64 v[29:30], v[33:34], v[29:30]
	v_add_f64 v[35:36], v[35:36], 0
	s_waitcnt lgkmcnt(0)
	v_mul_f64 v[43:44], v[7:8], v[5:6]
	v_add_f64 v[39:40], v[39:40], v[17:18]
	v_fma_f64 v[33:34], v[33:34], v[27:28], v[41:42]
	v_fma_f64 v[41:42], v[23:24], v[19:20], -v[21:22]
	v_add_f64 v[35:36], v[35:36], v[37:38]
	ds_read_b128 v[11:14], v2 offset:5376
	ds_read_b128 v[15:18], v0 offset:80
	v_mul_f64 v[5:6], v[9:10], v[5:6]
	v_fma_f64 v[9:10], v[9:10], v[3:4], v[43:44]
	v_add_f64 v[37:38], v[39:40], v[25:26]
	v_fma_f64 v[43:44], v[31:32], v[27:28], -v[29:30]
	s_waitcnt lgkmcnt(0)
	v_mul_f64 v[39:40], v[15:16], v[13:14]
	v_add_f64 v[35:36], v[35:36], v[41:42]
	ds_read_b128 v[19:22], v2 offset:5632
	ds_read_b128 v[23:26], v0 offset:96
	v_mul_f64 v[13:14], v[17:18], v[13:14]
	v_add_f64 v[37:38], v[37:38], v[33:34]
	ds_read_b128 v[27:30], v2 offset:5888
	ds_read_b128 v[31:34], v0 offset:112
	s_waitcnt lgkmcnt(2)
	v_mul_f64 v[41:42], v[23:24], v[21:22]
	v_fma_f64 v[17:18], v[17:18], v[11:12], v[39:40]
	v_fma_f64 v[39:40], v[7:8], v[3:4], -v[5:6]
	v_add_f64 v[35:36], v[35:36], v[43:44]
	v_mul_f64 v[21:22], v[25:26], v[21:22]
	s_waitcnt lgkmcnt(0)
	v_mul_f64 v[43:44], v[31:32], v[29:30]
	v_add_f64 v[37:38], v[37:38], v[9:10]
	ds_read_b128 v[3:6], v2 offset:6144
	ds_read_b128 v[7:10], v0 offset:128
	v_fma_f64 v[25:26], v[25:26], v[19:20], v[41:42]
	v_fma_f64 v[41:42], v[15:16], v[11:12], -v[13:14]
	v_mul_f64 v[29:30], v[33:34], v[29:30]
	v_add_f64 v[35:36], v[35:36], v[39:40]
	s_waitcnt lgkmcnt(0)
	v_mul_f64 v[39:40], v[7:8], v[5:6]
	v_add_f64 v[37:38], v[37:38], v[17:18]
	v_fma_f64 v[33:34], v[33:34], v[27:28], v[43:44]
	v_fma_f64 v[43:44], v[23:24], v[19:20], -v[21:22]
	ds_read_b128 v[11:14], v2 offset:6400
	ds_read_b128 v[15:18], v0 offset:144
	v_mul_f64 v[5:6], v[9:10], v[5:6]
	v_add_f64 v[35:36], v[35:36], v[41:42]
	v_fma_f64 v[9:10], v[9:10], v[3:4], v[39:40]
	v_add_f64 v[37:38], v[37:38], v[25:26]
	s_waitcnt lgkmcnt(0)
	v_mul_f64 v[41:42], v[15:16], v[13:14]
	v_fma_f64 v[39:40], v[31:32], v[27:28], -v[29:30]
	ds_read_b128 v[19:22], v2 offset:6656
	ds_read_b128 v[23:26], v0 offset:160
	v_mul_f64 v[13:14], v[17:18], v[13:14]
	v_add_f64 v[35:36], v[35:36], v[43:44]
	v_add_f64 v[37:38], v[37:38], v[33:34]
	s_waitcnt lgkmcnt(0)
	v_mul_f64 v[43:44], v[23:24], v[21:22]
	v_fma_f64 v[17:18], v[17:18], v[11:12], v[41:42]
	v_fma_f64 v[41:42], v[7:8], v[3:4], -v[5:6]
	ds_read_b128 v[27:30], v2 offset:6912
	ds_read_b128 v[31:34], v0 offset:176
	v_add_f64 v[35:36], v[35:36], v[39:40]
	v_mul_f64 v[21:22], v[25:26], v[21:22]
	v_add_f64 v[37:38], v[37:38], v[9:10]
	v_fma_f64 v[25:26], v[25:26], v[19:20], v[43:44]
	s_waitcnt lgkmcnt(0)
	v_mul_f64 v[39:40], v[31:32], v[29:30]
	v_fma_f64 v[43:44], v[15:16], v[11:12], -v[13:14]
	ds_read_b128 v[3:6], v2 offset:7168
	ds_read_b128 v[7:10], v0 offset:192
	v_add_f64 v[35:36], v[35:36], v[41:42]
	v_mul_f64 v[29:30], v[33:34], v[29:30]
	v_add_f64 v[37:38], v[37:38], v[17:18]
	ds_read_b128 v[11:14], v2 offset:7424
	ds_read_b128 v[15:18], v0 offset:208
	s_waitcnt lgkmcnt(2)
	v_mul_f64 v[41:42], v[7:8], v[5:6]
	v_fma_f64 v[33:34], v[33:34], v[27:28], v[39:40]
	v_fma_f64 v[39:40], v[23:24], v[19:20], -v[21:22]
	v_add_f64 v[35:36], v[35:36], v[43:44]
	v_mul_f64 v[5:6], v[9:10], v[5:6]
	s_waitcnt lgkmcnt(0)
	v_mul_f64 v[43:44], v[15:16], v[13:14]
	v_add_f64 v[37:38], v[37:38], v[25:26]
	ds_read_b128 v[19:22], v2 offset:7680
	ds_read_b128 v[23:26], v0 offset:224
	v_fma_f64 v[9:10], v[9:10], v[3:4], v[41:42]
	v_fma_f64 v[41:42], v[31:32], v[27:28], -v[29:30]
	v_mul_f64 v[13:14], v[17:18], v[13:14]
	v_add_f64 v[35:36], v[35:36], v[39:40]
	v_fma_f64 v[3:4], v[7:8], v[3:4], -v[5:6]
	s_waitcnt lgkmcnt(0)
	v_mul_f64 v[39:40], v[23:24], v[21:22]
	v_add_f64 v[37:38], v[37:38], v[33:34]
	v_fma_f64 v[17:18], v[17:18], v[11:12], v[43:44]
	ds_read_b128 v[27:30], v2 offset:7936
	ds_read_b128 v[31:34], v0 offset:240
	v_mul_f64 v[21:22], v[25:26], v[21:22]
	v_fma_f64 v[11:12], v[15:16], v[11:12], -v[13:14]
	v_add_f64 v[5:6], v[35:36], v[41:42]
	v_fma_f64 v[25:26], v[25:26], v[19:20], v[39:40]
	v_add_f64 v[7:8], v[37:38], v[9:10]
	s_waitcnt lgkmcnt(0)
	v_mul_f64 v[9:10], v[31:32], v[29:30]
	v_fma_f64 v[13:14], v[23:24], v[19:20], -v[21:22]
	v_add_f64 v[3:4], v[5:6], v[3:4]
	v_add_f64 v[5:6], v[7:8], v[17:18]
	v_mul_f64 v[7:8], v[33:34], v[29:30]
	v_fma_f64 v[9:10], v[33:34], v[27:28], v[9:10]
	v_add_f64 v[3:4], v[3:4], v[11:12]
	v_add_f64 v[5:6], v[5:6], v[25:26]
	v_fma_f64 v[7:8], v[31:32], v[27:28], -v[7:8]
	v_add_f64 v[3:4], v[3:4], v[13:14]
	v_add_f64 v[5:6], v[5:6], v[9:10]
	v_mad_u64_u32 v[9:10], null, s2, v1, 0
	s_add_u32 s2, s18, s0
	v_add_f64 v[3:4], v[3:4], v[7:8]
	v_mov_b32_e32 v0, v10
	v_mad_u64_u32 v[0:1], null, s3, v1, v[0:1]
	s_addc_u32 s3, s19, s1
	s_lshl_b64 s[0:1], s[6:7], 4
	s_add_u32 s0, s2, s0
	s_addc_u32 s1, s3, s1
	v_mov_b32_e32 v10, v0
	v_mul_f64 v[7:8], s[8:9], v[5:6]
	v_mul_f64 v[11:12], s[10:11], v[5:6]
	v_lshlrev_b64 v[0:1], 4, v[9:10]
	v_add_co_u32 v0, vcc_lo, s0, v0
	v_add_co_ci_u32_e64 v1, null, s1, v1, vcc_lo
	v_add_co_u32 v0, vcc_lo, v0, v2
	v_add_co_ci_u32_e64 v1, null, 0, v1, vcc_lo
	v_fma_f64 v[5:6], s[10:11], v[3:4], v[7:8]
	v_fma_f64 v[3:4], s[8:9], v[3:4], -v[11:12]
	flat_store_dwordx4 v[0:1], v[3:6]
.LBB186_15:
	s_endpgm
	.section	.rodata,"a",@progbits
	.p2align	6, 0x0
	.amdhsa_kernel _ZL23rocblas_trmm_rNx_kernelILi16E19rocblas_complex_numIdEPKS1_KS3_KPS1_Ev13rocblas_fill_17rocblas_diagonal_iiT1_lPT2_llSB_llPT3_lli
		.amdhsa_group_segment_fixed_size 8192
		.amdhsa_private_segment_fixed_size 0
		.amdhsa_kernarg_size 108
		.amdhsa_user_sgpr_count 6
		.amdhsa_user_sgpr_private_segment_buffer 1
		.amdhsa_user_sgpr_dispatch_ptr 0
		.amdhsa_user_sgpr_queue_ptr 0
		.amdhsa_user_sgpr_kernarg_segment_ptr 1
		.amdhsa_user_sgpr_dispatch_id 0
		.amdhsa_user_sgpr_flat_scratch_init 0
		.amdhsa_user_sgpr_private_segment_size 0
		.amdhsa_wavefront_size32 1
		.amdhsa_uses_dynamic_stack 0
		.amdhsa_system_sgpr_private_segment_wavefront_offset 0
		.amdhsa_system_sgpr_workgroup_id_x 1
		.amdhsa_system_sgpr_workgroup_id_y 0
		.amdhsa_system_sgpr_workgroup_id_z 1
		.amdhsa_system_sgpr_workgroup_info 0
		.amdhsa_system_vgpr_workitem_id 1
		.amdhsa_next_free_vgpr 45
		.amdhsa_next_free_sgpr 38
		.amdhsa_reserve_vcc 1
		.amdhsa_reserve_flat_scratch 0
		.amdhsa_float_round_mode_32 0
		.amdhsa_float_round_mode_16_64 0
		.amdhsa_float_denorm_mode_32 3
		.amdhsa_float_denorm_mode_16_64 3
		.amdhsa_dx10_clamp 1
		.amdhsa_ieee_mode 1
		.amdhsa_fp16_overflow 0
		.amdhsa_workgroup_processor_mode 1
		.amdhsa_memory_ordered 1
		.amdhsa_forward_progress 1
		.amdhsa_shared_vgpr_count 0
		.amdhsa_exception_fp_ieee_invalid_op 0
		.amdhsa_exception_fp_denorm_src 0
		.amdhsa_exception_fp_ieee_div_zero 0
		.amdhsa_exception_fp_ieee_overflow 0
		.amdhsa_exception_fp_ieee_underflow 0
		.amdhsa_exception_fp_ieee_inexact 0
		.amdhsa_exception_int_div_zero 0
	.end_amdhsa_kernel
	.section	.text._ZL23rocblas_trmm_rNx_kernelILi16E19rocblas_complex_numIdEPKS1_KS3_KPS1_Ev13rocblas_fill_17rocblas_diagonal_iiT1_lPT2_llSB_llPT3_lli,"axG",@progbits,_ZL23rocblas_trmm_rNx_kernelILi16E19rocblas_complex_numIdEPKS1_KS3_KPS1_Ev13rocblas_fill_17rocblas_diagonal_iiT1_lPT2_llSB_llPT3_lli,comdat
.Lfunc_end186:
	.size	_ZL23rocblas_trmm_rNx_kernelILi16E19rocblas_complex_numIdEPKS1_KS3_KPS1_Ev13rocblas_fill_17rocblas_diagonal_iiT1_lPT2_llSB_llPT3_lli, .Lfunc_end186-_ZL23rocblas_trmm_rNx_kernelILi16E19rocblas_complex_numIdEPKS1_KS3_KPS1_Ev13rocblas_fill_17rocblas_diagonal_iiT1_lPT2_llSB_llPT3_lli
                                        ; -- End function
	.set _ZL23rocblas_trmm_rNx_kernelILi16E19rocblas_complex_numIdEPKS1_KS3_KPS1_Ev13rocblas_fill_17rocblas_diagonal_iiT1_lPT2_llSB_llPT3_lli.num_vgpr, 45
	.set _ZL23rocblas_trmm_rNx_kernelILi16E19rocblas_complex_numIdEPKS1_KS3_KPS1_Ev13rocblas_fill_17rocblas_diagonal_iiT1_lPT2_llSB_llPT3_lli.num_agpr, 0
	.set _ZL23rocblas_trmm_rNx_kernelILi16E19rocblas_complex_numIdEPKS1_KS3_KPS1_Ev13rocblas_fill_17rocblas_diagonal_iiT1_lPT2_llSB_llPT3_lli.numbered_sgpr, 38
	.set _ZL23rocblas_trmm_rNx_kernelILi16E19rocblas_complex_numIdEPKS1_KS3_KPS1_Ev13rocblas_fill_17rocblas_diagonal_iiT1_lPT2_llSB_llPT3_lli.num_named_barrier, 0
	.set _ZL23rocblas_trmm_rNx_kernelILi16E19rocblas_complex_numIdEPKS1_KS3_KPS1_Ev13rocblas_fill_17rocblas_diagonal_iiT1_lPT2_llSB_llPT3_lli.private_seg_size, 0
	.set _ZL23rocblas_trmm_rNx_kernelILi16E19rocblas_complex_numIdEPKS1_KS3_KPS1_Ev13rocblas_fill_17rocblas_diagonal_iiT1_lPT2_llSB_llPT3_lli.uses_vcc, 1
	.set _ZL23rocblas_trmm_rNx_kernelILi16E19rocblas_complex_numIdEPKS1_KS3_KPS1_Ev13rocblas_fill_17rocblas_diagonal_iiT1_lPT2_llSB_llPT3_lli.uses_flat_scratch, 0
	.set _ZL23rocblas_trmm_rNx_kernelILi16E19rocblas_complex_numIdEPKS1_KS3_KPS1_Ev13rocblas_fill_17rocblas_diagonal_iiT1_lPT2_llSB_llPT3_lli.has_dyn_sized_stack, 0
	.set _ZL23rocblas_trmm_rNx_kernelILi16E19rocblas_complex_numIdEPKS1_KS3_KPS1_Ev13rocblas_fill_17rocblas_diagonal_iiT1_lPT2_llSB_llPT3_lli.has_recursion, 0
	.set _ZL23rocblas_trmm_rNx_kernelILi16E19rocblas_complex_numIdEPKS1_KS3_KPS1_Ev13rocblas_fill_17rocblas_diagonal_iiT1_lPT2_llSB_llPT3_lli.has_indirect_call, 0
	.section	.AMDGPU.csdata,"",@progbits
; Kernel info:
; codeLenInByte = 1908
; TotalNumSgprs: 40
; NumVgprs: 45
; ScratchSize: 0
; MemoryBound: 0
; FloatMode: 240
; IeeeMode: 1
; LDSByteSize: 8192 bytes/workgroup (compile time only)
; SGPRBlocks: 0
; VGPRBlocks: 5
; NumSGPRsForWavesPerEU: 40
; NumVGPRsForWavesPerEU: 45
; Occupancy: 16
; WaveLimiterHint : 1
; COMPUTE_PGM_RSRC2:SCRATCH_EN: 0
; COMPUTE_PGM_RSRC2:USER_SGPR: 6
; COMPUTE_PGM_RSRC2:TRAP_HANDLER: 0
; COMPUTE_PGM_RSRC2:TGID_X_EN: 1
; COMPUTE_PGM_RSRC2:TGID_Y_EN: 0
; COMPUTE_PGM_RSRC2:TGID_Z_EN: 1
; COMPUTE_PGM_RSRC2:TIDIG_COMP_CNT: 1
	.section	.text._ZL23rocblas_trmm_rNx_kernelILi16E19rocblas_complex_numIdES1_KPKS1_KPS1_Ev13rocblas_fill_17rocblas_diagonal_iiT1_lPT2_llSB_llPT3_lli,"axG",@progbits,_ZL23rocblas_trmm_rNx_kernelILi16E19rocblas_complex_numIdES1_KPKS1_KPS1_Ev13rocblas_fill_17rocblas_diagonal_iiT1_lPT2_llSB_llPT3_lli,comdat
	.globl	_ZL23rocblas_trmm_rNx_kernelILi16E19rocblas_complex_numIdES1_KPKS1_KPS1_Ev13rocblas_fill_17rocblas_diagonal_iiT1_lPT2_llSB_llPT3_lli ; -- Begin function _ZL23rocblas_trmm_rNx_kernelILi16E19rocblas_complex_numIdES1_KPKS1_KPS1_Ev13rocblas_fill_17rocblas_diagonal_iiT1_lPT2_llSB_llPT3_lli
	.p2align	8
	.type	_ZL23rocblas_trmm_rNx_kernelILi16E19rocblas_complex_numIdES1_KPKS1_KPS1_Ev13rocblas_fill_17rocblas_diagonal_iiT1_lPT2_llSB_llPT3_lli,@function
_ZL23rocblas_trmm_rNx_kernelILi16E19rocblas_complex_numIdES1_KPKS1_KPS1_Ev13rocblas_fill_17rocblas_diagonal_iiT1_lPT2_llSB_llPT3_lli: ; @_ZL23rocblas_trmm_rNx_kernelILi16E19rocblas_complex_numIdES1_KPKS1_KPS1_Ev13rocblas_fill_17rocblas_diagonal_iiT1_lPT2_llSB_llPT3_lli
; %bb.0:
	s_load_dwordx4 s[24:27], s[4:5], 0x10
	s_waitcnt lgkmcnt(0)
	v_cmp_neq_f64_e64 s1, s[24:25], 0
	v_cmp_neq_f64_e64 s2, s[26:27], 0
	s_or_b32 s1, s1, s2
	s_andn2_b32 vcc_lo, exec_lo, s1
	s_cbranch_vccnz .LBB187_15
; %bb.1:
	s_load_dwordx16 s[8:23], s[4:5], 0x28
	s_mov_b32 s0, s7
	s_mov_b32 s1, 0
	s_load_dwordx4 s[28:31], s[4:5], 0x0
	s_lshl_b64 s[34:35], s[0:1], 3
	v_lshlrev_b32_e32 v3, 4, v1
	s_mov_b32 s0, s1
	v_lshlrev_b32_e32 v2, 4, v0
	v_add_lshl_u32 v4, v3, v0, 4
	s_waitcnt lgkmcnt(0)
	s_add_u32 s2, s14, s34
	s_addc_u32 s3, s15, s35
	s_add_u32 s14, s20, s34
	s_addc_u32 s15, s21, s35
	s_load_dwordx2 s[20:21], s[2:3], 0x0
	s_load_dwordx2 s[14:15], s[14:15], 0x0
	s_mov_b32 s3, s1
	s_mov_b32 s2, s1
	v_mov_b32_e32 v8, s3
	v_mov_b32_e32 v7, s2
	v_mov_b32_e32 v6, s1
	v_mov_b32_e32 v5, s0
	v_cmp_gt_i32_e32 vcc_lo, s31, v1
	v_cmp_gt_i32_e64 s0, s31, v0
	ds_write_b128 v4, v[5:8]
	ds_write_b128 v4, v[5:8] offset:4096
	s_and_b32 s0, vcc_lo, s0
	s_and_saveexec_b32 s1, s0
	s_cbranch_execz .LBB187_3
; %bb.2:
	s_add_u32 s2, s8, s34
	s_addc_u32 s3, s9, s35
	v_mad_u64_u32 v[5:6], null, s10, v1, 0
	s_load_dwordx2 s[2:3], s[2:3], 0x0
	s_lshl_b64 s[8:9], s[12:13], 4
	v_mad_u64_u32 v[6:7], null, s11, v1, v[6:7]
	v_lshlrev_b64 v[5:6], 4, v[5:6]
	s_waitcnt lgkmcnt(0)
	s_add_u32 s0, s2, s8
	s_addc_u32 s2, s3, s9
	v_add_co_u32 v5, s0, s0, v5
	v_add_co_ci_u32_e64 v6, null, s2, v6, s0
	v_add_co_u32 v5, s0, v5, v2
	v_add_co_ci_u32_e64 v6, null, 0, v6, s0
	flat_load_dwordx4 v[5:8], v[5:6]
	s_waitcnt vmcnt(0) lgkmcnt(0)
	ds_write2_b64 v4, v[5:6], v[7:8] offset1:1
.LBB187_3:
	s_or_b32 exec_lo, exec_lo, s1
	s_add_i32 s0, s30, -1
	s_ashr_i32 s1, s0, 31
	s_lshr_b32 s1, s1, 28
	s_add_i32 s0, s0, s1
	s_and_b32 s1, s0, -16
	s_ashr_i32 s0, s0, 4
	s_sub_i32 s1, s30, s1
	s_cmp_ge_i32 s6, s0
	s_cselect_b32 s0, s1, 16
	s_lshl_b32 s2, s6, 4
	v_cmp_gt_i32_e64 s0, s0, v0
	s_ashr_i32 s3, s2, 31
	s_and_b32 s0, vcc_lo, s0
	s_and_saveexec_b32 s1, s0
	s_cbranch_execz .LBB187_5
; %bb.4:
	v_mad_u64_u32 v[5:6], null, s16, v1, 0
	s_lshl_b64 s[6:7], s[18:19], 4
	v_add_nc_u32_e32 v9, 0x1000, v4
	s_waitcnt lgkmcnt(0)
	s_add_u32 s8, s20, s6
	s_addc_u32 s9, s21, s7
	s_lshl_b64 s[6:7], s[2:3], 4
	s_add_u32 s6, s8, s6
	v_mad_u64_u32 v[6:7], null, s17, v1, v[6:7]
	s_addc_u32 s7, s9, s7
	v_lshlrev_b64 v[5:6], 4, v[5:6]
	v_add_co_u32 v5, vcc_lo, s6, v5
	v_add_co_ci_u32_e64 v6, null, s7, v6, vcc_lo
	v_add_co_u32 v5, vcc_lo, v5, v2
	v_add_co_ci_u32_e64 v6, null, 0, v6, vcc_lo
	flat_load_dwordx4 v[5:8], v[5:6]
	s_waitcnt vmcnt(0) lgkmcnt(0)
	ds_write2_b64 v9, v[5:6], v[7:8] offset1:1
.LBB187_5:
	s_or_b32 exec_lo, exec_lo, s1
	v_cmp_eq_u32_e32 vcc_lo, v1, v0
	s_cmpk_eq_i32 s29, 0x84
	s_cselect_b32 s1, -1, 0
	s_and_b32 s6, vcc_lo, s1
	s_and_saveexec_b32 s1, s6
	s_cbranch_execz .LBB187_7
; %bb.6:
	v_mov_b32_e32 v5, 0
	v_mov_b32_e32 v6, 0x3ff00000
	;; [unrolled: 1-line block ×4, first 2 shown]
	ds_write_b128 v4, v[5:8]
.LBB187_7:
	s_or_b32 exec_lo, exec_lo, s1
	s_cmpk_lg_i32 s28, 0x79
	s_cbranch_scc0 .LBB187_9
; %bb.8:
	v_cmp_lt_u32_e32 vcc_lo, v0, v1
	s_and_b32 s1, vcc_lo, exec_lo
	s_cbranch_execz .LBB187_10
	s_branch .LBB187_11
.LBB187_9:
	s_mov_b32 s1, 0
.LBB187_10:
	v_cmp_gt_u32_e32 vcc_lo, v0, v1
	s_andn2_b32 s1, s1, exec_lo
	s_and_b32 s6, vcc_lo, exec_lo
	s_or_b32 s1, s1, s6
.LBB187_11:
	s_and_saveexec_b32 s6, s1
	s_cbranch_execz .LBB187_13
; %bb.12:
	v_mov_b32_e32 v5, 0
	v_mov_b32_e32 v6, v5
	;; [unrolled: 1-line block ×4, first 2 shown]
	ds_write_b128 v4, v[5:8]
.LBB187_13:
	s_or_b32 exec_lo, exec_lo, s6
	s_waitcnt lgkmcnt(0)
	s_barrier
	buffer_gl0_inv
	s_and_saveexec_b32 s1, s0
	s_cbranch_execz .LBB187_15
; %bb.14:
	v_lshlrev_b32_e32 v0, 4, v3
	s_load_dwordx2 s[0:1], s[4:5], 0x68
	ds_read_b128 v[3:6], v0
	ds_read_b128 v[7:10], v2 offset:4096
	ds_read_b128 v[11:14], v2 offset:4352
	;; [unrolled: 1-line block ×5, first 2 shown]
	s_waitcnt lgkmcnt(0)
	s_lshl_b64 s[0:1], s[0:1], 4
	s_add_u32 s4, s14, s0
	v_mul_f64 v[27:28], v[3:4], v[9:10]
	v_mul_f64 v[35:36], v[15:16], v[13:14]
	;; [unrolled: 1-line block ×6, first 2 shown]
	s_addc_u32 s5, s15, s1
	s_lshl_b64 s[0:1], s[2:3], 4
	s_add_u32 s0, s4, s0
	s_addc_u32 s1, s5, s1
	v_fma_f64 v[5:6], v[5:6], v[7:8], v[27:28]
	v_fma_f64 v[17:18], v[17:18], v[11:12], v[35:36]
	v_fma_f64 v[35:36], v[3:4], v[7:8], -v[9:10]
	ds_read_b128 v[27:30], v2 offset:4864
	ds_read_b128 v[31:34], v0 offset:48
	v_fma_f64 v[25:26], v[25:26], v[19:20], v[37:38]
	v_fma_f64 v[37:38], v[15:16], v[11:12], -v[13:14]
	v_add_f64 v[39:40], v[5:6], 0
	s_waitcnt lgkmcnt(0)
	v_mul_f64 v[41:42], v[31:32], v[29:30]
	v_add_f64 v[35:36], v[35:36], 0
	ds_read_b128 v[3:6], v2 offset:5120
	ds_read_b128 v[7:10], v0 offset:64
	v_mul_f64 v[29:30], v[33:34], v[29:30]
	v_add_f64 v[39:40], v[39:40], v[17:18]
	s_waitcnt lgkmcnt(0)
	v_mul_f64 v[43:44], v[7:8], v[5:6]
	v_fma_f64 v[33:34], v[33:34], v[27:28], v[41:42]
	v_fma_f64 v[41:42], v[23:24], v[19:20], -v[21:22]
	v_add_f64 v[35:36], v[35:36], v[37:38]
	ds_read_b128 v[11:14], v2 offset:5376
	ds_read_b128 v[15:18], v0 offset:80
	v_mul_f64 v[5:6], v[9:10], v[5:6]
	v_add_f64 v[37:38], v[39:40], v[25:26]
	v_fma_f64 v[9:10], v[9:10], v[3:4], v[43:44]
	v_fma_f64 v[43:44], v[31:32], v[27:28], -v[29:30]
	s_waitcnt lgkmcnt(0)
	v_mul_f64 v[39:40], v[15:16], v[13:14]
	v_add_f64 v[35:36], v[35:36], v[41:42]
	ds_read_b128 v[19:22], v2 offset:5632
	ds_read_b128 v[23:26], v0 offset:96
	v_mul_f64 v[13:14], v[17:18], v[13:14]
	v_add_f64 v[37:38], v[37:38], v[33:34]
	ds_read_b128 v[27:30], v2 offset:5888
	ds_read_b128 v[31:34], v0 offset:112
	s_waitcnt lgkmcnt(2)
	v_mul_f64 v[41:42], v[23:24], v[21:22]
	v_fma_f64 v[17:18], v[17:18], v[11:12], v[39:40]
	v_fma_f64 v[39:40], v[7:8], v[3:4], -v[5:6]
	v_add_f64 v[35:36], v[35:36], v[43:44]
	v_mul_f64 v[21:22], v[25:26], v[21:22]
	s_waitcnt lgkmcnt(0)
	v_mul_f64 v[43:44], v[31:32], v[29:30]
	v_add_f64 v[37:38], v[37:38], v[9:10]
	ds_read_b128 v[3:6], v2 offset:6144
	ds_read_b128 v[7:10], v0 offset:128
	v_mul_f64 v[29:30], v[33:34], v[29:30]
	v_fma_f64 v[25:26], v[25:26], v[19:20], v[41:42]
	v_fma_f64 v[41:42], v[15:16], v[11:12], -v[13:14]
	v_add_f64 v[35:36], v[35:36], v[39:40]
	s_waitcnt lgkmcnt(0)
	v_mul_f64 v[39:40], v[7:8], v[5:6]
	v_add_f64 v[37:38], v[37:38], v[17:18]
	v_fma_f64 v[33:34], v[33:34], v[27:28], v[43:44]
	v_fma_f64 v[43:44], v[23:24], v[19:20], -v[21:22]
	ds_read_b128 v[11:14], v2 offset:6400
	ds_read_b128 v[15:18], v0 offset:144
	v_mul_f64 v[5:6], v[9:10], v[5:6]
	v_add_f64 v[35:36], v[35:36], v[41:42]
	v_fma_f64 v[9:10], v[9:10], v[3:4], v[39:40]
	v_add_f64 v[37:38], v[37:38], v[25:26]
	s_waitcnt lgkmcnt(0)
	v_mul_f64 v[41:42], v[15:16], v[13:14]
	v_fma_f64 v[39:40], v[31:32], v[27:28], -v[29:30]
	ds_read_b128 v[19:22], v2 offset:6656
	ds_read_b128 v[23:26], v0 offset:160
	v_mul_f64 v[13:14], v[17:18], v[13:14]
	v_add_f64 v[35:36], v[35:36], v[43:44]
	v_add_f64 v[37:38], v[37:38], v[33:34]
	s_waitcnt lgkmcnt(0)
	v_mul_f64 v[43:44], v[23:24], v[21:22]
	v_fma_f64 v[17:18], v[17:18], v[11:12], v[41:42]
	v_fma_f64 v[41:42], v[7:8], v[3:4], -v[5:6]
	ds_read_b128 v[27:30], v2 offset:6912
	ds_read_b128 v[31:34], v0 offset:176
	v_mul_f64 v[21:22], v[25:26], v[21:22]
	v_add_f64 v[35:36], v[35:36], v[39:40]
	v_add_f64 v[37:38], v[37:38], v[9:10]
	v_fma_f64 v[25:26], v[25:26], v[19:20], v[43:44]
	s_waitcnt lgkmcnt(0)
	v_mul_f64 v[39:40], v[31:32], v[29:30]
	v_fma_f64 v[43:44], v[15:16], v[11:12], -v[13:14]
	ds_read_b128 v[3:6], v2 offset:7168
	ds_read_b128 v[7:10], v0 offset:192
	v_mul_f64 v[29:30], v[33:34], v[29:30]
	v_add_f64 v[35:36], v[35:36], v[41:42]
	v_add_f64 v[37:38], v[37:38], v[17:18]
	ds_read_b128 v[11:14], v2 offset:7424
	ds_read_b128 v[15:18], v0 offset:208
	s_waitcnt lgkmcnt(2)
	v_mul_f64 v[41:42], v[7:8], v[5:6]
	v_fma_f64 v[33:34], v[33:34], v[27:28], v[39:40]
	v_fma_f64 v[39:40], v[23:24], v[19:20], -v[21:22]
	v_mul_f64 v[5:6], v[9:10], v[5:6]
	v_add_f64 v[35:36], v[35:36], v[43:44]
	s_waitcnt lgkmcnt(0)
	v_mul_f64 v[43:44], v[15:16], v[13:14]
	v_add_f64 v[37:38], v[37:38], v[25:26]
	ds_read_b128 v[19:22], v2 offset:7680
	ds_read_b128 v[23:26], v0 offset:224
	v_fma_f64 v[9:10], v[9:10], v[3:4], v[41:42]
	v_fma_f64 v[41:42], v[31:32], v[27:28], -v[29:30]
	v_mul_f64 v[13:14], v[17:18], v[13:14]
	v_fma_f64 v[3:4], v[7:8], v[3:4], -v[5:6]
	v_add_f64 v[35:36], v[35:36], v[39:40]
	s_waitcnt lgkmcnt(0)
	v_mul_f64 v[39:40], v[23:24], v[21:22]
	v_add_f64 v[37:38], v[37:38], v[33:34]
	v_fma_f64 v[17:18], v[17:18], v[11:12], v[43:44]
	ds_read_b128 v[27:30], v2 offset:7936
	ds_read_b128 v[31:34], v0 offset:240
	v_mul_f64 v[21:22], v[25:26], v[21:22]
	v_fma_f64 v[11:12], v[15:16], v[11:12], -v[13:14]
	v_add_f64 v[5:6], v[35:36], v[41:42]
	v_fma_f64 v[25:26], v[25:26], v[19:20], v[39:40]
	v_add_f64 v[7:8], v[37:38], v[9:10]
	s_waitcnt lgkmcnt(0)
	v_mul_f64 v[9:10], v[31:32], v[29:30]
	v_fma_f64 v[13:14], v[23:24], v[19:20], -v[21:22]
	v_add_f64 v[3:4], v[5:6], v[3:4]
	v_add_f64 v[5:6], v[7:8], v[17:18]
	v_mul_f64 v[7:8], v[33:34], v[29:30]
	v_fma_f64 v[9:10], v[33:34], v[27:28], v[9:10]
	v_add_f64 v[3:4], v[3:4], v[11:12]
	v_add_f64 v[5:6], v[5:6], v[25:26]
	v_fma_f64 v[7:8], v[31:32], v[27:28], -v[7:8]
	v_add_f64 v[3:4], v[3:4], v[13:14]
	v_add_f64 v[5:6], v[5:6], v[9:10]
	v_mad_u64_u32 v[9:10], null, s22, v1, 0
	v_add_f64 v[3:4], v[3:4], v[7:8]
	v_mov_b32_e32 v0, v10
	v_mad_u64_u32 v[0:1], null, s23, v1, v[0:1]
	v_mov_b32_e32 v10, v0
	v_mul_f64 v[7:8], s[24:25], v[5:6]
	v_mul_f64 v[11:12], s[26:27], v[5:6]
	v_lshlrev_b64 v[0:1], 4, v[9:10]
	v_add_co_u32 v0, vcc_lo, s0, v0
	v_add_co_ci_u32_e64 v1, null, s1, v1, vcc_lo
	v_add_co_u32 v0, vcc_lo, v0, v2
	v_add_co_ci_u32_e64 v1, null, 0, v1, vcc_lo
	v_fma_f64 v[5:6], s[26:27], v[3:4], v[7:8]
	v_fma_f64 v[3:4], s[24:25], v[3:4], -v[11:12]
	flat_store_dwordx4 v[0:1], v[3:6]
.LBB187_15:
	s_endpgm
	.section	.rodata,"a",@progbits
	.p2align	6, 0x0
	.amdhsa_kernel _ZL23rocblas_trmm_rNx_kernelILi16E19rocblas_complex_numIdES1_KPKS1_KPS1_Ev13rocblas_fill_17rocblas_diagonal_iiT1_lPT2_llSB_llPT3_lli
		.amdhsa_group_segment_fixed_size 8192
		.amdhsa_private_segment_fixed_size 0
		.amdhsa_kernarg_size 116
		.amdhsa_user_sgpr_count 6
		.amdhsa_user_sgpr_private_segment_buffer 1
		.amdhsa_user_sgpr_dispatch_ptr 0
		.amdhsa_user_sgpr_queue_ptr 0
		.amdhsa_user_sgpr_kernarg_segment_ptr 1
		.amdhsa_user_sgpr_dispatch_id 0
		.amdhsa_user_sgpr_flat_scratch_init 0
		.amdhsa_user_sgpr_private_segment_size 0
		.amdhsa_wavefront_size32 1
		.amdhsa_uses_dynamic_stack 0
		.amdhsa_system_sgpr_private_segment_wavefront_offset 0
		.amdhsa_system_sgpr_workgroup_id_x 1
		.amdhsa_system_sgpr_workgroup_id_y 0
		.amdhsa_system_sgpr_workgroup_id_z 1
		.amdhsa_system_sgpr_workgroup_info 0
		.amdhsa_system_vgpr_workitem_id 1
		.amdhsa_next_free_vgpr 45
		.amdhsa_next_free_sgpr 36
		.amdhsa_reserve_vcc 1
		.amdhsa_reserve_flat_scratch 0
		.amdhsa_float_round_mode_32 0
		.amdhsa_float_round_mode_16_64 0
		.amdhsa_float_denorm_mode_32 3
		.amdhsa_float_denorm_mode_16_64 3
		.amdhsa_dx10_clamp 1
		.amdhsa_ieee_mode 1
		.amdhsa_fp16_overflow 0
		.amdhsa_workgroup_processor_mode 1
		.amdhsa_memory_ordered 1
		.amdhsa_forward_progress 1
		.amdhsa_shared_vgpr_count 0
		.amdhsa_exception_fp_ieee_invalid_op 0
		.amdhsa_exception_fp_denorm_src 0
		.amdhsa_exception_fp_ieee_div_zero 0
		.amdhsa_exception_fp_ieee_overflow 0
		.amdhsa_exception_fp_ieee_underflow 0
		.amdhsa_exception_fp_ieee_inexact 0
		.amdhsa_exception_int_div_zero 0
	.end_amdhsa_kernel
	.section	.text._ZL23rocblas_trmm_rNx_kernelILi16E19rocblas_complex_numIdES1_KPKS1_KPS1_Ev13rocblas_fill_17rocblas_diagonal_iiT1_lPT2_llSB_llPT3_lli,"axG",@progbits,_ZL23rocblas_trmm_rNx_kernelILi16E19rocblas_complex_numIdES1_KPKS1_KPS1_Ev13rocblas_fill_17rocblas_diagonal_iiT1_lPT2_llSB_llPT3_lli,comdat
.Lfunc_end187:
	.size	_ZL23rocblas_trmm_rNx_kernelILi16E19rocblas_complex_numIdES1_KPKS1_KPS1_Ev13rocblas_fill_17rocblas_diagonal_iiT1_lPT2_llSB_llPT3_lli, .Lfunc_end187-_ZL23rocblas_trmm_rNx_kernelILi16E19rocblas_complex_numIdES1_KPKS1_KPS1_Ev13rocblas_fill_17rocblas_diagonal_iiT1_lPT2_llSB_llPT3_lli
                                        ; -- End function
	.set _ZL23rocblas_trmm_rNx_kernelILi16E19rocblas_complex_numIdES1_KPKS1_KPS1_Ev13rocblas_fill_17rocblas_diagonal_iiT1_lPT2_llSB_llPT3_lli.num_vgpr, 45
	.set _ZL23rocblas_trmm_rNx_kernelILi16E19rocblas_complex_numIdES1_KPKS1_KPS1_Ev13rocblas_fill_17rocblas_diagonal_iiT1_lPT2_llSB_llPT3_lli.num_agpr, 0
	.set _ZL23rocblas_trmm_rNx_kernelILi16E19rocblas_complex_numIdES1_KPKS1_KPS1_Ev13rocblas_fill_17rocblas_diagonal_iiT1_lPT2_llSB_llPT3_lli.numbered_sgpr, 36
	.set _ZL23rocblas_trmm_rNx_kernelILi16E19rocblas_complex_numIdES1_KPKS1_KPS1_Ev13rocblas_fill_17rocblas_diagonal_iiT1_lPT2_llSB_llPT3_lli.num_named_barrier, 0
	.set _ZL23rocblas_trmm_rNx_kernelILi16E19rocblas_complex_numIdES1_KPKS1_KPS1_Ev13rocblas_fill_17rocblas_diagonal_iiT1_lPT2_llSB_llPT3_lli.private_seg_size, 0
	.set _ZL23rocblas_trmm_rNx_kernelILi16E19rocblas_complex_numIdES1_KPKS1_KPS1_Ev13rocblas_fill_17rocblas_diagonal_iiT1_lPT2_llSB_llPT3_lli.uses_vcc, 1
	.set _ZL23rocblas_trmm_rNx_kernelILi16E19rocblas_complex_numIdES1_KPKS1_KPS1_Ev13rocblas_fill_17rocblas_diagonal_iiT1_lPT2_llSB_llPT3_lli.uses_flat_scratch, 0
	.set _ZL23rocblas_trmm_rNx_kernelILi16E19rocblas_complex_numIdES1_KPKS1_KPS1_Ev13rocblas_fill_17rocblas_diagonal_iiT1_lPT2_llSB_llPT3_lli.has_dyn_sized_stack, 0
	.set _ZL23rocblas_trmm_rNx_kernelILi16E19rocblas_complex_numIdES1_KPKS1_KPS1_Ev13rocblas_fill_17rocblas_diagonal_iiT1_lPT2_llSB_llPT3_lli.has_recursion, 0
	.set _ZL23rocblas_trmm_rNx_kernelILi16E19rocblas_complex_numIdES1_KPKS1_KPS1_Ev13rocblas_fill_17rocblas_diagonal_iiT1_lPT2_llSB_llPT3_lli.has_indirect_call, 0
	.section	.AMDGPU.csdata,"",@progbits
; Kernel info:
; codeLenInByte = 1864
; TotalNumSgprs: 38
; NumVgprs: 45
; ScratchSize: 0
; MemoryBound: 0
; FloatMode: 240
; IeeeMode: 1
; LDSByteSize: 8192 bytes/workgroup (compile time only)
; SGPRBlocks: 0
; VGPRBlocks: 5
; NumSGPRsForWavesPerEU: 38
; NumVGPRsForWavesPerEU: 45
; Occupancy: 16
; WaveLimiterHint : 1
; COMPUTE_PGM_RSRC2:SCRATCH_EN: 0
; COMPUTE_PGM_RSRC2:USER_SGPR: 6
; COMPUTE_PGM_RSRC2:TRAP_HANDLER: 0
; COMPUTE_PGM_RSRC2:TGID_X_EN: 1
; COMPUTE_PGM_RSRC2:TGID_Y_EN: 0
; COMPUTE_PGM_RSRC2:TGID_Z_EN: 1
; COMPUTE_PGM_RSRC2:TIDIG_COMP_CNT: 1
	.section	.text._ZL23rocblas_trmm_rTx_kernelILi16ELb0E19rocblas_complex_numIdEPKS1_KS3_KPS1_Ev13rocblas_fill_17rocblas_diagonal_iiT2_lPT3_llSB_llPT4_lli,"axG",@progbits,_ZL23rocblas_trmm_rTx_kernelILi16ELb0E19rocblas_complex_numIdEPKS1_KS3_KPS1_Ev13rocblas_fill_17rocblas_diagonal_iiT2_lPT3_llSB_llPT4_lli,comdat
	.globl	_ZL23rocblas_trmm_rTx_kernelILi16ELb0E19rocblas_complex_numIdEPKS1_KS3_KPS1_Ev13rocblas_fill_17rocblas_diagonal_iiT2_lPT3_llSB_llPT4_lli ; -- Begin function _ZL23rocblas_trmm_rTx_kernelILi16ELb0E19rocblas_complex_numIdEPKS1_KS3_KPS1_Ev13rocblas_fill_17rocblas_diagonal_iiT2_lPT3_llSB_llPT4_lli
	.p2align	8
	.type	_ZL23rocblas_trmm_rTx_kernelILi16ELb0E19rocblas_complex_numIdEPKS1_KS3_KPS1_Ev13rocblas_fill_17rocblas_diagonal_iiT2_lPT3_llSB_llPT4_lli,@function
_ZL23rocblas_trmm_rTx_kernelILi16ELb0E19rocblas_complex_numIdEPKS1_KS3_KPS1_Ev13rocblas_fill_17rocblas_diagonal_iiT2_lPT3_llSB_llPT4_lli: ; @_ZL23rocblas_trmm_rTx_kernelILi16ELb0E19rocblas_complex_numIdEPKS1_KS3_KPS1_Ev13rocblas_fill_17rocblas_diagonal_iiT2_lPT3_llSB_llPT4_lli
; %bb.0:
	s_load_dwordx16 s[8:23], s[4:5], 0x10
	s_waitcnt lgkmcnt(0)
	s_mul_i32 s1, s11, s7
	s_mul_hi_u32 s2, s10, s7
	s_mul_i32 s0, s10, s7
	s_add_i32 s1, s2, s1
	s_lshl_b64 s[0:1], s[0:1], 4
	s_add_u32 s0, s8, s0
	s_addc_u32 s1, s9, s1
	s_load_dwordx4 s[8:11], s[0:1], 0x0
	s_waitcnt lgkmcnt(0)
	v_cmp_neq_f64_e64 s0, s[8:9], 0
	v_cmp_neq_f64_e64 s1, s[10:11], 0
	s_or_b32 s0, s0, s1
	s_andn2_b32 vcc_lo, exec_lo, s0
	s_cbranch_vccnz .LBB188_15
; %bb.1:
	s_clause 0x1
	s_load_dwordx4 s[0:3], s[4:5], 0x50
	s_load_dwordx4 s[24:27], s[4:5], 0x0
	s_mov_b32 s28, s7
	s_mov_b32 s29, 0
	v_lshlrev_b32_e32 v3, 4, v1
	s_lshl_b64 s[36:37], s[28:29], 3
	s_mov_b32 s28, s29
	s_add_u32 s18, s18, s36
	s_addc_u32 s19, s19, s37
	s_mov_b32 s30, s29
	s_mov_b32 s31, s29
	v_mov_b32_e32 v5, s28
	v_add_lshl_u32 v4, v3, v0, 4
	v_mov_b32_e32 v6, s29
	v_mov_b32_e32 v7, s30
	;; [unrolled: 1-line block ×3, first 2 shown]
	v_lshlrev_b32_e32 v2, 4, v0
	s_waitcnt lgkmcnt(0)
	s_add_u32 s0, s0, s36
	s_addc_u32 s1, s1, s37
	s_load_dwordx2 s[34:35], s[18:19], 0x0
	s_load_dwordx2 s[18:19], s[0:1], 0x0
	v_cmp_gt_i32_e32 vcc_lo, s27, v1
	v_cmp_gt_i32_e64 s0, s27, v0
	ds_write_b128 v4, v[5:8]
	ds_write_b128 v4, v[5:8] offset:4096
	s_and_b32 s0, vcc_lo, s0
	s_and_saveexec_b32 s1, s0
	s_cbranch_execz .LBB188_3
; %bb.2:
	s_add_u32 s12, s12, s36
	s_addc_u32 s13, s13, s37
	v_mad_u64_u32 v[5:6], null, s14, v1, 0
	s_load_dwordx2 s[12:13], s[12:13], 0x0
	v_mad_u64_u32 v[6:7], null, s15, v1, v[6:7]
	s_lshl_b64 s[14:15], s[16:17], 4
	v_lshlrev_b64 v[5:6], 4, v[5:6]
	s_waitcnt lgkmcnt(0)
	s_add_u32 s0, s12, s14
	s_addc_u32 s7, s13, s15
	v_add_co_u32 v5, s0, s0, v5
	v_add_co_ci_u32_e64 v6, null, s7, v6, s0
	v_add_co_u32 v5, s0, v5, v2
	v_add_co_ci_u32_e64 v6, null, 0, v6, s0
	flat_load_dwordx4 v[5:8], v[5:6]
	s_waitcnt vmcnt(0) lgkmcnt(0)
	ds_write2_b64 v4, v[5:6], v[7:8] offset1:1
.LBB188_3:
	s_or_b32 exec_lo, exec_lo, s1
	s_add_i32 s0, s26, -1
	s_ashr_i32 s1, s0, 31
	s_lshr_b32 s1, s1, 28
	s_add_i32 s0, s0, s1
	s_and_b32 s1, s0, -16
	s_ashr_i32 s0, s0, 4
	s_sub_i32 s1, s26, s1
	s_cmp_ge_i32 s6, s0
	s_cselect_b32 s0, s1, 16
	s_lshl_b32 s6, s6, 4
	v_cmp_gt_i32_e64 s0, s0, v0
	s_ashr_i32 s7, s6, 31
	s_and_b32 s0, vcc_lo, s0
	s_and_saveexec_b32 s1, s0
	s_cbranch_execz .LBB188_5
; %bb.4:
	v_mad_u64_u32 v[5:6], null, s20, v1, 0
	s_lshl_b64 s[12:13], s[22:23], 4
	v_add_nc_u32_e32 v9, 0x1000, v4
	s_waitcnt lgkmcnt(0)
	s_add_u32 s14, s34, s12
	s_addc_u32 s15, s35, s13
	s_lshl_b64 s[12:13], s[6:7], 4
	s_add_u32 s12, s14, s12
	v_mad_u64_u32 v[6:7], null, s21, v1, v[6:7]
	s_addc_u32 s13, s15, s13
	v_lshlrev_b64 v[5:6], 4, v[5:6]
	v_add_co_u32 v5, vcc_lo, s12, v5
	v_add_co_ci_u32_e64 v6, null, s13, v6, vcc_lo
	v_add_co_u32 v5, vcc_lo, v5, v2
	v_add_co_ci_u32_e64 v6, null, 0, v6, vcc_lo
	flat_load_dwordx4 v[5:8], v[5:6]
	s_waitcnt vmcnt(0) lgkmcnt(0)
	ds_write2_b64 v9, v[5:6], v[7:8] offset1:1
.LBB188_5:
	s_or_b32 exec_lo, exec_lo, s1
	v_cmp_eq_u32_e32 vcc_lo, v1, v0
	s_cmpk_eq_i32 s25, 0x84
	s_cselect_b32 s1, -1, 0
	s_and_b32 s12, vcc_lo, s1
	s_and_saveexec_b32 s1, s12
	s_cbranch_execz .LBB188_7
; %bb.6:
	v_mov_b32_e32 v5, 0
	v_mov_b32_e32 v6, 0x3ff00000
	v_mov_b32_e32 v7, v5
	v_mov_b32_e32 v8, v5
	ds_write_b128 v4, v[5:8]
.LBB188_7:
	s_or_b32 exec_lo, exec_lo, s1
	s_cmpk_lg_i32 s24, 0x79
	s_cbranch_scc0 .LBB188_9
; %bb.8:
	v_cmp_lt_u32_e32 vcc_lo, v0, v1
	s_and_b32 s1, vcc_lo, exec_lo
	s_cbranch_execz .LBB188_10
	s_branch .LBB188_11
.LBB188_9:
	s_mov_b32 s1, 0
.LBB188_10:
	v_cmp_gt_u32_e32 vcc_lo, v0, v1
	s_andn2_b32 s1, s1, exec_lo
	s_and_b32 s12, vcc_lo, exec_lo
	s_or_b32 s1, s1, s12
.LBB188_11:
	s_and_saveexec_b32 s12, s1
	s_cbranch_execz .LBB188_13
; %bb.12:
	v_mov_b32_e32 v5, 0
	v_mov_b32_e32 v6, v5
	;; [unrolled: 1-line block ×4, first 2 shown]
	ds_write_b128 v4, v[5:8]
.LBB188_13:
	s_or_b32 exec_lo, exec_lo, s12
	s_waitcnt lgkmcnt(0)
	s_barrier
	buffer_gl0_inv
	s_and_saveexec_b32 s1, s0
	s_cbranch_execz .LBB188_15
; %bb.14:
	ds_read_b128 v[4:7], v2 offset:4096
	ds_read_b128 v[8:11], v3
	ds_read_b128 v[12:15], v3 offset:256
	ds_read_b128 v[16:19], v2 offset:4352
	;; [unrolled: 1-line block ×4, first 2 shown]
	s_load_dwordx2 s[0:1], s[4:5], 0x60
	s_waitcnt lgkmcnt(0)
	v_mul_f64 v[28:29], v[8:9], v[6:7]
	v_mul_f64 v[6:7], v[10:11], v[6:7]
	;; [unrolled: 1-line block ×6, first 2 shown]
	s_lshl_b64 s[0:1], s[0:1], 4
	v_fma_f64 v[10:11], v[10:11], v[4:5], v[28:29]
	ds_read_b128 v[28:31], v3 offset:768
	ds_read_b128 v[32:35], v2 offset:4864
	v_fma_f64 v[14:15], v[14:15], v[16:17], v[36:37]
	v_fma_f64 v[36:37], v[8:9], v[4:5], -v[6:7]
	v_fma_f64 v[22:23], v[22:23], v[24:25], v[38:39]
	v_fma_f64 v[38:39], v[12:13], v[16:17], -v[18:19]
	s_waitcnt lgkmcnt(0)
	v_mul_f64 v[42:43], v[28:29], v[34:35]
	v_add_f64 v[40:41], v[10:11], 0
	ds_read_b128 v[4:7], v3 offset:1024
	ds_read_b128 v[8:11], v2 offset:5120
	v_mul_f64 v[34:35], v[30:31], v[34:35]
	v_add_f64 v[36:37], v[36:37], 0
	s_waitcnt lgkmcnt(0)
	v_mul_f64 v[44:45], v[4:5], v[10:11]
	v_add_f64 v[40:41], v[40:41], v[14:15]
	v_fma_f64 v[30:31], v[30:31], v[32:33], v[42:43]
	v_fma_f64 v[42:43], v[20:21], v[24:25], -v[26:27]
	v_add_f64 v[36:37], v[36:37], v[38:39]
	ds_read_b128 v[12:15], v3 offset:1280
	ds_read_b128 v[16:19], v2 offset:5376
	v_mul_f64 v[10:11], v[6:7], v[10:11]
	v_fma_f64 v[6:7], v[6:7], v[8:9], v[44:45]
	v_add_f64 v[38:39], v[40:41], v[22:23]
	v_fma_f64 v[44:45], v[28:29], v[32:33], -v[34:35]
	s_waitcnt lgkmcnt(0)
	v_mul_f64 v[40:41], v[12:13], v[18:19]
	v_add_f64 v[36:37], v[36:37], v[42:43]
	ds_read_b128 v[20:23], v3 offset:1536
	ds_read_b128 v[24:27], v2 offset:5632
	v_mul_f64 v[18:19], v[14:15], v[18:19]
	v_add_f64 v[38:39], v[38:39], v[30:31]
	ds_read_b128 v[28:31], v3 offset:1792
	ds_read_b128 v[32:35], v2 offset:5888
	s_waitcnt lgkmcnt(2)
	v_mul_f64 v[42:43], v[20:21], v[26:27]
	v_fma_f64 v[14:15], v[14:15], v[16:17], v[40:41]
	v_fma_f64 v[40:41], v[4:5], v[8:9], -v[10:11]
	v_add_f64 v[36:37], v[36:37], v[44:45]
	v_mul_f64 v[26:27], v[22:23], v[26:27]
	s_waitcnt lgkmcnt(0)
	v_mul_f64 v[44:45], v[28:29], v[34:35]
	v_add_f64 v[38:39], v[38:39], v[6:7]
	ds_read_b128 v[4:7], v3 offset:2048
	ds_read_b128 v[8:11], v2 offset:6144
	v_fma_f64 v[22:23], v[22:23], v[24:25], v[42:43]
	v_fma_f64 v[42:43], v[12:13], v[16:17], -v[18:19]
	v_mul_f64 v[34:35], v[30:31], v[34:35]
	v_add_f64 v[36:37], v[36:37], v[40:41]
	s_waitcnt lgkmcnt(0)
	v_mul_f64 v[40:41], v[4:5], v[10:11]
	v_add_f64 v[38:39], v[38:39], v[14:15]
	v_fma_f64 v[30:31], v[30:31], v[32:33], v[44:45]
	v_fma_f64 v[44:45], v[20:21], v[24:25], -v[26:27]
	ds_read_b128 v[12:15], v3 offset:2304
	ds_read_b128 v[16:19], v2 offset:6400
	v_mul_f64 v[10:11], v[6:7], v[10:11]
	v_add_f64 v[36:37], v[36:37], v[42:43]
	v_fma_f64 v[6:7], v[6:7], v[8:9], v[40:41]
	v_add_f64 v[38:39], v[38:39], v[22:23]
	s_waitcnt lgkmcnt(0)
	v_mul_f64 v[42:43], v[12:13], v[18:19]
	v_fma_f64 v[40:41], v[28:29], v[32:33], -v[34:35]
	ds_read_b128 v[20:23], v3 offset:2560
	ds_read_b128 v[24:27], v2 offset:6656
	v_mul_f64 v[18:19], v[14:15], v[18:19]
	v_add_f64 v[36:37], v[36:37], v[44:45]
	v_add_f64 v[38:39], v[38:39], v[30:31]
	s_waitcnt lgkmcnt(0)
	v_mul_f64 v[44:45], v[20:21], v[26:27]
	v_fma_f64 v[14:15], v[14:15], v[16:17], v[42:43]
	v_fma_f64 v[42:43], v[4:5], v[8:9], -v[10:11]
	ds_read_b128 v[28:31], v3 offset:2816
	ds_read_b128 v[32:35], v2 offset:6912
	v_add_f64 v[36:37], v[36:37], v[40:41]
	v_mul_f64 v[26:27], v[22:23], v[26:27]
	v_add_f64 v[38:39], v[38:39], v[6:7]
	v_fma_f64 v[22:23], v[22:23], v[24:25], v[44:45]
	s_waitcnt lgkmcnt(0)
	v_mul_f64 v[40:41], v[28:29], v[34:35]
	v_fma_f64 v[44:45], v[12:13], v[16:17], -v[18:19]
	ds_read_b128 v[4:7], v3 offset:3072
	ds_read_b128 v[8:11], v2 offset:7168
	v_add_f64 v[36:37], v[36:37], v[42:43]
	v_mul_f64 v[34:35], v[30:31], v[34:35]
	v_add_f64 v[38:39], v[38:39], v[14:15]
	ds_read_b128 v[12:15], v3 offset:3328
	ds_read_b128 v[16:19], v2 offset:7424
	s_waitcnt lgkmcnt(2)
	v_mul_f64 v[42:43], v[4:5], v[10:11]
	v_fma_f64 v[30:31], v[30:31], v[32:33], v[40:41]
	v_fma_f64 v[40:41], v[20:21], v[24:25], -v[26:27]
	v_add_f64 v[36:37], v[36:37], v[44:45]
	v_mul_f64 v[10:11], v[6:7], v[10:11]
	s_waitcnt lgkmcnt(0)
	v_mul_f64 v[44:45], v[12:13], v[18:19]
	v_add_f64 v[38:39], v[38:39], v[22:23]
	ds_read_b128 v[20:23], v3 offset:3584
	ds_read_b128 v[24:27], v2 offset:7680
	v_fma_f64 v[6:7], v[6:7], v[8:9], v[42:43]
	v_fma_f64 v[42:43], v[28:29], v[32:33], -v[34:35]
	v_mul_f64 v[18:19], v[14:15], v[18:19]
	v_add_f64 v[36:37], v[36:37], v[40:41]
	s_waitcnt lgkmcnt(0)
	v_mul_f64 v[40:41], v[20:21], v[26:27]
	v_add_f64 v[38:39], v[38:39], v[30:31]
	ds_read_b128 v[28:31], v3 offset:3840
	ds_read_b128 v[32:35], v2 offset:7936
	v_fma_f64 v[14:15], v[14:15], v[16:17], v[44:45]
	v_fma_f64 v[3:4], v[4:5], v[8:9], -v[10:11]
	v_mul_f64 v[26:27], v[22:23], v[26:27]
	v_add_f64 v[8:9], v[36:37], v[42:43]
	v_fma_f64 v[12:13], v[12:13], v[16:17], -v[18:19]
	s_waitcnt lgkmcnt(0)
	v_mul_f64 v[10:11], v[28:29], v[34:35]
	v_add_f64 v[5:6], v[38:39], v[6:7]
	v_fma_f64 v[22:23], v[22:23], v[24:25], v[40:41]
	v_add_f64 v[3:4], v[8:9], v[3:4]
	v_mul_f64 v[7:8], v[30:31], v[34:35]
	v_fma_f64 v[9:10], v[30:31], v[32:33], v[10:11]
	v_add_f64 v[5:6], v[5:6], v[14:15]
	v_fma_f64 v[14:15], v[20:21], v[24:25], -v[26:27]
	v_add_f64 v[3:4], v[3:4], v[12:13]
	v_fma_f64 v[7:8], v[28:29], v[32:33], -v[7:8]
	v_add_f64 v[5:6], v[5:6], v[22:23]
	v_add_f64 v[3:4], v[3:4], v[14:15]
	;; [unrolled: 1-line block ×3, first 2 shown]
	v_mad_u64_u32 v[9:10], null, s2, v1, 0
	s_add_u32 s2, s18, s0
	v_add_f64 v[3:4], v[3:4], v[7:8]
	v_mov_b32_e32 v0, v10
	v_mad_u64_u32 v[0:1], null, s3, v1, v[0:1]
	s_addc_u32 s3, s19, s1
	s_lshl_b64 s[0:1], s[6:7], 4
	s_add_u32 s0, s2, s0
	s_addc_u32 s1, s3, s1
	v_mov_b32_e32 v10, v0
	v_mul_f64 v[7:8], s[8:9], v[5:6]
	v_mul_f64 v[11:12], s[10:11], v[5:6]
	v_lshlrev_b64 v[0:1], 4, v[9:10]
	v_add_co_u32 v0, vcc_lo, s0, v0
	v_add_co_ci_u32_e64 v1, null, s1, v1, vcc_lo
	v_add_co_u32 v0, vcc_lo, v0, v2
	v_add_co_ci_u32_e64 v1, null, 0, v1, vcc_lo
	v_fma_f64 v[5:6], s[10:11], v[3:4], v[7:8]
	v_fma_f64 v[3:4], s[8:9], v[3:4], -v[11:12]
	flat_store_dwordx4 v[0:1], v[3:6]
.LBB188_15:
	s_endpgm
	.section	.rodata,"a",@progbits
	.p2align	6, 0x0
	.amdhsa_kernel _ZL23rocblas_trmm_rTx_kernelILi16ELb0E19rocblas_complex_numIdEPKS1_KS3_KPS1_Ev13rocblas_fill_17rocblas_diagonal_iiT2_lPT3_llSB_llPT4_lli
		.amdhsa_group_segment_fixed_size 8192
		.amdhsa_private_segment_fixed_size 0
		.amdhsa_kernarg_size 108
		.amdhsa_user_sgpr_count 6
		.amdhsa_user_sgpr_private_segment_buffer 1
		.amdhsa_user_sgpr_dispatch_ptr 0
		.amdhsa_user_sgpr_queue_ptr 0
		.amdhsa_user_sgpr_kernarg_segment_ptr 1
		.amdhsa_user_sgpr_dispatch_id 0
		.amdhsa_user_sgpr_flat_scratch_init 0
		.amdhsa_user_sgpr_private_segment_size 0
		.amdhsa_wavefront_size32 1
		.amdhsa_uses_dynamic_stack 0
		.amdhsa_system_sgpr_private_segment_wavefront_offset 0
		.amdhsa_system_sgpr_workgroup_id_x 1
		.amdhsa_system_sgpr_workgroup_id_y 0
		.amdhsa_system_sgpr_workgroup_id_z 1
		.amdhsa_system_sgpr_workgroup_info 0
		.amdhsa_system_vgpr_workitem_id 1
		.amdhsa_next_free_vgpr 46
		.amdhsa_next_free_sgpr 38
		.amdhsa_reserve_vcc 1
		.amdhsa_reserve_flat_scratch 0
		.amdhsa_float_round_mode_32 0
		.amdhsa_float_round_mode_16_64 0
		.amdhsa_float_denorm_mode_32 3
		.amdhsa_float_denorm_mode_16_64 3
		.amdhsa_dx10_clamp 1
		.amdhsa_ieee_mode 1
		.amdhsa_fp16_overflow 0
		.amdhsa_workgroup_processor_mode 1
		.amdhsa_memory_ordered 1
		.amdhsa_forward_progress 1
		.amdhsa_shared_vgpr_count 0
		.amdhsa_exception_fp_ieee_invalid_op 0
		.amdhsa_exception_fp_denorm_src 0
		.amdhsa_exception_fp_ieee_div_zero 0
		.amdhsa_exception_fp_ieee_overflow 0
		.amdhsa_exception_fp_ieee_underflow 0
		.amdhsa_exception_fp_ieee_inexact 0
		.amdhsa_exception_int_div_zero 0
	.end_amdhsa_kernel
	.section	.text._ZL23rocblas_trmm_rTx_kernelILi16ELb0E19rocblas_complex_numIdEPKS1_KS3_KPS1_Ev13rocblas_fill_17rocblas_diagonal_iiT2_lPT3_llSB_llPT4_lli,"axG",@progbits,_ZL23rocblas_trmm_rTx_kernelILi16ELb0E19rocblas_complex_numIdEPKS1_KS3_KPS1_Ev13rocblas_fill_17rocblas_diagonal_iiT2_lPT3_llSB_llPT4_lli,comdat
.Lfunc_end188:
	.size	_ZL23rocblas_trmm_rTx_kernelILi16ELb0E19rocblas_complex_numIdEPKS1_KS3_KPS1_Ev13rocblas_fill_17rocblas_diagonal_iiT2_lPT3_llSB_llPT4_lli, .Lfunc_end188-_ZL23rocblas_trmm_rTx_kernelILi16ELb0E19rocblas_complex_numIdEPKS1_KS3_KPS1_Ev13rocblas_fill_17rocblas_diagonal_iiT2_lPT3_llSB_llPT4_lli
                                        ; -- End function
	.set _ZL23rocblas_trmm_rTx_kernelILi16ELb0E19rocblas_complex_numIdEPKS1_KS3_KPS1_Ev13rocblas_fill_17rocblas_diagonal_iiT2_lPT3_llSB_llPT4_lli.num_vgpr, 46
	.set _ZL23rocblas_trmm_rTx_kernelILi16ELb0E19rocblas_complex_numIdEPKS1_KS3_KPS1_Ev13rocblas_fill_17rocblas_diagonal_iiT2_lPT3_llSB_llPT4_lli.num_agpr, 0
	.set _ZL23rocblas_trmm_rTx_kernelILi16ELb0E19rocblas_complex_numIdEPKS1_KS3_KPS1_Ev13rocblas_fill_17rocblas_diagonal_iiT2_lPT3_llSB_llPT4_lli.numbered_sgpr, 38
	.set _ZL23rocblas_trmm_rTx_kernelILi16ELb0E19rocblas_complex_numIdEPKS1_KS3_KPS1_Ev13rocblas_fill_17rocblas_diagonal_iiT2_lPT3_llSB_llPT4_lli.num_named_barrier, 0
	.set _ZL23rocblas_trmm_rTx_kernelILi16ELb0E19rocblas_complex_numIdEPKS1_KS3_KPS1_Ev13rocblas_fill_17rocblas_diagonal_iiT2_lPT3_llSB_llPT4_lli.private_seg_size, 0
	.set _ZL23rocblas_trmm_rTx_kernelILi16ELb0E19rocblas_complex_numIdEPKS1_KS3_KPS1_Ev13rocblas_fill_17rocblas_diagonal_iiT2_lPT3_llSB_llPT4_lli.uses_vcc, 1
	.set _ZL23rocblas_trmm_rTx_kernelILi16ELb0E19rocblas_complex_numIdEPKS1_KS3_KPS1_Ev13rocblas_fill_17rocblas_diagonal_iiT2_lPT3_llSB_llPT4_lli.uses_flat_scratch, 0
	.set _ZL23rocblas_trmm_rTx_kernelILi16ELb0E19rocblas_complex_numIdEPKS1_KS3_KPS1_Ev13rocblas_fill_17rocblas_diagonal_iiT2_lPT3_llSB_llPT4_lli.has_dyn_sized_stack, 0
	.set _ZL23rocblas_trmm_rTx_kernelILi16ELb0E19rocblas_complex_numIdEPKS1_KS3_KPS1_Ev13rocblas_fill_17rocblas_diagonal_iiT2_lPT3_llSB_llPT4_lli.has_recursion, 0
	.set _ZL23rocblas_trmm_rTx_kernelILi16ELb0E19rocblas_complex_numIdEPKS1_KS3_KPS1_Ev13rocblas_fill_17rocblas_diagonal_iiT2_lPT3_llSB_llPT4_lli.has_indirect_call, 0
	.section	.AMDGPU.csdata,"",@progbits
; Kernel info:
; codeLenInByte = 1904
; TotalNumSgprs: 40
; NumVgprs: 46
; ScratchSize: 0
; MemoryBound: 0
; FloatMode: 240
; IeeeMode: 1
; LDSByteSize: 8192 bytes/workgroup (compile time only)
; SGPRBlocks: 0
; VGPRBlocks: 5
; NumSGPRsForWavesPerEU: 40
; NumVGPRsForWavesPerEU: 46
; Occupancy: 16
; WaveLimiterHint : 1
; COMPUTE_PGM_RSRC2:SCRATCH_EN: 0
; COMPUTE_PGM_RSRC2:USER_SGPR: 6
; COMPUTE_PGM_RSRC2:TRAP_HANDLER: 0
; COMPUTE_PGM_RSRC2:TGID_X_EN: 1
; COMPUTE_PGM_RSRC2:TGID_Y_EN: 0
; COMPUTE_PGM_RSRC2:TGID_Z_EN: 1
; COMPUTE_PGM_RSRC2:TIDIG_COMP_CNT: 1
	.section	.text._ZL23rocblas_trmm_rTx_kernelILi16ELb0E19rocblas_complex_numIdES1_KPKS1_KPS1_Ev13rocblas_fill_17rocblas_diagonal_iiT2_lPT3_llSB_llPT4_lli,"axG",@progbits,_ZL23rocblas_trmm_rTx_kernelILi16ELb0E19rocblas_complex_numIdES1_KPKS1_KPS1_Ev13rocblas_fill_17rocblas_diagonal_iiT2_lPT3_llSB_llPT4_lli,comdat
	.globl	_ZL23rocblas_trmm_rTx_kernelILi16ELb0E19rocblas_complex_numIdES1_KPKS1_KPS1_Ev13rocblas_fill_17rocblas_diagonal_iiT2_lPT3_llSB_llPT4_lli ; -- Begin function _ZL23rocblas_trmm_rTx_kernelILi16ELb0E19rocblas_complex_numIdES1_KPKS1_KPS1_Ev13rocblas_fill_17rocblas_diagonal_iiT2_lPT3_llSB_llPT4_lli
	.p2align	8
	.type	_ZL23rocblas_trmm_rTx_kernelILi16ELb0E19rocblas_complex_numIdES1_KPKS1_KPS1_Ev13rocblas_fill_17rocblas_diagonal_iiT2_lPT3_llSB_llPT4_lli,@function
_ZL23rocblas_trmm_rTx_kernelILi16ELb0E19rocblas_complex_numIdES1_KPKS1_KPS1_Ev13rocblas_fill_17rocblas_diagonal_iiT2_lPT3_llSB_llPT4_lli: ; @_ZL23rocblas_trmm_rTx_kernelILi16ELb0E19rocblas_complex_numIdES1_KPKS1_KPS1_Ev13rocblas_fill_17rocblas_diagonal_iiT2_lPT3_llSB_llPT4_lli
; %bb.0:
	s_load_dwordx4 s[24:27], s[4:5], 0x10
	s_waitcnt lgkmcnt(0)
	v_cmp_neq_f64_e64 s1, s[24:25], 0
	v_cmp_neq_f64_e64 s2, s[26:27], 0
	s_or_b32 s1, s1, s2
	s_andn2_b32 vcc_lo, exec_lo, s1
	s_cbranch_vccnz .LBB189_15
; %bb.1:
	s_load_dwordx16 s[8:23], s[4:5], 0x28
	s_mov_b32 s0, s7
	s_mov_b32 s1, 0
	s_load_dwordx4 s[28:31], s[4:5], 0x0
	s_lshl_b64 s[34:35], s[0:1], 3
	v_lshlrev_b32_e32 v3, 4, v1
	s_mov_b32 s0, s1
	v_lshlrev_b32_e32 v2, 4, v0
	v_add_lshl_u32 v4, v3, v0, 4
	s_waitcnt lgkmcnt(0)
	s_add_u32 s2, s14, s34
	s_addc_u32 s3, s15, s35
	s_add_u32 s14, s20, s34
	s_addc_u32 s15, s21, s35
	s_load_dwordx2 s[20:21], s[2:3], 0x0
	s_load_dwordx2 s[14:15], s[14:15], 0x0
	s_mov_b32 s3, s1
	s_mov_b32 s2, s1
	v_mov_b32_e32 v8, s3
	v_mov_b32_e32 v7, s2
	;; [unrolled: 1-line block ×4, first 2 shown]
	v_cmp_gt_i32_e32 vcc_lo, s31, v1
	v_cmp_gt_i32_e64 s0, s31, v0
	ds_write_b128 v4, v[5:8]
	ds_write_b128 v4, v[5:8] offset:4096
	s_and_b32 s0, vcc_lo, s0
	s_and_saveexec_b32 s1, s0
	s_cbranch_execz .LBB189_3
; %bb.2:
	s_add_u32 s2, s8, s34
	s_addc_u32 s3, s9, s35
	v_mad_u64_u32 v[5:6], null, s10, v1, 0
	s_load_dwordx2 s[2:3], s[2:3], 0x0
	s_lshl_b64 s[8:9], s[12:13], 4
	v_mad_u64_u32 v[6:7], null, s11, v1, v[6:7]
	v_lshlrev_b64 v[5:6], 4, v[5:6]
	s_waitcnt lgkmcnt(0)
	s_add_u32 s0, s2, s8
	s_addc_u32 s2, s3, s9
	v_add_co_u32 v5, s0, s0, v5
	v_add_co_ci_u32_e64 v6, null, s2, v6, s0
	v_add_co_u32 v5, s0, v5, v2
	v_add_co_ci_u32_e64 v6, null, 0, v6, s0
	flat_load_dwordx4 v[5:8], v[5:6]
	s_waitcnt vmcnt(0) lgkmcnt(0)
	ds_write2_b64 v4, v[5:6], v[7:8] offset1:1
.LBB189_3:
	s_or_b32 exec_lo, exec_lo, s1
	s_add_i32 s0, s30, -1
	s_ashr_i32 s1, s0, 31
	s_lshr_b32 s1, s1, 28
	s_add_i32 s0, s0, s1
	s_and_b32 s1, s0, -16
	s_ashr_i32 s0, s0, 4
	s_sub_i32 s1, s30, s1
	s_cmp_ge_i32 s6, s0
	s_cselect_b32 s0, s1, 16
	s_lshl_b32 s2, s6, 4
	v_cmp_gt_i32_e64 s0, s0, v0
	s_ashr_i32 s3, s2, 31
	s_and_b32 s0, vcc_lo, s0
	s_and_saveexec_b32 s1, s0
	s_cbranch_execz .LBB189_5
; %bb.4:
	v_mad_u64_u32 v[5:6], null, s16, v1, 0
	s_lshl_b64 s[6:7], s[18:19], 4
	v_add_nc_u32_e32 v9, 0x1000, v4
	s_waitcnt lgkmcnt(0)
	s_add_u32 s8, s20, s6
	s_addc_u32 s9, s21, s7
	s_lshl_b64 s[6:7], s[2:3], 4
	s_add_u32 s6, s8, s6
	v_mad_u64_u32 v[6:7], null, s17, v1, v[6:7]
	s_addc_u32 s7, s9, s7
	v_lshlrev_b64 v[5:6], 4, v[5:6]
	v_add_co_u32 v5, vcc_lo, s6, v5
	v_add_co_ci_u32_e64 v6, null, s7, v6, vcc_lo
	v_add_co_u32 v5, vcc_lo, v5, v2
	v_add_co_ci_u32_e64 v6, null, 0, v6, vcc_lo
	flat_load_dwordx4 v[5:8], v[5:6]
	s_waitcnt vmcnt(0) lgkmcnt(0)
	ds_write2_b64 v9, v[5:6], v[7:8] offset1:1
.LBB189_5:
	s_or_b32 exec_lo, exec_lo, s1
	v_cmp_eq_u32_e32 vcc_lo, v1, v0
	s_cmpk_eq_i32 s29, 0x84
	s_cselect_b32 s1, -1, 0
	s_and_b32 s6, vcc_lo, s1
	s_and_saveexec_b32 s1, s6
	s_cbranch_execz .LBB189_7
; %bb.6:
	v_mov_b32_e32 v5, 0
	v_mov_b32_e32 v6, 0x3ff00000
	;; [unrolled: 1-line block ×4, first 2 shown]
	ds_write_b128 v4, v[5:8]
.LBB189_7:
	s_or_b32 exec_lo, exec_lo, s1
	s_cmpk_lg_i32 s28, 0x79
	s_cbranch_scc0 .LBB189_9
; %bb.8:
	v_cmp_lt_u32_e32 vcc_lo, v0, v1
	s_and_b32 s1, vcc_lo, exec_lo
	s_cbranch_execz .LBB189_10
	s_branch .LBB189_11
.LBB189_9:
	s_mov_b32 s1, 0
.LBB189_10:
	v_cmp_gt_u32_e32 vcc_lo, v0, v1
	s_andn2_b32 s1, s1, exec_lo
	s_and_b32 s6, vcc_lo, exec_lo
	s_or_b32 s1, s1, s6
.LBB189_11:
	s_and_saveexec_b32 s6, s1
	s_cbranch_execz .LBB189_13
; %bb.12:
	v_mov_b32_e32 v5, 0
	v_mov_b32_e32 v6, v5
	;; [unrolled: 1-line block ×4, first 2 shown]
	ds_write_b128 v4, v[5:8]
.LBB189_13:
	s_or_b32 exec_lo, exec_lo, s6
	s_waitcnt lgkmcnt(0)
	s_barrier
	buffer_gl0_inv
	s_and_saveexec_b32 s1, s0
	s_cbranch_execz .LBB189_15
; %bb.14:
	ds_read_b128 v[4:7], v2 offset:4096
	ds_read_b128 v[8:11], v3
	ds_read_b128 v[12:15], v3 offset:256
	ds_read_b128 v[16:19], v2 offset:4352
	ds_read_b128 v[20:23], v3 offset:512
	ds_read_b128 v[24:27], v2 offset:4608
	s_load_dwordx2 s[0:1], s[4:5], 0x68
	s_waitcnt lgkmcnt(0)
	v_mul_f64 v[28:29], v[8:9], v[6:7]
	v_mul_f64 v[6:7], v[10:11], v[6:7]
	v_mul_f64 v[36:37], v[12:13], v[18:19]
	v_mul_f64 v[38:39], v[20:21], v[26:27]
	v_mul_f64 v[18:19], v[14:15], v[18:19]
	v_mul_f64 v[26:27], v[22:23], v[26:27]
	s_lshl_b64 s[0:1], s[0:1], 4
	s_add_u32 s4, s14, s0
	s_addc_u32 s5, s15, s1
	s_lshl_b64 s[0:1], s[2:3], 4
	s_add_u32 s0, s4, s0
	s_addc_u32 s1, s5, s1
	v_fma_f64 v[10:11], v[10:11], v[4:5], v[28:29]
	ds_read_b128 v[28:31], v3 offset:768
	ds_read_b128 v[32:35], v2 offset:4864
	v_fma_f64 v[14:15], v[14:15], v[16:17], v[36:37]
	v_fma_f64 v[36:37], v[8:9], v[4:5], -v[6:7]
	v_fma_f64 v[22:23], v[22:23], v[24:25], v[38:39]
	v_fma_f64 v[38:39], v[12:13], v[16:17], -v[18:19]
	s_waitcnt lgkmcnt(0)
	v_mul_f64 v[42:43], v[28:29], v[34:35]
	v_add_f64 v[40:41], v[10:11], 0
	ds_read_b128 v[4:7], v3 offset:1024
	ds_read_b128 v[8:11], v2 offset:5120
	v_mul_f64 v[34:35], v[30:31], v[34:35]
	v_add_f64 v[36:37], v[36:37], 0
	s_waitcnt lgkmcnt(0)
	v_mul_f64 v[44:45], v[4:5], v[10:11]
	v_add_f64 v[40:41], v[40:41], v[14:15]
	v_fma_f64 v[30:31], v[30:31], v[32:33], v[42:43]
	v_fma_f64 v[42:43], v[20:21], v[24:25], -v[26:27]
	v_add_f64 v[36:37], v[36:37], v[38:39]
	ds_read_b128 v[12:15], v3 offset:1280
	ds_read_b128 v[16:19], v2 offset:5376
	v_mul_f64 v[10:11], v[6:7], v[10:11]
	v_fma_f64 v[6:7], v[6:7], v[8:9], v[44:45]
	v_add_f64 v[38:39], v[40:41], v[22:23]
	v_fma_f64 v[44:45], v[28:29], v[32:33], -v[34:35]
	s_waitcnt lgkmcnt(0)
	v_mul_f64 v[40:41], v[12:13], v[18:19]
	v_add_f64 v[36:37], v[36:37], v[42:43]
	ds_read_b128 v[20:23], v3 offset:1536
	ds_read_b128 v[24:27], v2 offset:5632
	v_mul_f64 v[18:19], v[14:15], v[18:19]
	v_add_f64 v[38:39], v[38:39], v[30:31]
	ds_read_b128 v[28:31], v3 offset:1792
	ds_read_b128 v[32:35], v2 offset:5888
	s_waitcnt lgkmcnt(2)
	v_mul_f64 v[42:43], v[20:21], v[26:27]
	v_fma_f64 v[14:15], v[14:15], v[16:17], v[40:41]
	v_fma_f64 v[40:41], v[4:5], v[8:9], -v[10:11]
	v_add_f64 v[36:37], v[36:37], v[44:45]
	v_mul_f64 v[26:27], v[22:23], v[26:27]
	s_waitcnt lgkmcnt(0)
	v_mul_f64 v[44:45], v[28:29], v[34:35]
	v_add_f64 v[38:39], v[38:39], v[6:7]
	ds_read_b128 v[4:7], v3 offset:2048
	ds_read_b128 v[8:11], v2 offset:6144
	v_fma_f64 v[22:23], v[22:23], v[24:25], v[42:43]
	v_fma_f64 v[42:43], v[12:13], v[16:17], -v[18:19]
	v_mul_f64 v[34:35], v[30:31], v[34:35]
	v_add_f64 v[36:37], v[36:37], v[40:41]
	s_waitcnt lgkmcnt(0)
	v_mul_f64 v[40:41], v[4:5], v[10:11]
	v_add_f64 v[38:39], v[38:39], v[14:15]
	v_fma_f64 v[30:31], v[30:31], v[32:33], v[44:45]
	v_fma_f64 v[44:45], v[20:21], v[24:25], -v[26:27]
	ds_read_b128 v[12:15], v3 offset:2304
	ds_read_b128 v[16:19], v2 offset:6400
	v_mul_f64 v[10:11], v[6:7], v[10:11]
	v_add_f64 v[36:37], v[36:37], v[42:43]
	v_fma_f64 v[6:7], v[6:7], v[8:9], v[40:41]
	v_add_f64 v[38:39], v[38:39], v[22:23]
	s_waitcnt lgkmcnt(0)
	v_mul_f64 v[42:43], v[12:13], v[18:19]
	v_fma_f64 v[40:41], v[28:29], v[32:33], -v[34:35]
	ds_read_b128 v[20:23], v3 offset:2560
	ds_read_b128 v[24:27], v2 offset:6656
	v_mul_f64 v[18:19], v[14:15], v[18:19]
	v_add_f64 v[36:37], v[36:37], v[44:45]
	v_add_f64 v[38:39], v[38:39], v[30:31]
	s_waitcnt lgkmcnt(0)
	v_mul_f64 v[44:45], v[20:21], v[26:27]
	v_fma_f64 v[14:15], v[14:15], v[16:17], v[42:43]
	v_fma_f64 v[42:43], v[4:5], v[8:9], -v[10:11]
	ds_read_b128 v[28:31], v3 offset:2816
	ds_read_b128 v[32:35], v2 offset:6912
	v_add_f64 v[36:37], v[36:37], v[40:41]
	v_mul_f64 v[26:27], v[22:23], v[26:27]
	v_add_f64 v[38:39], v[38:39], v[6:7]
	v_fma_f64 v[22:23], v[22:23], v[24:25], v[44:45]
	s_waitcnt lgkmcnt(0)
	v_mul_f64 v[40:41], v[28:29], v[34:35]
	v_fma_f64 v[44:45], v[12:13], v[16:17], -v[18:19]
	ds_read_b128 v[4:7], v3 offset:3072
	ds_read_b128 v[8:11], v2 offset:7168
	v_add_f64 v[36:37], v[36:37], v[42:43]
	v_mul_f64 v[34:35], v[30:31], v[34:35]
	v_add_f64 v[38:39], v[38:39], v[14:15]
	ds_read_b128 v[12:15], v3 offset:3328
	ds_read_b128 v[16:19], v2 offset:7424
	s_waitcnt lgkmcnt(2)
	v_mul_f64 v[42:43], v[4:5], v[10:11]
	v_fma_f64 v[30:31], v[30:31], v[32:33], v[40:41]
	v_fma_f64 v[40:41], v[20:21], v[24:25], -v[26:27]
	v_add_f64 v[36:37], v[36:37], v[44:45]
	v_mul_f64 v[10:11], v[6:7], v[10:11]
	s_waitcnt lgkmcnt(0)
	v_mul_f64 v[44:45], v[12:13], v[18:19]
	v_add_f64 v[38:39], v[38:39], v[22:23]
	ds_read_b128 v[20:23], v3 offset:3584
	ds_read_b128 v[24:27], v2 offset:7680
	v_fma_f64 v[6:7], v[6:7], v[8:9], v[42:43]
	v_fma_f64 v[42:43], v[28:29], v[32:33], -v[34:35]
	v_mul_f64 v[18:19], v[14:15], v[18:19]
	v_add_f64 v[36:37], v[36:37], v[40:41]
	s_waitcnt lgkmcnt(0)
	v_mul_f64 v[40:41], v[20:21], v[26:27]
	v_add_f64 v[38:39], v[38:39], v[30:31]
	ds_read_b128 v[28:31], v3 offset:3840
	ds_read_b128 v[32:35], v2 offset:7936
	v_fma_f64 v[14:15], v[14:15], v[16:17], v[44:45]
	v_fma_f64 v[3:4], v[4:5], v[8:9], -v[10:11]
	v_mul_f64 v[26:27], v[22:23], v[26:27]
	v_add_f64 v[8:9], v[36:37], v[42:43]
	v_fma_f64 v[12:13], v[12:13], v[16:17], -v[18:19]
	s_waitcnt lgkmcnt(0)
	v_mul_f64 v[10:11], v[28:29], v[34:35]
	v_add_f64 v[5:6], v[38:39], v[6:7]
	v_fma_f64 v[22:23], v[22:23], v[24:25], v[40:41]
	v_add_f64 v[3:4], v[8:9], v[3:4]
	v_mul_f64 v[7:8], v[30:31], v[34:35]
	v_fma_f64 v[9:10], v[30:31], v[32:33], v[10:11]
	v_add_f64 v[5:6], v[5:6], v[14:15]
	v_fma_f64 v[14:15], v[20:21], v[24:25], -v[26:27]
	v_add_f64 v[3:4], v[3:4], v[12:13]
	v_fma_f64 v[7:8], v[28:29], v[32:33], -v[7:8]
	v_add_f64 v[5:6], v[5:6], v[22:23]
	v_add_f64 v[3:4], v[3:4], v[14:15]
	v_add_f64 v[5:6], v[5:6], v[9:10]
	v_mad_u64_u32 v[9:10], null, s22, v1, 0
	v_add_f64 v[3:4], v[3:4], v[7:8]
	v_mov_b32_e32 v0, v10
	v_mad_u64_u32 v[0:1], null, s23, v1, v[0:1]
	v_mov_b32_e32 v10, v0
	v_mul_f64 v[7:8], s[24:25], v[5:6]
	v_mul_f64 v[11:12], s[26:27], v[5:6]
	v_lshlrev_b64 v[0:1], 4, v[9:10]
	v_add_co_u32 v0, vcc_lo, s0, v0
	v_add_co_ci_u32_e64 v1, null, s1, v1, vcc_lo
	v_add_co_u32 v0, vcc_lo, v0, v2
	v_add_co_ci_u32_e64 v1, null, 0, v1, vcc_lo
	v_fma_f64 v[5:6], s[26:27], v[3:4], v[7:8]
	v_fma_f64 v[3:4], s[24:25], v[3:4], -v[11:12]
	flat_store_dwordx4 v[0:1], v[3:6]
.LBB189_15:
	s_endpgm
	.section	.rodata,"a",@progbits
	.p2align	6, 0x0
	.amdhsa_kernel _ZL23rocblas_trmm_rTx_kernelILi16ELb0E19rocblas_complex_numIdES1_KPKS1_KPS1_Ev13rocblas_fill_17rocblas_diagonal_iiT2_lPT3_llSB_llPT4_lli
		.amdhsa_group_segment_fixed_size 8192
		.amdhsa_private_segment_fixed_size 0
		.amdhsa_kernarg_size 116
		.amdhsa_user_sgpr_count 6
		.amdhsa_user_sgpr_private_segment_buffer 1
		.amdhsa_user_sgpr_dispatch_ptr 0
		.amdhsa_user_sgpr_queue_ptr 0
		.amdhsa_user_sgpr_kernarg_segment_ptr 1
		.amdhsa_user_sgpr_dispatch_id 0
		.amdhsa_user_sgpr_flat_scratch_init 0
		.amdhsa_user_sgpr_private_segment_size 0
		.amdhsa_wavefront_size32 1
		.amdhsa_uses_dynamic_stack 0
		.amdhsa_system_sgpr_private_segment_wavefront_offset 0
		.amdhsa_system_sgpr_workgroup_id_x 1
		.amdhsa_system_sgpr_workgroup_id_y 0
		.amdhsa_system_sgpr_workgroup_id_z 1
		.amdhsa_system_sgpr_workgroup_info 0
		.amdhsa_system_vgpr_workitem_id 1
		.amdhsa_next_free_vgpr 46
		.amdhsa_next_free_sgpr 36
		.amdhsa_reserve_vcc 1
		.amdhsa_reserve_flat_scratch 0
		.amdhsa_float_round_mode_32 0
		.amdhsa_float_round_mode_16_64 0
		.amdhsa_float_denorm_mode_32 3
		.amdhsa_float_denorm_mode_16_64 3
		.amdhsa_dx10_clamp 1
		.amdhsa_ieee_mode 1
		.amdhsa_fp16_overflow 0
		.amdhsa_workgroup_processor_mode 1
		.amdhsa_memory_ordered 1
		.amdhsa_forward_progress 1
		.amdhsa_shared_vgpr_count 0
		.amdhsa_exception_fp_ieee_invalid_op 0
		.amdhsa_exception_fp_denorm_src 0
		.amdhsa_exception_fp_ieee_div_zero 0
		.amdhsa_exception_fp_ieee_overflow 0
		.amdhsa_exception_fp_ieee_underflow 0
		.amdhsa_exception_fp_ieee_inexact 0
		.amdhsa_exception_int_div_zero 0
	.end_amdhsa_kernel
	.section	.text._ZL23rocblas_trmm_rTx_kernelILi16ELb0E19rocblas_complex_numIdES1_KPKS1_KPS1_Ev13rocblas_fill_17rocblas_diagonal_iiT2_lPT3_llSB_llPT4_lli,"axG",@progbits,_ZL23rocblas_trmm_rTx_kernelILi16ELb0E19rocblas_complex_numIdES1_KPKS1_KPS1_Ev13rocblas_fill_17rocblas_diagonal_iiT2_lPT3_llSB_llPT4_lli,comdat
.Lfunc_end189:
	.size	_ZL23rocblas_trmm_rTx_kernelILi16ELb0E19rocblas_complex_numIdES1_KPKS1_KPS1_Ev13rocblas_fill_17rocblas_diagonal_iiT2_lPT3_llSB_llPT4_lli, .Lfunc_end189-_ZL23rocblas_trmm_rTx_kernelILi16ELb0E19rocblas_complex_numIdES1_KPKS1_KPS1_Ev13rocblas_fill_17rocblas_diagonal_iiT2_lPT3_llSB_llPT4_lli
                                        ; -- End function
	.set _ZL23rocblas_trmm_rTx_kernelILi16ELb0E19rocblas_complex_numIdES1_KPKS1_KPS1_Ev13rocblas_fill_17rocblas_diagonal_iiT2_lPT3_llSB_llPT4_lli.num_vgpr, 46
	.set _ZL23rocblas_trmm_rTx_kernelILi16ELb0E19rocblas_complex_numIdES1_KPKS1_KPS1_Ev13rocblas_fill_17rocblas_diagonal_iiT2_lPT3_llSB_llPT4_lli.num_agpr, 0
	.set _ZL23rocblas_trmm_rTx_kernelILi16ELb0E19rocblas_complex_numIdES1_KPKS1_KPS1_Ev13rocblas_fill_17rocblas_diagonal_iiT2_lPT3_llSB_llPT4_lli.numbered_sgpr, 36
	.set _ZL23rocblas_trmm_rTx_kernelILi16ELb0E19rocblas_complex_numIdES1_KPKS1_KPS1_Ev13rocblas_fill_17rocblas_diagonal_iiT2_lPT3_llSB_llPT4_lli.num_named_barrier, 0
	.set _ZL23rocblas_trmm_rTx_kernelILi16ELb0E19rocblas_complex_numIdES1_KPKS1_KPS1_Ev13rocblas_fill_17rocblas_diagonal_iiT2_lPT3_llSB_llPT4_lli.private_seg_size, 0
	.set _ZL23rocblas_trmm_rTx_kernelILi16ELb0E19rocblas_complex_numIdES1_KPKS1_KPS1_Ev13rocblas_fill_17rocblas_diagonal_iiT2_lPT3_llSB_llPT4_lli.uses_vcc, 1
	.set _ZL23rocblas_trmm_rTx_kernelILi16ELb0E19rocblas_complex_numIdES1_KPKS1_KPS1_Ev13rocblas_fill_17rocblas_diagonal_iiT2_lPT3_llSB_llPT4_lli.uses_flat_scratch, 0
	.set _ZL23rocblas_trmm_rTx_kernelILi16ELb0E19rocblas_complex_numIdES1_KPKS1_KPS1_Ev13rocblas_fill_17rocblas_diagonal_iiT2_lPT3_llSB_llPT4_lli.has_dyn_sized_stack, 0
	.set _ZL23rocblas_trmm_rTx_kernelILi16ELb0E19rocblas_complex_numIdES1_KPKS1_KPS1_Ev13rocblas_fill_17rocblas_diagonal_iiT2_lPT3_llSB_llPT4_lli.has_recursion, 0
	.set _ZL23rocblas_trmm_rTx_kernelILi16ELb0E19rocblas_complex_numIdES1_KPKS1_KPS1_Ev13rocblas_fill_17rocblas_diagonal_iiT2_lPT3_llSB_llPT4_lli.has_indirect_call, 0
	.section	.AMDGPU.csdata,"",@progbits
; Kernel info:
; codeLenInByte = 1860
; TotalNumSgprs: 38
; NumVgprs: 46
; ScratchSize: 0
; MemoryBound: 0
; FloatMode: 240
; IeeeMode: 1
; LDSByteSize: 8192 bytes/workgroup (compile time only)
; SGPRBlocks: 0
; VGPRBlocks: 5
; NumSGPRsForWavesPerEU: 38
; NumVGPRsForWavesPerEU: 46
; Occupancy: 16
; WaveLimiterHint : 1
; COMPUTE_PGM_RSRC2:SCRATCH_EN: 0
; COMPUTE_PGM_RSRC2:USER_SGPR: 6
; COMPUTE_PGM_RSRC2:TRAP_HANDLER: 0
; COMPUTE_PGM_RSRC2:TGID_X_EN: 1
; COMPUTE_PGM_RSRC2:TGID_Y_EN: 0
; COMPUTE_PGM_RSRC2:TGID_Z_EN: 1
; COMPUTE_PGM_RSRC2:TIDIG_COMP_CNT: 1
	.section	.text._ZL23rocblas_trmm_rTx_kernelILi16ELb1E19rocblas_complex_numIdEPKS1_KS3_KPS1_Ev13rocblas_fill_17rocblas_diagonal_iiT2_lPT3_llSB_llPT4_lli,"axG",@progbits,_ZL23rocblas_trmm_rTx_kernelILi16ELb1E19rocblas_complex_numIdEPKS1_KS3_KPS1_Ev13rocblas_fill_17rocblas_diagonal_iiT2_lPT3_llSB_llPT4_lli,comdat
	.globl	_ZL23rocblas_trmm_rTx_kernelILi16ELb1E19rocblas_complex_numIdEPKS1_KS3_KPS1_Ev13rocblas_fill_17rocblas_diagonal_iiT2_lPT3_llSB_llPT4_lli ; -- Begin function _ZL23rocblas_trmm_rTx_kernelILi16ELb1E19rocblas_complex_numIdEPKS1_KS3_KPS1_Ev13rocblas_fill_17rocblas_diagonal_iiT2_lPT3_llSB_llPT4_lli
	.p2align	8
	.type	_ZL23rocblas_trmm_rTx_kernelILi16ELb1E19rocblas_complex_numIdEPKS1_KS3_KPS1_Ev13rocblas_fill_17rocblas_diagonal_iiT2_lPT3_llSB_llPT4_lli,@function
_ZL23rocblas_trmm_rTx_kernelILi16ELb1E19rocblas_complex_numIdEPKS1_KS3_KPS1_Ev13rocblas_fill_17rocblas_diagonal_iiT2_lPT3_llSB_llPT4_lli: ; @_ZL23rocblas_trmm_rTx_kernelILi16ELb1E19rocblas_complex_numIdEPKS1_KS3_KPS1_Ev13rocblas_fill_17rocblas_diagonal_iiT2_lPT3_llSB_llPT4_lli
; %bb.0:
	s_load_dwordx16 s[8:23], s[4:5], 0x10
	s_waitcnt lgkmcnt(0)
	s_mul_i32 s1, s11, s7
	s_mul_hi_u32 s2, s10, s7
	s_mul_i32 s0, s10, s7
	s_add_i32 s1, s2, s1
	s_lshl_b64 s[0:1], s[0:1], 4
	s_add_u32 s0, s8, s0
	s_addc_u32 s1, s9, s1
	s_load_dwordx4 s[8:11], s[0:1], 0x0
	s_waitcnt lgkmcnt(0)
	v_cmp_neq_f64_e64 s0, s[8:9], 0
	v_cmp_neq_f64_e64 s1, s[10:11], 0
	s_or_b32 s0, s0, s1
	s_andn2_b32 vcc_lo, exec_lo, s0
	s_cbranch_vccnz .LBB190_15
; %bb.1:
	s_clause 0x1
	s_load_dwordx4 s[0:3], s[4:5], 0x50
	s_load_dwordx4 s[24:27], s[4:5], 0x0
	s_mov_b32 s28, s7
	s_mov_b32 s29, 0
	v_lshlrev_b32_e32 v3, 4, v1
	s_lshl_b64 s[36:37], s[28:29], 3
	s_mov_b32 s28, s29
	s_add_u32 s18, s18, s36
	s_addc_u32 s19, s19, s37
	s_mov_b32 s30, s29
	s_mov_b32 s31, s29
	v_mov_b32_e32 v5, s28
	v_add_lshl_u32 v4, v3, v0, 4
	v_mov_b32_e32 v6, s29
	v_mov_b32_e32 v7, s30
	;; [unrolled: 1-line block ×3, first 2 shown]
	v_lshlrev_b32_e32 v2, 4, v0
	s_waitcnt lgkmcnt(0)
	s_add_u32 s0, s0, s36
	s_addc_u32 s1, s1, s37
	s_load_dwordx2 s[34:35], s[18:19], 0x0
	s_load_dwordx2 s[18:19], s[0:1], 0x0
	v_cmp_gt_i32_e32 vcc_lo, s27, v1
	v_cmp_gt_i32_e64 s0, s27, v0
	ds_write_b128 v4, v[5:8]
	ds_write_b128 v4, v[5:8] offset:4096
	s_and_b32 s0, vcc_lo, s0
	s_and_saveexec_b32 s1, s0
	s_cbranch_execz .LBB190_3
; %bb.2:
	s_add_u32 s12, s12, s36
	s_addc_u32 s13, s13, s37
	v_mad_u64_u32 v[5:6], null, s14, v1, 0
	s_load_dwordx2 s[12:13], s[12:13], 0x0
	v_mad_u64_u32 v[6:7], null, s15, v1, v[6:7]
	s_lshl_b64 s[14:15], s[16:17], 4
	v_lshlrev_b64 v[5:6], 4, v[5:6]
	s_waitcnt lgkmcnt(0)
	s_add_u32 s0, s12, s14
	s_addc_u32 s7, s13, s15
	v_add_co_u32 v5, s0, s0, v5
	v_add_co_ci_u32_e64 v6, null, s7, v6, s0
	v_add_co_u32 v5, s0, v5, v2
	v_add_co_ci_u32_e64 v6, null, 0, v6, s0
	flat_load_dwordx4 v[5:8], v[5:6]
	s_waitcnt vmcnt(0) lgkmcnt(0)
	v_xor_b32_e32 v8, 0x80000000, v8
	ds_write_b128 v4, v[5:8]
.LBB190_3:
	s_or_b32 exec_lo, exec_lo, s1
	s_add_i32 s0, s26, -1
	s_ashr_i32 s1, s0, 31
	s_lshr_b32 s1, s1, 28
	s_add_i32 s0, s0, s1
	s_and_b32 s1, s0, -16
	s_ashr_i32 s0, s0, 4
	s_sub_i32 s1, s26, s1
	s_cmp_ge_i32 s6, s0
	s_cselect_b32 s0, s1, 16
	s_lshl_b32 s6, s6, 4
	v_cmp_gt_i32_e64 s0, s0, v0
	s_ashr_i32 s7, s6, 31
	s_and_b32 s0, vcc_lo, s0
	s_and_saveexec_b32 s1, s0
	s_cbranch_execz .LBB190_5
; %bb.4:
	v_mad_u64_u32 v[5:6], null, s20, v1, 0
	s_lshl_b64 s[12:13], s[22:23], 4
	v_add_nc_u32_e32 v9, 0x1000, v4
	s_waitcnt lgkmcnt(0)
	s_add_u32 s14, s34, s12
	s_addc_u32 s15, s35, s13
	s_lshl_b64 s[12:13], s[6:7], 4
	s_add_u32 s12, s14, s12
	v_mad_u64_u32 v[6:7], null, s21, v1, v[6:7]
	s_addc_u32 s13, s15, s13
	v_lshlrev_b64 v[5:6], 4, v[5:6]
	v_add_co_u32 v5, vcc_lo, s12, v5
	v_add_co_ci_u32_e64 v6, null, s13, v6, vcc_lo
	v_add_co_u32 v5, vcc_lo, v5, v2
	v_add_co_ci_u32_e64 v6, null, 0, v6, vcc_lo
	flat_load_dwordx4 v[5:8], v[5:6]
	s_waitcnt vmcnt(0) lgkmcnt(0)
	ds_write2_b64 v9, v[5:6], v[7:8] offset1:1
.LBB190_5:
	s_or_b32 exec_lo, exec_lo, s1
	v_cmp_eq_u32_e32 vcc_lo, v1, v0
	s_cmpk_eq_i32 s25, 0x84
	s_cselect_b32 s1, -1, 0
	s_and_b32 s12, vcc_lo, s1
	s_and_saveexec_b32 s1, s12
	s_cbranch_execz .LBB190_7
; %bb.6:
	v_mov_b32_e32 v5, 0
	v_mov_b32_e32 v6, 0x3ff00000
	;; [unrolled: 1-line block ×4, first 2 shown]
	ds_write_b128 v4, v[5:8]
.LBB190_7:
	s_or_b32 exec_lo, exec_lo, s1
	s_cmpk_lg_i32 s24, 0x79
	s_cbranch_scc0 .LBB190_9
; %bb.8:
	v_cmp_lt_u32_e32 vcc_lo, v0, v1
	s_and_b32 s1, vcc_lo, exec_lo
	s_cbranch_execz .LBB190_10
	s_branch .LBB190_11
.LBB190_9:
	s_mov_b32 s1, 0
.LBB190_10:
	v_cmp_gt_u32_e32 vcc_lo, v0, v1
	s_andn2_b32 s1, s1, exec_lo
	s_and_b32 s12, vcc_lo, exec_lo
	s_or_b32 s1, s1, s12
.LBB190_11:
	s_and_saveexec_b32 s12, s1
	s_cbranch_execz .LBB190_13
; %bb.12:
	v_mov_b32_e32 v5, 0
	v_mov_b32_e32 v6, v5
	;; [unrolled: 1-line block ×4, first 2 shown]
	ds_write_b128 v4, v[5:8]
.LBB190_13:
	s_or_b32 exec_lo, exec_lo, s12
	s_waitcnt lgkmcnt(0)
	s_barrier
	buffer_gl0_inv
	s_and_saveexec_b32 s1, s0
	s_cbranch_execz .LBB190_15
; %bb.14:
	ds_read_b128 v[4:7], v2 offset:4096
	ds_read_b128 v[8:11], v3
	ds_read_b128 v[12:15], v3 offset:256
	ds_read_b128 v[16:19], v2 offset:4352
	;; [unrolled: 1-line block ×4, first 2 shown]
	s_load_dwordx2 s[0:1], s[4:5], 0x60
	s_waitcnt lgkmcnt(0)
	v_mul_f64 v[28:29], v[8:9], v[6:7]
	v_mul_f64 v[6:7], v[10:11], v[6:7]
	;; [unrolled: 1-line block ×6, first 2 shown]
	s_lshl_b64 s[0:1], s[0:1], 4
	v_fma_f64 v[10:11], v[10:11], v[4:5], v[28:29]
	ds_read_b128 v[28:31], v3 offset:768
	ds_read_b128 v[32:35], v2 offset:4864
	v_fma_f64 v[14:15], v[14:15], v[16:17], v[36:37]
	v_fma_f64 v[36:37], v[8:9], v[4:5], -v[6:7]
	v_fma_f64 v[22:23], v[22:23], v[24:25], v[38:39]
	v_fma_f64 v[38:39], v[12:13], v[16:17], -v[18:19]
	s_waitcnt lgkmcnt(0)
	v_mul_f64 v[42:43], v[28:29], v[34:35]
	v_add_f64 v[40:41], v[10:11], 0
	ds_read_b128 v[4:7], v3 offset:1024
	ds_read_b128 v[8:11], v2 offset:5120
	v_mul_f64 v[34:35], v[30:31], v[34:35]
	v_add_f64 v[36:37], v[36:37], 0
	s_waitcnt lgkmcnt(0)
	v_mul_f64 v[44:45], v[4:5], v[10:11]
	v_add_f64 v[40:41], v[40:41], v[14:15]
	v_fma_f64 v[30:31], v[30:31], v[32:33], v[42:43]
	v_fma_f64 v[42:43], v[20:21], v[24:25], -v[26:27]
	v_add_f64 v[36:37], v[36:37], v[38:39]
	ds_read_b128 v[12:15], v3 offset:1280
	ds_read_b128 v[16:19], v2 offset:5376
	v_mul_f64 v[10:11], v[6:7], v[10:11]
	v_fma_f64 v[6:7], v[6:7], v[8:9], v[44:45]
	v_add_f64 v[38:39], v[40:41], v[22:23]
	v_fma_f64 v[44:45], v[28:29], v[32:33], -v[34:35]
	s_waitcnt lgkmcnt(0)
	v_mul_f64 v[40:41], v[12:13], v[18:19]
	v_add_f64 v[36:37], v[36:37], v[42:43]
	ds_read_b128 v[20:23], v3 offset:1536
	ds_read_b128 v[24:27], v2 offset:5632
	v_mul_f64 v[18:19], v[14:15], v[18:19]
	v_add_f64 v[38:39], v[38:39], v[30:31]
	ds_read_b128 v[28:31], v3 offset:1792
	ds_read_b128 v[32:35], v2 offset:5888
	s_waitcnt lgkmcnt(2)
	v_mul_f64 v[42:43], v[20:21], v[26:27]
	v_fma_f64 v[14:15], v[14:15], v[16:17], v[40:41]
	v_fma_f64 v[40:41], v[4:5], v[8:9], -v[10:11]
	v_add_f64 v[36:37], v[36:37], v[44:45]
	v_mul_f64 v[26:27], v[22:23], v[26:27]
	s_waitcnt lgkmcnt(0)
	v_mul_f64 v[44:45], v[28:29], v[34:35]
	v_add_f64 v[38:39], v[38:39], v[6:7]
	ds_read_b128 v[4:7], v3 offset:2048
	ds_read_b128 v[8:11], v2 offset:6144
	v_fma_f64 v[22:23], v[22:23], v[24:25], v[42:43]
	v_fma_f64 v[42:43], v[12:13], v[16:17], -v[18:19]
	v_mul_f64 v[34:35], v[30:31], v[34:35]
	v_add_f64 v[36:37], v[36:37], v[40:41]
	s_waitcnt lgkmcnt(0)
	v_mul_f64 v[40:41], v[4:5], v[10:11]
	v_add_f64 v[38:39], v[38:39], v[14:15]
	v_fma_f64 v[30:31], v[30:31], v[32:33], v[44:45]
	v_fma_f64 v[44:45], v[20:21], v[24:25], -v[26:27]
	ds_read_b128 v[12:15], v3 offset:2304
	ds_read_b128 v[16:19], v2 offset:6400
	v_mul_f64 v[10:11], v[6:7], v[10:11]
	v_add_f64 v[36:37], v[36:37], v[42:43]
	v_fma_f64 v[6:7], v[6:7], v[8:9], v[40:41]
	v_add_f64 v[38:39], v[38:39], v[22:23]
	s_waitcnt lgkmcnt(0)
	v_mul_f64 v[42:43], v[12:13], v[18:19]
	v_fma_f64 v[40:41], v[28:29], v[32:33], -v[34:35]
	ds_read_b128 v[20:23], v3 offset:2560
	ds_read_b128 v[24:27], v2 offset:6656
	v_mul_f64 v[18:19], v[14:15], v[18:19]
	v_add_f64 v[36:37], v[36:37], v[44:45]
	v_add_f64 v[38:39], v[38:39], v[30:31]
	s_waitcnt lgkmcnt(0)
	v_mul_f64 v[44:45], v[20:21], v[26:27]
	v_fma_f64 v[14:15], v[14:15], v[16:17], v[42:43]
	v_fma_f64 v[42:43], v[4:5], v[8:9], -v[10:11]
	ds_read_b128 v[28:31], v3 offset:2816
	ds_read_b128 v[32:35], v2 offset:6912
	v_add_f64 v[36:37], v[36:37], v[40:41]
	v_mul_f64 v[26:27], v[22:23], v[26:27]
	v_add_f64 v[38:39], v[38:39], v[6:7]
	v_fma_f64 v[22:23], v[22:23], v[24:25], v[44:45]
	s_waitcnt lgkmcnt(0)
	v_mul_f64 v[40:41], v[28:29], v[34:35]
	v_fma_f64 v[44:45], v[12:13], v[16:17], -v[18:19]
	ds_read_b128 v[4:7], v3 offset:3072
	ds_read_b128 v[8:11], v2 offset:7168
	v_add_f64 v[36:37], v[36:37], v[42:43]
	v_mul_f64 v[34:35], v[30:31], v[34:35]
	v_add_f64 v[38:39], v[38:39], v[14:15]
	ds_read_b128 v[12:15], v3 offset:3328
	ds_read_b128 v[16:19], v2 offset:7424
	s_waitcnt lgkmcnt(2)
	v_mul_f64 v[42:43], v[4:5], v[10:11]
	v_fma_f64 v[30:31], v[30:31], v[32:33], v[40:41]
	v_fma_f64 v[40:41], v[20:21], v[24:25], -v[26:27]
	v_add_f64 v[36:37], v[36:37], v[44:45]
	v_mul_f64 v[10:11], v[6:7], v[10:11]
	s_waitcnt lgkmcnt(0)
	v_mul_f64 v[44:45], v[12:13], v[18:19]
	v_add_f64 v[38:39], v[38:39], v[22:23]
	ds_read_b128 v[20:23], v3 offset:3584
	ds_read_b128 v[24:27], v2 offset:7680
	v_fma_f64 v[6:7], v[6:7], v[8:9], v[42:43]
	v_fma_f64 v[42:43], v[28:29], v[32:33], -v[34:35]
	v_mul_f64 v[18:19], v[14:15], v[18:19]
	v_add_f64 v[36:37], v[36:37], v[40:41]
	s_waitcnt lgkmcnt(0)
	v_mul_f64 v[40:41], v[20:21], v[26:27]
	v_add_f64 v[38:39], v[38:39], v[30:31]
	ds_read_b128 v[28:31], v3 offset:3840
	ds_read_b128 v[32:35], v2 offset:7936
	v_fma_f64 v[14:15], v[14:15], v[16:17], v[44:45]
	v_fma_f64 v[3:4], v[4:5], v[8:9], -v[10:11]
	v_mul_f64 v[26:27], v[22:23], v[26:27]
	v_add_f64 v[8:9], v[36:37], v[42:43]
	v_fma_f64 v[12:13], v[12:13], v[16:17], -v[18:19]
	s_waitcnt lgkmcnt(0)
	v_mul_f64 v[10:11], v[28:29], v[34:35]
	v_add_f64 v[5:6], v[38:39], v[6:7]
	v_fma_f64 v[22:23], v[22:23], v[24:25], v[40:41]
	v_add_f64 v[3:4], v[8:9], v[3:4]
	v_mul_f64 v[7:8], v[30:31], v[34:35]
	v_fma_f64 v[9:10], v[30:31], v[32:33], v[10:11]
	v_add_f64 v[5:6], v[5:6], v[14:15]
	v_fma_f64 v[14:15], v[20:21], v[24:25], -v[26:27]
	v_add_f64 v[3:4], v[3:4], v[12:13]
	v_fma_f64 v[7:8], v[28:29], v[32:33], -v[7:8]
	v_add_f64 v[5:6], v[5:6], v[22:23]
	v_add_f64 v[3:4], v[3:4], v[14:15]
	;; [unrolled: 1-line block ×3, first 2 shown]
	v_mad_u64_u32 v[9:10], null, s2, v1, 0
	s_add_u32 s2, s18, s0
	v_add_f64 v[3:4], v[3:4], v[7:8]
	v_mov_b32_e32 v0, v10
	v_mad_u64_u32 v[0:1], null, s3, v1, v[0:1]
	s_addc_u32 s3, s19, s1
	s_lshl_b64 s[0:1], s[6:7], 4
	s_add_u32 s0, s2, s0
	s_addc_u32 s1, s3, s1
	v_mov_b32_e32 v10, v0
	v_mul_f64 v[7:8], s[8:9], v[5:6]
	v_mul_f64 v[11:12], s[10:11], v[5:6]
	v_lshlrev_b64 v[0:1], 4, v[9:10]
	v_add_co_u32 v0, vcc_lo, s0, v0
	v_add_co_ci_u32_e64 v1, null, s1, v1, vcc_lo
	v_add_co_u32 v0, vcc_lo, v0, v2
	v_add_co_ci_u32_e64 v1, null, 0, v1, vcc_lo
	v_fma_f64 v[5:6], s[10:11], v[3:4], v[7:8]
	v_fma_f64 v[3:4], s[8:9], v[3:4], -v[11:12]
	flat_store_dwordx4 v[0:1], v[3:6]
.LBB190_15:
	s_endpgm
	.section	.rodata,"a",@progbits
	.p2align	6, 0x0
	.amdhsa_kernel _ZL23rocblas_trmm_rTx_kernelILi16ELb1E19rocblas_complex_numIdEPKS1_KS3_KPS1_Ev13rocblas_fill_17rocblas_diagonal_iiT2_lPT3_llSB_llPT4_lli
		.amdhsa_group_segment_fixed_size 8192
		.amdhsa_private_segment_fixed_size 0
		.amdhsa_kernarg_size 108
		.amdhsa_user_sgpr_count 6
		.amdhsa_user_sgpr_private_segment_buffer 1
		.amdhsa_user_sgpr_dispatch_ptr 0
		.amdhsa_user_sgpr_queue_ptr 0
		.amdhsa_user_sgpr_kernarg_segment_ptr 1
		.amdhsa_user_sgpr_dispatch_id 0
		.amdhsa_user_sgpr_flat_scratch_init 0
		.amdhsa_user_sgpr_private_segment_size 0
		.amdhsa_wavefront_size32 1
		.amdhsa_uses_dynamic_stack 0
		.amdhsa_system_sgpr_private_segment_wavefront_offset 0
		.amdhsa_system_sgpr_workgroup_id_x 1
		.amdhsa_system_sgpr_workgroup_id_y 0
		.amdhsa_system_sgpr_workgroup_id_z 1
		.amdhsa_system_sgpr_workgroup_info 0
		.amdhsa_system_vgpr_workitem_id 1
		.amdhsa_next_free_vgpr 46
		.amdhsa_next_free_sgpr 38
		.amdhsa_reserve_vcc 1
		.amdhsa_reserve_flat_scratch 0
		.amdhsa_float_round_mode_32 0
		.amdhsa_float_round_mode_16_64 0
		.amdhsa_float_denorm_mode_32 3
		.amdhsa_float_denorm_mode_16_64 3
		.amdhsa_dx10_clamp 1
		.amdhsa_ieee_mode 1
		.amdhsa_fp16_overflow 0
		.amdhsa_workgroup_processor_mode 1
		.amdhsa_memory_ordered 1
		.amdhsa_forward_progress 1
		.amdhsa_shared_vgpr_count 0
		.amdhsa_exception_fp_ieee_invalid_op 0
		.amdhsa_exception_fp_denorm_src 0
		.amdhsa_exception_fp_ieee_div_zero 0
		.amdhsa_exception_fp_ieee_overflow 0
		.amdhsa_exception_fp_ieee_underflow 0
		.amdhsa_exception_fp_ieee_inexact 0
		.amdhsa_exception_int_div_zero 0
	.end_amdhsa_kernel
	.section	.text._ZL23rocblas_trmm_rTx_kernelILi16ELb1E19rocblas_complex_numIdEPKS1_KS3_KPS1_Ev13rocblas_fill_17rocblas_diagonal_iiT2_lPT3_llSB_llPT4_lli,"axG",@progbits,_ZL23rocblas_trmm_rTx_kernelILi16ELb1E19rocblas_complex_numIdEPKS1_KS3_KPS1_Ev13rocblas_fill_17rocblas_diagonal_iiT2_lPT3_llSB_llPT4_lli,comdat
.Lfunc_end190:
	.size	_ZL23rocblas_trmm_rTx_kernelILi16ELb1E19rocblas_complex_numIdEPKS1_KS3_KPS1_Ev13rocblas_fill_17rocblas_diagonal_iiT2_lPT3_llSB_llPT4_lli, .Lfunc_end190-_ZL23rocblas_trmm_rTx_kernelILi16ELb1E19rocblas_complex_numIdEPKS1_KS3_KPS1_Ev13rocblas_fill_17rocblas_diagonal_iiT2_lPT3_llSB_llPT4_lli
                                        ; -- End function
	.set _ZL23rocblas_trmm_rTx_kernelILi16ELb1E19rocblas_complex_numIdEPKS1_KS3_KPS1_Ev13rocblas_fill_17rocblas_diagonal_iiT2_lPT3_llSB_llPT4_lli.num_vgpr, 46
	.set _ZL23rocblas_trmm_rTx_kernelILi16ELb1E19rocblas_complex_numIdEPKS1_KS3_KPS1_Ev13rocblas_fill_17rocblas_diagonal_iiT2_lPT3_llSB_llPT4_lli.num_agpr, 0
	.set _ZL23rocblas_trmm_rTx_kernelILi16ELb1E19rocblas_complex_numIdEPKS1_KS3_KPS1_Ev13rocblas_fill_17rocblas_diagonal_iiT2_lPT3_llSB_llPT4_lli.numbered_sgpr, 38
	.set _ZL23rocblas_trmm_rTx_kernelILi16ELb1E19rocblas_complex_numIdEPKS1_KS3_KPS1_Ev13rocblas_fill_17rocblas_diagonal_iiT2_lPT3_llSB_llPT4_lli.num_named_barrier, 0
	.set _ZL23rocblas_trmm_rTx_kernelILi16ELb1E19rocblas_complex_numIdEPKS1_KS3_KPS1_Ev13rocblas_fill_17rocblas_diagonal_iiT2_lPT3_llSB_llPT4_lli.private_seg_size, 0
	.set _ZL23rocblas_trmm_rTx_kernelILi16ELb1E19rocblas_complex_numIdEPKS1_KS3_KPS1_Ev13rocblas_fill_17rocblas_diagonal_iiT2_lPT3_llSB_llPT4_lli.uses_vcc, 1
	.set _ZL23rocblas_trmm_rTx_kernelILi16ELb1E19rocblas_complex_numIdEPKS1_KS3_KPS1_Ev13rocblas_fill_17rocblas_diagonal_iiT2_lPT3_llSB_llPT4_lli.uses_flat_scratch, 0
	.set _ZL23rocblas_trmm_rTx_kernelILi16ELb1E19rocblas_complex_numIdEPKS1_KS3_KPS1_Ev13rocblas_fill_17rocblas_diagonal_iiT2_lPT3_llSB_llPT4_lli.has_dyn_sized_stack, 0
	.set _ZL23rocblas_trmm_rTx_kernelILi16ELb1E19rocblas_complex_numIdEPKS1_KS3_KPS1_Ev13rocblas_fill_17rocblas_diagonal_iiT2_lPT3_llSB_llPT4_lli.has_recursion, 0
	.set _ZL23rocblas_trmm_rTx_kernelILi16ELb1E19rocblas_complex_numIdEPKS1_KS3_KPS1_Ev13rocblas_fill_17rocblas_diagonal_iiT2_lPT3_llSB_llPT4_lli.has_indirect_call, 0
	.section	.AMDGPU.csdata,"",@progbits
; Kernel info:
; codeLenInByte = 1912
; TotalNumSgprs: 40
; NumVgprs: 46
; ScratchSize: 0
; MemoryBound: 0
; FloatMode: 240
; IeeeMode: 1
; LDSByteSize: 8192 bytes/workgroup (compile time only)
; SGPRBlocks: 0
; VGPRBlocks: 5
; NumSGPRsForWavesPerEU: 40
; NumVGPRsForWavesPerEU: 46
; Occupancy: 16
; WaveLimiterHint : 1
; COMPUTE_PGM_RSRC2:SCRATCH_EN: 0
; COMPUTE_PGM_RSRC2:USER_SGPR: 6
; COMPUTE_PGM_RSRC2:TRAP_HANDLER: 0
; COMPUTE_PGM_RSRC2:TGID_X_EN: 1
; COMPUTE_PGM_RSRC2:TGID_Y_EN: 0
; COMPUTE_PGM_RSRC2:TGID_Z_EN: 1
; COMPUTE_PGM_RSRC2:TIDIG_COMP_CNT: 1
	.section	.text._ZL23rocblas_trmm_rTx_kernelILi16ELb1E19rocblas_complex_numIdES1_KPKS1_KPS1_Ev13rocblas_fill_17rocblas_diagonal_iiT2_lPT3_llSB_llPT4_lli,"axG",@progbits,_ZL23rocblas_trmm_rTx_kernelILi16ELb1E19rocblas_complex_numIdES1_KPKS1_KPS1_Ev13rocblas_fill_17rocblas_diagonal_iiT2_lPT3_llSB_llPT4_lli,comdat
	.globl	_ZL23rocblas_trmm_rTx_kernelILi16ELb1E19rocblas_complex_numIdES1_KPKS1_KPS1_Ev13rocblas_fill_17rocblas_diagonal_iiT2_lPT3_llSB_llPT4_lli ; -- Begin function _ZL23rocblas_trmm_rTx_kernelILi16ELb1E19rocblas_complex_numIdES1_KPKS1_KPS1_Ev13rocblas_fill_17rocblas_diagonal_iiT2_lPT3_llSB_llPT4_lli
	.p2align	8
	.type	_ZL23rocblas_trmm_rTx_kernelILi16ELb1E19rocblas_complex_numIdES1_KPKS1_KPS1_Ev13rocblas_fill_17rocblas_diagonal_iiT2_lPT3_llSB_llPT4_lli,@function
_ZL23rocblas_trmm_rTx_kernelILi16ELb1E19rocblas_complex_numIdES1_KPKS1_KPS1_Ev13rocblas_fill_17rocblas_diagonal_iiT2_lPT3_llSB_llPT4_lli: ; @_ZL23rocblas_trmm_rTx_kernelILi16ELb1E19rocblas_complex_numIdES1_KPKS1_KPS1_Ev13rocblas_fill_17rocblas_diagonal_iiT2_lPT3_llSB_llPT4_lli
; %bb.0:
	s_load_dwordx4 s[24:27], s[4:5], 0x10
	s_waitcnt lgkmcnt(0)
	v_cmp_neq_f64_e64 s1, s[24:25], 0
	v_cmp_neq_f64_e64 s2, s[26:27], 0
	s_or_b32 s1, s1, s2
	s_andn2_b32 vcc_lo, exec_lo, s1
	s_cbranch_vccnz .LBB191_15
; %bb.1:
	s_load_dwordx16 s[8:23], s[4:5], 0x28
	s_mov_b32 s0, s7
	s_mov_b32 s1, 0
	s_load_dwordx4 s[28:31], s[4:5], 0x0
	s_lshl_b64 s[34:35], s[0:1], 3
	v_lshlrev_b32_e32 v3, 4, v1
	s_mov_b32 s0, s1
	v_lshlrev_b32_e32 v2, 4, v0
	v_add_lshl_u32 v4, v3, v0, 4
	s_waitcnt lgkmcnt(0)
	s_add_u32 s2, s14, s34
	s_addc_u32 s3, s15, s35
	s_add_u32 s14, s20, s34
	s_addc_u32 s15, s21, s35
	s_load_dwordx2 s[20:21], s[2:3], 0x0
	s_load_dwordx2 s[14:15], s[14:15], 0x0
	s_mov_b32 s3, s1
	s_mov_b32 s2, s1
	v_mov_b32_e32 v8, s3
	v_mov_b32_e32 v7, s2
	;; [unrolled: 1-line block ×4, first 2 shown]
	v_cmp_gt_i32_e32 vcc_lo, s31, v1
	v_cmp_gt_i32_e64 s0, s31, v0
	ds_write_b128 v4, v[5:8]
	ds_write_b128 v4, v[5:8] offset:4096
	s_and_b32 s0, vcc_lo, s0
	s_and_saveexec_b32 s1, s0
	s_cbranch_execz .LBB191_3
; %bb.2:
	s_add_u32 s2, s8, s34
	s_addc_u32 s3, s9, s35
	v_mad_u64_u32 v[5:6], null, s10, v1, 0
	s_load_dwordx2 s[2:3], s[2:3], 0x0
	s_lshl_b64 s[8:9], s[12:13], 4
	v_mad_u64_u32 v[6:7], null, s11, v1, v[6:7]
	v_lshlrev_b64 v[5:6], 4, v[5:6]
	s_waitcnt lgkmcnt(0)
	s_add_u32 s0, s2, s8
	s_addc_u32 s2, s3, s9
	v_add_co_u32 v5, s0, s0, v5
	v_add_co_ci_u32_e64 v6, null, s2, v6, s0
	v_add_co_u32 v5, s0, v5, v2
	v_add_co_ci_u32_e64 v6, null, 0, v6, s0
	flat_load_dwordx4 v[5:8], v[5:6]
	s_waitcnt vmcnt(0) lgkmcnt(0)
	v_xor_b32_e32 v8, 0x80000000, v8
	ds_write_b128 v4, v[5:8]
.LBB191_3:
	s_or_b32 exec_lo, exec_lo, s1
	s_add_i32 s0, s30, -1
	s_ashr_i32 s1, s0, 31
	s_lshr_b32 s1, s1, 28
	s_add_i32 s0, s0, s1
	s_and_b32 s1, s0, -16
	s_ashr_i32 s0, s0, 4
	s_sub_i32 s1, s30, s1
	s_cmp_ge_i32 s6, s0
	s_cselect_b32 s0, s1, 16
	s_lshl_b32 s2, s6, 4
	v_cmp_gt_i32_e64 s0, s0, v0
	s_ashr_i32 s3, s2, 31
	s_and_b32 s0, vcc_lo, s0
	s_and_saveexec_b32 s1, s0
	s_cbranch_execz .LBB191_5
; %bb.4:
	v_mad_u64_u32 v[5:6], null, s16, v1, 0
	s_lshl_b64 s[6:7], s[18:19], 4
	v_add_nc_u32_e32 v9, 0x1000, v4
	s_waitcnt lgkmcnt(0)
	s_add_u32 s8, s20, s6
	s_addc_u32 s9, s21, s7
	s_lshl_b64 s[6:7], s[2:3], 4
	s_add_u32 s6, s8, s6
	v_mad_u64_u32 v[6:7], null, s17, v1, v[6:7]
	s_addc_u32 s7, s9, s7
	v_lshlrev_b64 v[5:6], 4, v[5:6]
	v_add_co_u32 v5, vcc_lo, s6, v5
	v_add_co_ci_u32_e64 v6, null, s7, v6, vcc_lo
	v_add_co_u32 v5, vcc_lo, v5, v2
	v_add_co_ci_u32_e64 v6, null, 0, v6, vcc_lo
	flat_load_dwordx4 v[5:8], v[5:6]
	s_waitcnt vmcnt(0) lgkmcnt(0)
	ds_write2_b64 v9, v[5:6], v[7:8] offset1:1
.LBB191_5:
	s_or_b32 exec_lo, exec_lo, s1
	v_cmp_eq_u32_e32 vcc_lo, v1, v0
	s_cmpk_eq_i32 s29, 0x84
	s_cselect_b32 s1, -1, 0
	s_and_b32 s6, vcc_lo, s1
	s_and_saveexec_b32 s1, s6
	s_cbranch_execz .LBB191_7
; %bb.6:
	v_mov_b32_e32 v5, 0
	v_mov_b32_e32 v6, 0x3ff00000
	;; [unrolled: 1-line block ×4, first 2 shown]
	ds_write_b128 v4, v[5:8]
.LBB191_7:
	s_or_b32 exec_lo, exec_lo, s1
	s_cmpk_lg_i32 s28, 0x79
	s_cbranch_scc0 .LBB191_9
; %bb.8:
	v_cmp_lt_u32_e32 vcc_lo, v0, v1
	s_and_b32 s1, vcc_lo, exec_lo
	s_cbranch_execz .LBB191_10
	s_branch .LBB191_11
.LBB191_9:
	s_mov_b32 s1, 0
.LBB191_10:
	v_cmp_gt_u32_e32 vcc_lo, v0, v1
	s_andn2_b32 s1, s1, exec_lo
	s_and_b32 s6, vcc_lo, exec_lo
	s_or_b32 s1, s1, s6
.LBB191_11:
	s_and_saveexec_b32 s6, s1
	s_cbranch_execz .LBB191_13
; %bb.12:
	v_mov_b32_e32 v5, 0
	v_mov_b32_e32 v6, v5
	;; [unrolled: 1-line block ×4, first 2 shown]
	ds_write_b128 v4, v[5:8]
.LBB191_13:
	s_or_b32 exec_lo, exec_lo, s6
	s_waitcnt lgkmcnt(0)
	s_barrier
	buffer_gl0_inv
	s_and_saveexec_b32 s1, s0
	s_cbranch_execz .LBB191_15
; %bb.14:
	ds_read_b128 v[4:7], v2 offset:4096
	ds_read_b128 v[8:11], v3
	ds_read_b128 v[12:15], v3 offset:256
	ds_read_b128 v[16:19], v2 offset:4352
	;; [unrolled: 1-line block ×4, first 2 shown]
	s_load_dwordx2 s[0:1], s[4:5], 0x68
	s_waitcnt lgkmcnt(0)
	v_mul_f64 v[28:29], v[8:9], v[6:7]
	v_mul_f64 v[6:7], v[10:11], v[6:7]
	;; [unrolled: 1-line block ×6, first 2 shown]
	s_lshl_b64 s[0:1], s[0:1], 4
	s_add_u32 s4, s14, s0
	s_addc_u32 s5, s15, s1
	s_lshl_b64 s[0:1], s[2:3], 4
	s_add_u32 s0, s4, s0
	s_addc_u32 s1, s5, s1
	v_fma_f64 v[10:11], v[10:11], v[4:5], v[28:29]
	ds_read_b128 v[28:31], v3 offset:768
	ds_read_b128 v[32:35], v2 offset:4864
	v_fma_f64 v[14:15], v[14:15], v[16:17], v[36:37]
	v_fma_f64 v[36:37], v[8:9], v[4:5], -v[6:7]
	v_fma_f64 v[22:23], v[22:23], v[24:25], v[38:39]
	v_fma_f64 v[38:39], v[12:13], v[16:17], -v[18:19]
	s_waitcnt lgkmcnt(0)
	v_mul_f64 v[42:43], v[28:29], v[34:35]
	v_add_f64 v[40:41], v[10:11], 0
	ds_read_b128 v[4:7], v3 offset:1024
	ds_read_b128 v[8:11], v2 offset:5120
	v_mul_f64 v[34:35], v[30:31], v[34:35]
	v_add_f64 v[36:37], v[36:37], 0
	s_waitcnt lgkmcnt(0)
	v_mul_f64 v[44:45], v[4:5], v[10:11]
	v_add_f64 v[40:41], v[40:41], v[14:15]
	v_fma_f64 v[30:31], v[30:31], v[32:33], v[42:43]
	v_fma_f64 v[42:43], v[20:21], v[24:25], -v[26:27]
	v_add_f64 v[36:37], v[36:37], v[38:39]
	ds_read_b128 v[12:15], v3 offset:1280
	ds_read_b128 v[16:19], v2 offset:5376
	v_mul_f64 v[10:11], v[6:7], v[10:11]
	v_fma_f64 v[6:7], v[6:7], v[8:9], v[44:45]
	v_add_f64 v[38:39], v[40:41], v[22:23]
	v_fma_f64 v[44:45], v[28:29], v[32:33], -v[34:35]
	s_waitcnt lgkmcnt(0)
	v_mul_f64 v[40:41], v[12:13], v[18:19]
	v_add_f64 v[36:37], v[36:37], v[42:43]
	ds_read_b128 v[20:23], v3 offset:1536
	ds_read_b128 v[24:27], v2 offset:5632
	v_mul_f64 v[18:19], v[14:15], v[18:19]
	v_add_f64 v[38:39], v[38:39], v[30:31]
	ds_read_b128 v[28:31], v3 offset:1792
	ds_read_b128 v[32:35], v2 offset:5888
	s_waitcnt lgkmcnt(2)
	v_mul_f64 v[42:43], v[20:21], v[26:27]
	v_fma_f64 v[14:15], v[14:15], v[16:17], v[40:41]
	v_fma_f64 v[40:41], v[4:5], v[8:9], -v[10:11]
	v_add_f64 v[36:37], v[36:37], v[44:45]
	v_mul_f64 v[26:27], v[22:23], v[26:27]
	s_waitcnt lgkmcnt(0)
	v_mul_f64 v[44:45], v[28:29], v[34:35]
	v_add_f64 v[38:39], v[38:39], v[6:7]
	ds_read_b128 v[4:7], v3 offset:2048
	ds_read_b128 v[8:11], v2 offset:6144
	v_fma_f64 v[22:23], v[22:23], v[24:25], v[42:43]
	v_fma_f64 v[42:43], v[12:13], v[16:17], -v[18:19]
	v_mul_f64 v[34:35], v[30:31], v[34:35]
	v_add_f64 v[36:37], v[36:37], v[40:41]
	s_waitcnt lgkmcnt(0)
	v_mul_f64 v[40:41], v[4:5], v[10:11]
	v_add_f64 v[38:39], v[38:39], v[14:15]
	v_fma_f64 v[30:31], v[30:31], v[32:33], v[44:45]
	v_fma_f64 v[44:45], v[20:21], v[24:25], -v[26:27]
	ds_read_b128 v[12:15], v3 offset:2304
	ds_read_b128 v[16:19], v2 offset:6400
	v_mul_f64 v[10:11], v[6:7], v[10:11]
	v_add_f64 v[36:37], v[36:37], v[42:43]
	v_fma_f64 v[6:7], v[6:7], v[8:9], v[40:41]
	v_add_f64 v[38:39], v[38:39], v[22:23]
	s_waitcnt lgkmcnt(0)
	v_mul_f64 v[42:43], v[12:13], v[18:19]
	v_fma_f64 v[40:41], v[28:29], v[32:33], -v[34:35]
	ds_read_b128 v[20:23], v3 offset:2560
	ds_read_b128 v[24:27], v2 offset:6656
	v_mul_f64 v[18:19], v[14:15], v[18:19]
	v_add_f64 v[36:37], v[36:37], v[44:45]
	v_add_f64 v[38:39], v[38:39], v[30:31]
	s_waitcnt lgkmcnt(0)
	v_mul_f64 v[44:45], v[20:21], v[26:27]
	v_fma_f64 v[14:15], v[14:15], v[16:17], v[42:43]
	v_fma_f64 v[42:43], v[4:5], v[8:9], -v[10:11]
	ds_read_b128 v[28:31], v3 offset:2816
	ds_read_b128 v[32:35], v2 offset:6912
	v_add_f64 v[36:37], v[36:37], v[40:41]
	v_mul_f64 v[26:27], v[22:23], v[26:27]
	v_add_f64 v[38:39], v[38:39], v[6:7]
	v_fma_f64 v[22:23], v[22:23], v[24:25], v[44:45]
	s_waitcnt lgkmcnt(0)
	v_mul_f64 v[40:41], v[28:29], v[34:35]
	v_fma_f64 v[44:45], v[12:13], v[16:17], -v[18:19]
	ds_read_b128 v[4:7], v3 offset:3072
	ds_read_b128 v[8:11], v2 offset:7168
	v_add_f64 v[36:37], v[36:37], v[42:43]
	v_mul_f64 v[34:35], v[30:31], v[34:35]
	v_add_f64 v[38:39], v[38:39], v[14:15]
	ds_read_b128 v[12:15], v3 offset:3328
	ds_read_b128 v[16:19], v2 offset:7424
	s_waitcnt lgkmcnt(2)
	v_mul_f64 v[42:43], v[4:5], v[10:11]
	v_fma_f64 v[30:31], v[30:31], v[32:33], v[40:41]
	v_fma_f64 v[40:41], v[20:21], v[24:25], -v[26:27]
	v_add_f64 v[36:37], v[36:37], v[44:45]
	v_mul_f64 v[10:11], v[6:7], v[10:11]
	s_waitcnt lgkmcnt(0)
	v_mul_f64 v[44:45], v[12:13], v[18:19]
	v_add_f64 v[38:39], v[38:39], v[22:23]
	ds_read_b128 v[20:23], v3 offset:3584
	ds_read_b128 v[24:27], v2 offset:7680
	v_fma_f64 v[6:7], v[6:7], v[8:9], v[42:43]
	v_fma_f64 v[42:43], v[28:29], v[32:33], -v[34:35]
	v_mul_f64 v[18:19], v[14:15], v[18:19]
	v_add_f64 v[36:37], v[36:37], v[40:41]
	s_waitcnt lgkmcnt(0)
	v_mul_f64 v[40:41], v[20:21], v[26:27]
	v_add_f64 v[38:39], v[38:39], v[30:31]
	ds_read_b128 v[28:31], v3 offset:3840
	ds_read_b128 v[32:35], v2 offset:7936
	v_fma_f64 v[14:15], v[14:15], v[16:17], v[44:45]
	v_fma_f64 v[3:4], v[4:5], v[8:9], -v[10:11]
	v_mul_f64 v[26:27], v[22:23], v[26:27]
	v_add_f64 v[8:9], v[36:37], v[42:43]
	v_fma_f64 v[12:13], v[12:13], v[16:17], -v[18:19]
	s_waitcnt lgkmcnt(0)
	v_mul_f64 v[10:11], v[28:29], v[34:35]
	v_add_f64 v[5:6], v[38:39], v[6:7]
	v_fma_f64 v[22:23], v[22:23], v[24:25], v[40:41]
	v_add_f64 v[3:4], v[8:9], v[3:4]
	v_mul_f64 v[7:8], v[30:31], v[34:35]
	v_fma_f64 v[9:10], v[30:31], v[32:33], v[10:11]
	v_add_f64 v[5:6], v[5:6], v[14:15]
	v_fma_f64 v[14:15], v[20:21], v[24:25], -v[26:27]
	v_add_f64 v[3:4], v[3:4], v[12:13]
	v_fma_f64 v[7:8], v[28:29], v[32:33], -v[7:8]
	v_add_f64 v[5:6], v[5:6], v[22:23]
	v_add_f64 v[3:4], v[3:4], v[14:15]
	;; [unrolled: 1-line block ×3, first 2 shown]
	v_mad_u64_u32 v[9:10], null, s22, v1, 0
	v_add_f64 v[3:4], v[3:4], v[7:8]
	v_mov_b32_e32 v0, v10
	v_mad_u64_u32 v[0:1], null, s23, v1, v[0:1]
	v_mov_b32_e32 v10, v0
	v_mul_f64 v[7:8], s[24:25], v[5:6]
	v_mul_f64 v[11:12], s[26:27], v[5:6]
	v_lshlrev_b64 v[0:1], 4, v[9:10]
	v_add_co_u32 v0, vcc_lo, s0, v0
	v_add_co_ci_u32_e64 v1, null, s1, v1, vcc_lo
	v_add_co_u32 v0, vcc_lo, v0, v2
	v_add_co_ci_u32_e64 v1, null, 0, v1, vcc_lo
	v_fma_f64 v[5:6], s[26:27], v[3:4], v[7:8]
	v_fma_f64 v[3:4], s[24:25], v[3:4], -v[11:12]
	flat_store_dwordx4 v[0:1], v[3:6]
.LBB191_15:
	s_endpgm
	.section	.rodata,"a",@progbits
	.p2align	6, 0x0
	.amdhsa_kernel _ZL23rocblas_trmm_rTx_kernelILi16ELb1E19rocblas_complex_numIdES1_KPKS1_KPS1_Ev13rocblas_fill_17rocblas_diagonal_iiT2_lPT3_llSB_llPT4_lli
		.amdhsa_group_segment_fixed_size 8192
		.amdhsa_private_segment_fixed_size 0
		.amdhsa_kernarg_size 116
		.amdhsa_user_sgpr_count 6
		.amdhsa_user_sgpr_private_segment_buffer 1
		.amdhsa_user_sgpr_dispatch_ptr 0
		.amdhsa_user_sgpr_queue_ptr 0
		.amdhsa_user_sgpr_kernarg_segment_ptr 1
		.amdhsa_user_sgpr_dispatch_id 0
		.amdhsa_user_sgpr_flat_scratch_init 0
		.amdhsa_user_sgpr_private_segment_size 0
		.amdhsa_wavefront_size32 1
		.amdhsa_uses_dynamic_stack 0
		.amdhsa_system_sgpr_private_segment_wavefront_offset 0
		.amdhsa_system_sgpr_workgroup_id_x 1
		.amdhsa_system_sgpr_workgroup_id_y 0
		.amdhsa_system_sgpr_workgroup_id_z 1
		.amdhsa_system_sgpr_workgroup_info 0
		.amdhsa_system_vgpr_workitem_id 1
		.amdhsa_next_free_vgpr 46
		.amdhsa_next_free_sgpr 36
		.amdhsa_reserve_vcc 1
		.amdhsa_reserve_flat_scratch 0
		.amdhsa_float_round_mode_32 0
		.amdhsa_float_round_mode_16_64 0
		.amdhsa_float_denorm_mode_32 3
		.amdhsa_float_denorm_mode_16_64 3
		.amdhsa_dx10_clamp 1
		.amdhsa_ieee_mode 1
		.amdhsa_fp16_overflow 0
		.amdhsa_workgroup_processor_mode 1
		.amdhsa_memory_ordered 1
		.amdhsa_forward_progress 1
		.amdhsa_shared_vgpr_count 0
		.amdhsa_exception_fp_ieee_invalid_op 0
		.amdhsa_exception_fp_denorm_src 0
		.amdhsa_exception_fp_ieee_div_zero 0
		.amdhsa_exception_fp_ieee_overflow 0
		.amdhsa_exception_fp_ieee_underflow 0
		.amdhsa_exception_fp_ieee_inexact 0
		.amdhsa_exception_int_div_zero 0
	.end_amdhsa_kernel
	.section	.text._ZL23rocblas_trmm_rTx_kernelILi16ELb1E19rocblas_complex_numIdES1_KPKS1_KPS1_Ev13rocblas_fill_17rocblas_diagonal_iiT2_lPT3_llSB_llPT4_lli,"axG",@progbits,_ZL23rocblas_trmm_rTx_kernelILi16ELb1E19rocblas_complex_numIdES1_KPKS1_KPS1_Ev13rocblas_fill_17rocblas_diagonal_iiT2_lPT3_llSB_llPT4_lli,comdat
.Lfunc_end191:
	.size	_ZL23rocblas_trmm_rTx_kernelILi16ELb1E19rocblas_complex_numIdES1_KPKS1_KPS1_Ev13rocblas_fill_17rocblas_diagonal_iiT2_lPT3_llSB_llPT4_lli, .Lfunc_end191-_ZL23rocblas_trmm_rTx_kernelILi16ELb1E19rocblas_complex_numIdES1_KPKS1_KPS1_Ev13rocblas_fill_17rocblas_diagonal_iiT2_lPT3_llSB_llPT4_lli
                                        ; -- End function
	.set _ZL23rocblas_trmm_rTx_kernelILi16ELb1E19rocblas_complex_numIdES1_KPKS1_KPS1_Ev13rocblas_fill_17rocblas_diagonal_iiT2_lPT3_llSB_llPT4_lli.num_vgpr, 46
	.set _ZL23rocblas_trmm_rTx_kernelILi16ELb1E19rocblas_complex_numIdES1_KPKS1_KPS1_Ev13rocblas_fill_17rocblas_diagonal_iiT2_lPT3_llSB_llPT4_lli.num_agpr, 0
	.set _ZL23rocblas_trmm_rTx_kernelILi16ELb1E19rocblas_complex_numIdES1_KPKS1_KPS1_Ev13rocblas_fill_17rocblas_diagonal_iiT2_lPT3_llSB_llPT4_lli.numbered_sgpr, 36
	.set _ZL23rocblas_trmm_rTx_kernelILi16ELb1E19rocblas_complex_numIdES1_KPKS1_KPS1_Ev13rocblas_fill_17rocblas_diagonal_iiT2_lPT3_llSB_llPT4_lli.num_named_barrier, 0
	.set _ZL23rocblas_trmm_rTx_kernelILi16ELb1E19rocblas_complex_numIdES1_KPKS1_KPS1_Ev13rocblas_fill_17rocblas_diagonal_iiT2_lPT3_llSB_llPT4_lli.private_seg_size, 0
	.set _ZL23rocblas_trmm_rTx_kernelILi16ELb1E19rocblas_complex_numIdES1_KPKS1_KPS1_Ev13rocblas_fill_17rocblas_diagonal_iiT2_lPT3_llSB_llPT4_lli.uses_vcc, 1
	.set _ZL23rocblas_trmm_rTx_kernelILi16ELb1E19rocblas_complex_numIdES1_KPKS1_KPS1_Ev13rocblas_fill_17rocblas_diagonal_iiT2_lPT3_llSB_llPT4_lli.uses_flat_scratch, 0
	.set _ZL23rocblas_trmm_rTx_kernelILi16ELb1E19rocblas_complex_numIdES1_KPKS1_KPS1_Ev13rocblas_fill_17rocblas_diagonal_iiT2_lPT3_llSB_llPT4_lli.has_dyn_sized_stack, 0
	.set _ZL23rocblas_trmm_rTx_kernelILi16ELb1E19rocblas_complex_numIdES1_KPKS1_KPS1_Ev13rocblas_fill_17rocblas_diagonal_iiT2_lPT3_llSB_llPT4_lli.has_recursion, 0
	.set _ZL23rocblas_trmm_rTx_kernelILi16ELb1E19rocblas_complex_numIdES1_KPKS1_KPS1_Ev13rocblas_fill_17rocblas_diagonal_iiT2_lPT3_llSB_llPT4_lli.has_indirect_call, 0
	.section	.AMDGPU.csdata,"",@progbits
; Kernel info:
; codeLenInByte = 1868
; TotalNumSgprs: 38
; NumVgprs: 46
; ScratchSize: 0
; MemoryBound: 0
; FloatMode: 240
; IeeeMode: 1
; LDSByteSize: 8192 bytes/workgroup (compile time only)
; SGPRBlocks: 0
; VGPRBlocks: 5
; NumSGPRsForWavesPerEU: 38
; NumVGPRsForWavesPerEU: 46
; Occupancy: 16
; WaveLimiterHint : 1
; COMPUTE_PGM_RSRC2:SCRATCH_EN: 0
; COMPUTE_PGM_RSRC2:USER_SGPR: 6
; COMPUTE_PGM_RSRC2:TRAP_HANDLER: 0
; COMPUTE_PGM_RSRC2:TGID_X_EN: 1
; COMPUTE_PGM_RSRC2:TGID_Y_EN: 0
; COMPUTE_PGM_RSRC2:TGID_Z_EN: 1
; COMPUTE_PGM_RSRC2:TIDIG_COMP_CNT: 1
	.section	.text._ZL44rocblas_set_matrix_zero_if_alpha_zero_kernelILi16ELi16EPKfPKPfEviiT1_lT2_lli,"axG",@progbits,_ZL44rocblas_set_matrix_zero_if_alpha_zero_kernelILi16ELi16EPKfPKPfEviiT1_lT2_lli,comdat
	.globl	_ZL44rocblas_set_matrix_zero_if_alpha_zero_kernelILi16ELi16EPKfPKPfEviiT1_lT2_lli ; -- Begin function _ZL44rocblas_set_matrix_zero_if_alpha_zero_kernelILi16ELi16EPKfPKPfEviiT1_lT2_lli
	.p2align	8
	.type	_ZL44rocblas_set_matrix_zero_if_alpha_zero_kernelILi16ELi16EPKfPKPfEviiT1_lT2_lli,@function
_ZL44rocblas_set_matrix_zero_if_alpha_zero_kernelILi16ELi16EPKfPKPfEviiT1_lT2_lli: ; @_ZL44rocblas_set_matrix_zero_if_alpha_zero_kernelILi16ELi16EPKfPKPfEviiT1_lT2_lli
; %bb.0:
	s_load_dwordx8 s[12:19], s[4:5], 0x8
	s_mov_b32 s9, 0
	s_waitcnt lgkmcnt(0)
	s_mul_i32 s0, s15, s8
	s_mul_hi_u32 s1, s14, s8
	s_add_i32 s1, s1, s0
	s_mul_i32 s0, s14, s8
	s_lshl_b64 s[0:1], s[0:1], 2
	s_add_u32 s0, s12, s0
	s_addc_u32 s1, s13, s1
	s_load_dword s0, s[0:1], 0x0
	s_waitcnt lgkmcnt(0)
	v_cmp_neq_f32_e64 s0, s0, 0
	s_and_b32 vcc_lo, exec_lo, s0
	s_cbranch_vccnz .LBB192_4
; %bb.1:
	s_load_dwordx2 s[0:1], s[4:5], 0x0
	v_mov_b32_e32 v3, 0
	v_lshl_add_u32 v2, s6, 4, v0
	v_lshl_add_u32 v0, s7, 4, v1
	v_mov_b32_e32 v1, v3
	s_waitcnt lgkmcnt(0)
	s_ashr_i32 s7, s0, 31
	s_mov_b32 s6, s0
	s_ashr_i32 s3, s1, 31
	s_mov_b32 s2, s1
	v_cmp_gt_i64_e32 vcc_lo, s[6:7], v[2:3]
	v_cmp_gt_i64_e64 s0, s[2:3], v[0:1]
	s_and_b32 s0, vcc_lo, s0
	s_and_saveexec_b32 s1, s0
	s_cbranch_execz .LBB192_4
; %bb.2:
	v_mad_u64_u32 v[4:5], null, s18, v0, 0
	s_clause 0x1
	s_load_dword s10, s[4:5], 0x3c
	s_load_dwordx2 s[4:5], s[4:5], 0x28
	s_lshl_b64 s[0:1], s[8:9], 3
	s_add_u32 s0, s16, s0
	s_addc_u32 s1, s17, s1
	s_load_dwordx2 s[6:7], s[0:1], 0x0
	v_mad_u64_u32 v[5:6], null, s19, v0, v[5:6]
	v_lshlrev_b64 v[6:7], 2, v[2:3]
	v_lshlrev_b64 v[4:5], 2, v[4:5]
	s_waitcnt lgkmcnt(0)
	s_lshl_b32 s1, s10, 4
	s_lshl_b64 s[4:5], s[4:5], 2
	s_mul_i32 s0, s19, s1
	v_add_co_u32 v2, vcc_lo, v4, s4
	v_add_co_ci_u32_e64 v4, null, s5, v5, vcc_lo
	s_mul_hi_u32 s4, s18, s1
	v_add_co_u32 v2, vcc_lo, v2, v6
	v_add_co_ci_u32_e64 v5, null, v4, v7, vcc_lo
	s_add_i32 s5, s4, s0
	v_add_co_u32 v4, vcc_lo, s6, v2
	v_add_co_ci_u32_e64 v5, null, s7, v5, vcc_lo
	s_mul_i32 s4, s18, s1
	s_mov_b32 s6, 0
	s_lshl_b64 s[4:5], s[4:5], 2
.LBB192_3:                              ; =>This Inner Loop Header: Depth=1
	v_add_co_u32 v0, vcc_lo, v0, s1
	v_add_co_ci_u32_e64 v1, null, 0, v1, vcc_lo
	flat_store_dword v[4:5], v3
	v_add_co_u32 v4, s0, v4, s4
	v_cmp_le_i64_e32 vcc_lo, s[2:3], v[0:1]
	v_add_co_ci_u32_e64 v5, null, s5, v5, s0
	s_or_b32 s6, vcc_lo, s6
	s_andn2_b32 exec_lo, exec_lo, s6
	s_cbranch_execnz .LBB192_3
.LBB192_4:
	s_endpgm
	.section	.rodata,"a",@progbits
	.p2align	6, 0x0
	.amdhsa_kernel _ZL44rocblas_set_matrix_zero_if_alpha_zero_kernelILi16ELi16EPKfPKPfEviiT1_lT2_lli
		.amdhsa_group_segment_fixed_size 0
		.amdhsa_private_segment_fixed_size 0
		.amdhsa_kernarg_size 312
		.amdhsa_user_sgpr_count 6
		.amdhsa_user_sgpr_private_segment_buffer 1
		.amdhsa_user_sgpr_dispatch_ptr 0
		.amdhsa_user_sgpr_queue_ptr 0
		.amdhsa_user_sgpr_kernarg_segment_ptr 1
		.amdhsa_user_sgpr_dispatch_id 0
		.amdhsa_user_sgpr_flat_scratch_init 0
		.amdhsa_user_sgpr_private_segment_size 0
		.amdhsa_wavefront_size32 1
		.amdhsa_uses_dynamic_stack 0
		.amdhsa_system_sgpr_private_segment_wavefront_offset 0
		.amdhsa_system_sgpr_workgroup_id_x 1
		.amdhsa_system_sgpr_workgroup_id_y 1
		.amdhsa_system_sgpr_workgroup_id_z 1
		.amdhsa_system_sgpr_workgroup_info 0
		.amdhsa_system_vgpr_workitem_id 1
		.amdhsa_next_free_vgpr 8
		.amdhsa_next_free_sgpr 20
		.amdhsa_reserve_vcc 1
		.amdhsa_reserve_flat_scratch 0
		.amdhsa_float_round_mode_32 0
		.amdhsa_float_round_mode_16_64 0
		.amdhsa_float_denorm_mode_32 3
		.amdhsa_float_denorm_mode_16_64 3
		.amdhsa_dx10_clamp 1
		.amdhsa_ieee_mode 1
		.amdhsa_fp16_overflow 0
		.amdhsa_workgroup_processor_mode 1
		.amdhsa_memory_ordered 1
		.amdhsa_forward_progress 1
		.amdhsa_shared_vgpr_count 0
		.amdhsa_exception_fp_ieee_invalid_op 0
		.amdhsa_exception_fp_denorm_src 0
		.amdhsa_exception_fp_ieee_div_zero 0
		.amdhsa_exception_fp_ieee_overflow 0
		.amdhsa_exception_fp_ieee_underflow 0
		.amdhsa_exception_fp_ieee_inexact 0
		.amdhsa_exception_int_div_zero 0
	.end_amdhsa_kernel
	.section	.text._ZL44rocblas_set_matrix_zero_if_alpha_zero_kernelILi16ELi16EPKfPKPfEviiT1_lT2_lli,"axG",@progbits,_ZL44rocblas_set_matrix_zero_if_alpha_zero_kernelILi16ELi16EPKfPKPfEviiT1_lT2_lli,comdat
.Lfunc_end192:
	.size	_ZL44rocblas_set_matrix_zero_if_alpha_zero_kernelILi16ELi16EPKfPKPfEviiT1_lT2_lli, .Lfunc_end192-_ZL44rocblas_set_matrix_zero_if_alpha_zero_kernelILi16ELi16EPKfPKPfEviiT1_lT2_lli
                                        ; -- End function
	.set _ZL44rocblas_set_matrix_zero_if_alpha_zero_kernelILi16ELi16EPKfPKPfEviiT1_lT2_lli.num_vgpr, 8
	.set _ZL44rocblas_set_matrix_zero_if_alpha_zero_kernelILi16ELi16EPKfPKPfEviiT1_lT2_lli.num_agpr, 0
	.set _ZL44rocblas_set_matrix_zero_if_alpha_zero_kernelILi16ELi16EPKfPKPfEviiT1_lT2_lli.numbered_sgpr, 20
	.set _ZL44rocblas_set_matrix_zero_if_alpha_zero_kernelILi16ELi16EPKfPKPfEviiT1_lT2_lli.num_named_barrier, 0
	.set _ZL44rocblas_set_matrix_zero_if_alpha_zero_kernelILi16ELi16EPKfPKPfEviiT1_lT2_lli.private_seg_size, 0
	.set _ZL44rocblas_set_matrix_zero_if_alpha_zero_kernelILi16ELi16EPKfPKPfEviiT1_lT2_lli.uses_vcc, 1
	.set _ZL44rocblas_set_matrix_zero_if_alpha_zero_kernelILi16ELi16EPKfPKPfEviiT1_lT2_lli.uses_flat_scratch, 0
	.set _ZL44rocblas_set_matrix_zero_if_alpha_zero_kernelILi16ELi16EPKfPKPfEviiT1_lT2_lli.has_dyn_sized_stack, 0
	.set _ZL44rocblas_set_matrix_zero_if_alpha_zero_kernelILi16ELi16EPKfPKPfEviiT1_lT2_lli.has_recursion, 0
	.set _ZL44rocblas_set_matrix_zero_if_alpha_zero_kernelILi16ELi16EPKfPKPfEviiT1_lT2_lli.has_indirect_call, 0
	.section	.AMDGPU.csdata,"",@progbits
; Kernel info:
; codeLenInByte = 364
; TotalNumSgprs: 22
; NumVgprs: 8
; ScratchSize: 0
; MemoryBound: 0
; FloatMode: 240
; IeeeMode: 1
; LDSByteSize: 0 bytes/workgroup (compile time only)
; SGPRBlocks: 0
; VGPRBlocks: 0
; NumSGPRsForWavesPerEU: 22
; NumVGPRsForWavesPerEU: 8
; Occupancy: 16
; WaveLimiterHint : 0
; COMPUTE_PGM_RSRC2:SCRATCH_EN: 0
; COMPUTE_PGM_RSRC2:USER_SGPR: 6
; COMPUTE_PGM_RSRC2:TRAP_HANDLER: 0
; COMPUTE_PGM_RSRC2:TGID_X_EN: 1
; COMPUTE_PGM_RSRC2:TGID_Y_EN: 1
; COMPUTE_PGM_RSRC2:TGID_Z_EN: 1
; COMPUTE_PGM_RSRC2:TIDIG_COMP_CNT: 1
	.section	.text._ZL44rocblas_set_matrix_zero_if_alpha_zero_kernelILi16ELi16EfPKPfEviiT1_lT2_lli,"axG",@progbits,_ZL44rocblas_set_matrix_zero_if_alpha_zero_kernelILi16ELi16EfPKPfEviiT1_lT2_lli,comdat
	.globl	_ZL44rocblas_set_matrix_zero_if_alpha_zero_kernelILi16ELi16EfPKPfEviiT1_lT2_lli ; -- Begin function _ZL44rocblas_set_matrix_zero_if_alpha_zero_kernelILi16ELi16EfPKPfEviiT1_lT2_lli
	.p2align	8
	.type	_ZL44rocblas_set_matrix_zero_if_alpha_zero_kernelILi16ELi16EfPKPfEviiT1_lT2_lli,@function
_ZL44rocblas_set_matrix_zero_if_alpha_zero_kernelILi16ELi16EfPKPfEviiT1_lT2_lli: ; @_ZL44rocblas_set_matrix_zero_if_alpha_zero_kernelILi16ELi16EfPKPfEviiT1_lT2_lli
; %bb.0:
	s_load_dwordx4 s[0:3], s[4:5], 0x0
	s_waitcnt lgkmcnt(0)
	v_cmp_neq_f32_e64 s2, s2, 0
	s_and_b32 vcc_lo, exec_lo, s2
	s_cbranch_vccnz .LBB193_4
; %bb.1:
	v_mov_b32_e32 v3, 0
	v_lshl_add_u32 v2, s6, 4, v0
	v_lshl_add_u32 v0, s7, 4, v1
	s_ashr_i32 s3, s0, 31
	s_mov_b32 s2, s0
	v_mov_b32_e32 v1, v3
	s_ashr_i32 s7, s1, 31
	s_mov_b32 s6, s1
	v_cmp_gt_i64_e32 vcc_lo, s[2:3], v[2:3]
	v_cmp_gt_i64_e64 s0, s[6:7], v[0:1]
	s_and_b32 s0, vcc_lo, s0
	s_and_saveexec_b32 s1, s0
	s_cbranch_execz .LBB193_4
; %bb.2:
	s_clause 0x1
	s_load_dwordx4 s[0:3], s[4:5], 0x18
	s_load_dwordx2 s[10:11], s[4:5], 0x28
	s_mov_b32 s9, 0
	s_load_dword s12, s[4:5], 0x3c
	s_lshl_b64 s[4:5], s[8:9], 3
	s_waitcnt lgkmcnt(0)
	v_mad_u64_u32 v[4:5], null, s2, v0, 0
	s_add_u32 s0, s0, s4
	s_addc_u32 s1, s1, s5
	s_lshl_b64 s[10:11], s[10:11], 2
	s_load_dwordx2 s[4:5], s[0:1], 0x0
	s_lshl_b32 s1, s12, 4
	s_mul_i32 s0, s3, s1
	v_mad_u64_u32 v[5:6], null, s3, v0, v[5:6]
	v_lshlrev_b64 v[6:7], 2, v[2:3]
	s_mul_hi_u32 s3, s2, s1
	s_mul_i32 s2, s2, s1
	s_add_i32 s3, s3, s0
	s_lshl_b64 s[2:3], s[2:3], 2
	v_lshlrev_b64 v[4:5], 2, v[4:5]
	v_add_co_u32 v2, vcc_lo, v4, s10
	v_add_co_ci_u32_e64 v4, null, s11, v5, vcc_lo
	v_add_co_u32 v2, vcc_lo, v2, v6
	v_add_co_ci_u32_e64 v5, null, v4, v7, vcc_lo
	s_waitcnt lgkmcnt(0)
	v_add_co_u32 v4, vcc_lo, s4, v2
	v_add_co_ci_u32_e64 v5, null, s5, v5, vcc_lo
.LBB193_3:                              ; =>This Inner Loop Header: Depth=1
	v_add_co_u32 v0, vcc_lo, v0, s1
	v_add_co_ci_u32_e64 v1, null, 0, v1, vcc_lo
	flat_store_dword v[4:5], v3
	v_add_co_u32 v4, s0, v4, s2
	v_cmp_le_i64_e32 vcc_lo, s[6:7], v[0:1]
	v_add_co_ci_u32_e64 v5, null, s3, v5, s0
	s_or_b32 s9, vcc_lo, s9
	s_andn2_b32 exec_lo, exec_lo, s9
	s_cbranch_execnz .LBB193_3
.LBB193_4:
	s_endpgm
	.section	.rodata,"a",@progbits
	.p2align	6, 0x0
	.amdhsa_kernel _ZL44rocblas_set_matrix_zero_if_alpha_zero_kernelILi16ELi16EfPKPfEviiT1_lT2_lli
		.amdhsa_group_segment_fixed_size 0
		.amdhsa_private_segment_fixed_size 0
		.amdhsa_kernarg_size 312
		.amdhsa_user_sgpr_count 6
		.amdhsa_user_sgpr_private_segment_buffer 1
		.amdhsa_user_sgpr_dispatch_ptr 0
		.amdhsa_user_sgpr_queue_ptr 0
		.amdhsa_user_sgpr_kernarg_segment_ptr 1
		.amdhsa_user_sgpr_dispatch_id 0
		.amdhsa_user_sgpr_flat_scratch_init 0
		.amdhsa_user_sgpr_private_segment_size 0
		.amdhsa_wavefront_size32 1
		.amdhsa_uses_dynamic_stack 0
		.amdhsa_system_sgpr_private_segment_wavefront_offset 0
		.amdhsa_system_sgpr_workgroup_id_x 1
		.amdhsa_system_sgpr_workgroup_id_y 1
		.amdhsa_system_sgpr_workgroup_id_z 1
		.amdhsa_system_sgpr_workgroup_info 0
		.amdhsa_system_vgpr_workitem_id 1
		.amdhsa_next_free_vgpr 8
		.amdhsa_next_free_sgpr 13
		.amdhsa_reserve_vcc 1
		.amdhsa_reserve_flat_scratch 0
		.amdhsa_float_round_mode_32 0
		.amdhsa_float_round_mode_16_64 0
		.amdhsa_float_denorm_mode_32 3
		.amdhsa_float_denorm_mode_16_64 3
		.amdhsa_dx10_clamp 1
		.amdhsa_ieee_mode 1
		.amdhsa_fp16_overflow 0
		.amdhsa_workgroup_processor_mode 1
		.amdhsa_memory_ordered 1
		.amdhsa_forward_progress 1
		.amdhsa_shared_vgpr_count 0
		.amdhsa_exception_fp_ieee_invalid_op 0
		.amdhsa_exception_fp_denorm_src 0
		.amdhsa_exception_fp_ieee_div_zero 0
		.amdhsa_exception_fp_ieee_overflow 0
		.amdhsa_exception_fp_ieee_underflow 0
		.amdhsa_exception_fp_ieee_inexact 0
		.amdhsa_exception_int_div_zero 0
	.end_amdhsa_kernel
	.section	.text._ZL44rocblas_set_matrix_zero_if_alpha_zero_kernelILi16ELi16EfPKPfEviiT1_lT2_lli,"axG",@progbits,_ZL44rocblas_set_matrix_zero_if_alpha_zero_kernelILi16ELi16EfPKPfEviiT1_lT2_lli,comdat
.Lfunc_end193:
	.size	_ZL44rocblas_set_matrix_zero_if_alpha_zero_kernelILi16ELi16EfPKPfEviiT1_lT2_lli, .Lfunc_end193-_ZL44rocblas_set_matrix_zero_if_alpha_zero_kernelILi16ELi16EfPKPfEviiT1_lT2_lli
                                        ; -- End function
	.set _ZL44rocblas_set_matrix_zero_if_alpha_zero_kernelILi16ELi16EfPKPfEviiT1_lT2_lli.num_vgpr, 8
	.set _ZL44rocblas_set_matrix_zero_if_alpha_zero_kernelILi16ELi16EfPKPfEviiT1_lT2_lli.num_agpr, 0
	.set _ZL44rocblas_set_matrix_zero_if_alpha_zero_kernelILi16ELi16EfPKPfEviiT1_lT2_lli.numbered_sgpr, 13
	.set _ZL44rocblas_set_matrix_zero_if_alpha_zero_kernelILi16ELi16EfPKPfEviiT1_lT2_lli.num_named_barrier, 0
	.set _ZL44rocblas_set_matrix_zero_if_alpha_zero_kernelILi16ELi16EfPKPfEviiT1_lT2_lli.private_seg_size, 0
	.set _ZL44rocblas_set_matrix_zero_if_alpha_zero_kernelILi16ELi16EfPKPfEviiT1_lT2_lli.uses_vcc, 1
	.set _ZL44rocblas_set_matrix_zero_if_alpha_zero_kernelILi16ELi16EfPKPfEviiT1_lT2_lli.uses_flat_scratch, 0
	.set _ZL44rocblas_set_matrix_zero_if_alpha_zero_kernelILi16ELi16EfPKPfEviiT1_lT2_lli.has_dyn_sized_stack, 0
	.set _ZL44rocblas_set_matrix_zero_if_alpha_zero_kernelILi16ELi16EfPKPfEviiT1_lT2_lli.has_recursion, 0
	.set _ZL44rocblas_set_matrix_zero_if_alpha_zero_kernelILi16ELi16EfPKPfEviiT1_lT2_lli.has_indirect_call, 0
	.section	.AMDGPU.csdata,"",@progbits
; Kernel info:
; codeLenInByte = 320
; TotalNumSgprs: 15
; NumVgprs: 8
; ScratchSize: 0
; MemoryBound: 0
; FloatMode: 240
; IeeeMode: 1
; LDSByteSize: 0 bytes/workgroup (compile time only)
; SGPRBlocks: 0
; VGPRBlocks: 0
; NumSGPRsForWavesPerEU: 15
; NumVGPRsForWavesPerEU: 8
; Occupancy: 16
; WaveLimiterHint : 0
; COMPUTE_PGM_RSRC2:SCRATCH_EN: 0
; COMPUTE_PGM_RSRC2:USER_SGPR: 6
; COMPUTE_PGM_RSRC2:TRAP_HANDLER: 0
; COMPUTE_PGM_RSRC2:TGID_X_EN: 1
; COMPUTE_PGM_RSRC2:TGID_Y_EN: 1
; COMPUTE_PGM_RSRC2:TGID_Z_EN: 1
; COMPUTE_PGM_RSRC2:TIDIG_COMP_CNT: 1
	.section	.text._ZL44rocblas_set_matrix_zero_if_alpha_zero_kernelILi16ELi16EPKfPfEviiT1_lT2_lli,"axG",@progbits,_ZL44rocblas_set_matrix_zero_if_alpha_zero_kernelILi16ELi16EPKfPfEviiT1_lT2_lli,comdat
	.globl	_ZL44rocblas_set_matrix_zero_if_alpha_zero_kernelILi16ELi16EPKfPfEviiT1_lT2_lli ; -- Begin function _ZL44rocblas_set_matrix_zero_if_alpha_zero_kernelILi16ELi16EPKfPfEviiT1_lT2_lli
	.p2align	8
	.type	_ZL44rocblas_set_matrix_zero_if_alpha_zero_kernelILi16ELi16EPKfPfEviiT1_lT2_lli,@function
_ZL44rocblas_set_matrix_zero_if_alpha_zero_kernelILi16ELi16EPKfPfEviiT1_lT2_lli: ; @_ZL44rocblas_set_matrix_zero_if_alpha_zero_kernelILi16ELi16EPKfPfEviiT1_lT2_lli
; %bb.0:
	s_load_dwordx8 s[12:19], s[4:5], 0x8
	s_waitcnt lgkmcnt(0)
	s_mul_i32 s0, s15, s8
	s_mul_hi_u32 s1, s14, s8
	s_add_i32 s1, s1, s0
	s_mul_i32 s0, s14, s8
	s_lshl_b64 s[0:1], s[0:1], 2
	s_add_u32 s0, s12, s0
	s_addc_u32 s1, s13, s1
	s_load_dword s0, s[0:1], 0x0
	s_waitcnt lgkmcnt(0)
	v_cmp_neq_f32_e64 s0, s0, 0
	s_and_b32 vcc_lo, exec_lo, s0
	s_cbranch_vccnz .LBB194_4
; %bb.1:
	s_load_dwordx2 s[0:1], s[4:5], 0x0
	v_mov_b32_e32 v3, 0
	v_lshl_add_u32 v2, s6, 4, v0
	v_lshl_add_u32 v0, s7, 4, v1
	v_mov_b32_e32 v1, v3
	s_waitcnt lgkmcnt(0)
	s_ashr_i32 s7, s0, 31
	s_mov_b32 s6, s0
	s_ashr_i32 s3, s1, 31
	s_mov_b32 s2, s1
	v_cmp_gt_i64_e32 vcc_lo, s[6:7], v[2:3]
	v_cmp_gt_i64_e64 s0, s[2:3], v[0:1]
	s_and_b32 s0, vcc_lo, s0
	s_and_saveexec_b32 s1, s0
	s_cbranch_execz .LBB194_4
; %bb.2:
	s_clause 0x1
	s_load_dwordx2 s[0:1], s[4:5], 0x28
	s_load_dword s6, s[4:5], 0x3c
	v_mad_u64_u32 v[4:5], null, s18, v0, 0
	v_mad_u64_u32 v[5:6], null, s19, v0, v[5:6]
	v_lshlrev_b64 v[6:7], 2, v[2:3]
	v_lshlrev_b64 v[4:5], 2, v[4:5]
	s_waitcnt lgkmcnt(0)
	s_mul_i32 s1, s1, s8
	s_mul_hi_u32 s5, s0, s8
	s_mul_i32 s4, s0, s8
	s_add_i32 s5, s5, s1
	s_lshl_b32 s1, s6, 4
	s_lshl_b64 s[4:5], s[4:5], 2
	s_mul_i32 s0, s19, s1
	v_add_co_u32 v2, vcc_lo, s4, v4
	v_add_co_ci_u32_e64 v4, null, s5, v5, vcc_lo
	s_mul_hi_u32 s4, s18, s1
	v_add_co_u32 v2, vcc_lo, v2, v6
	v_add_co_ci_u32_e64 v5, null, v4, v7, vcc_lo
	s_add_i32 s5, s4, s0
	v_add_co_u32 v4, vcc_lo, s16, v2
	v_add_co_ci_u32_e64 v5, null, s17, v5, vcc_lo
	s_mul_i32 s4, s18, s1
	s_mov_b32 s6, 0
	s_lshl_b64 s[4:5], s[4:5], 2
.LBB194_3:                              ; =>This Inner Loop Header: Depth=1
	v_add_co_u32 v0, vcc_lo, v0, s1
	v_add_co_ci_u32_e64 v1, null, 0, v1, vcc_lo
	global_store_dword v[4:5], v3, off
	v_add_co_u32 v4, s0, v4, s4
	v_cmp_le_i64_e32 vcc_lo, s[2:3], v[0:1]
	v_add_co_ci_u32_e64 v5, null, s5, v5, s0
	s_or_b32 s6, vcc_lo, s6
	s_andn2_b32 exec_lo, exec_lo, s6
	s_cbranch_execnz .LBB194_3
.LBB194_4:
	s_endpgm
	.section	.rodata,"a",@progbits
	.p2align	6, 0x0
	.amdhsa_kernel _ZL44rocblas_set_matrix_zero_if_alpha_zero_kernelILi16ELi16EPKfPfEviiT1_lT2_lli
		.amdhsa_group_segment_fixed_size 0
		.amdhsa_private_segment_fixed_size 0
		.amdhsa_kernarg_size 312
		.amdhsa_user_sgpr_count 6
		.amdhsa_user_sgpr_private_segment_buffer 1
		.amdhsa_user_sgpr_dispatch_ptr 0
		.amdhsa_user_sgpr_queue_ptr 0
		.amdhsa_user_sgpr_kernarg_segment_ptr 1
		.amdhsa_user_sgpr_dispatch_id 0
		.amdhsa_user_sgpr_flat_scratch_init 0
		.amdhsa_user_sgpr_private_segment_size 0
		.amdhsa_wavefront_size32 1
		.amdhsa_uses_dynamic_stack 0
		.amdhsa_system_sgpr_private_segment_wavefront_offset 0
		.amdhsa_system_sgpr_workgroup_id_x 1
		.amdhsa_system_sgpr_workgroup_id_y 1
		.amdhsa_system_sgpr_workgroup_id_z 1
		.amdhsa_system_sgpr_workgroup_info 0
		.amdhsa_system_vgpr_workitem_id 1
		.amdhsa_next_free_vgpr 8
		.amdhsa_next_free_sgpr 20
		.amdhsa_reserve_vcc 1
		.amdhsa_reserve_flat_scratch 0
		.amdhsa_float_round_mode_32 0
		.amdhsa_float_round_mode_16_64 0
		.amdhsa_float_denorm_mode_32 3
		.amdhsa_float_denorm_mode_16_64 3
		.amdhsa_dx10_clamp 1
		.amdhsa_ieee_mode 1
		.amdhsa_fp16_overflow 0
		.amdhsa_workgroup_processor_mode 1
		.amdhsa_memory_ordered 1
		.amdhsa_forward_progress 1
		.amdhsa_shared_vgpr_count 0
		.amdhsa_exception_fp_ieee_invalid_op 0
		.amdhsa_exception_fp_denorm_src 0
		.amdhsa_exception_fp_ieee_div_zero 0
		.amdhsa_exception_fp_ieee_overflow 0
		.amdhsa_exception_fp_ieee_underflow 0
		.amdhsa_exception_fp_ieee_inexact 0
		.amdhsa_exception_int_div_zero 0
	.end_amdhsa_kernel
	.section	.text._ZL44rocblas_set_matrix_zero_if_alpha_zero_kernelILi16ELi16EPKfPfEviiT1_lT2_lli,"axG",@progbits,_ZL44rocblas_set_matrix_zero_if_alpha_zero_kernelILi16ELi16EPKfPfEviiT1_lT2_lli,comdat
.Lfunc_end194:
	.size	_ZL44rocblas_set_matrix_zero_if_alpha_zero_kernelILi16ELi16EPKfPfEviiT1_lT2_lli, .Lfunc_end194-_ZL44rocblas_set_matrix_zero_if_alpha_zero_kernelILi16ELi16EPKfPfEviiT1_lT2_lli
                                        ; -- End function
	.set _ZL44rocblas_set_matrix_zero_if_alpha_zero_kernelILi16ELi16EPKfPfEviiT1_lT2_lli.num_vgpr, 8
	.set _ZL44rocblas_set_matrix_zero_if_alpha_zero_kernelILi16ELi16EPKfPfEviiT1_lT2_lli.num_agpr, 0
	.set _ZL44rocblas_set_matrix_zero_if_alpha_zero_kernelILi16ELi16EPKfPfEviiT1_lT2_lli.numbered_sgpr, 20
	.set _ZL44rocblas_set_matrix_zero_if_alpha_zero_kernelILi16ELi16EPKfPfEviiT1_lT2_lli.num_named_barrier, 0
	.set _ZL44rocblas_set_matrix_zero_if_alpha_zero_kernelILi16ELi16EPKfPfEviiT1_lT2_lli.private_seg_size, 0
	.set _ZL44rocblas_set_matrix_zero_if_alpha_zero_kernelILi16ELi16EPKfPfEviiT1_lT2_lli.uses_vcc, 1
	.set _ZL44rocblas_set_matrix_zero_if_alpha_zero_kernelILi16ELi16EPKfPfEviiT1_lT2_lli.uses_flat_scratch, 0
	.set _ZL44rocblas_set_matrix_zero_if_alpha_zero_kernelILi16ELi16EPKfPfEviiT1_lT2_lli.has_dyn_sized_stack, 0
	.set _ZL44rocblas_set_matrix_zero_if_alpha_zero_kernelILi16ELi16EPKfPfEviiT1_lT2_lli.has_recursion, 0
	.set _ZL44rocblas_set_matrix_zero_if_alpha_zero_kernelILi16ELi16EPKfPfEviiT1_lT2_lli.has_indirect_call, 0
	.section	.AMDGPU.csdata,"",@progbits
; Kernel info:
; codeLenInByte = 356
; TotalNumSgprs: 22
; NumVgprs: 8
; ScratchSize: 0
; MemoryBound: 0
; FloatMode: 240
; IeeeMode: 1
; LDSByteSize: 0 bytes/workgroup (compile time only)
; SGPRBlocks: 0
; VGPRBlocks: 0
; NumSGPRsForWavesPerEU: 22
; NumVGPRsForWavesPerEU: 8
; Occupancy: 16
; WaveLimiterHint : 0
; COMPUTE_PGM_RSRC2:SCRATCH_EN: 0
; COMPUTE_PGM_RSRC2:USER_SGPR: 6
; COMPUTE_PGM_RSRC2:TRAP_HANDLER: 0
; COMPUTE_PGM_RSRC2:TGID_X_EN: 1
; COMPUTE_PGM_RSRC2:TGID_Y_EN: 1
; COMPUTE_PGM_RSRC2:TGID_Z_EN: 1
; COMPUTE_PGM_RSRC2:TIDIG_COMP_CNT: 1
	.section	.text._ZL44rocblas_set_matrix_zero_if_alpha_zero_kernelILi16ELi16EfPfEviiT1_lT2_lli,"axG",@progbits,_ZL44rocblas_set_matrix_zero_if_alpha_zero_kernelILi16ELi16EfPfEviiT1_lT2_lli,comdat
	.globl	_ZL44rocblas_set_matrix_zero_if_alpha_zero_kernelILi16ELi16EfPfEviiT1_lT2_lli ; -- Begin function _ZL44rocblas_set_matrix_zero_if_alpha_zero_kernelILi16ELi16EfPfEviiT1_lT2_lli
	.p2align	8
	.type	_ZL44rocblas_set_matrix_zero_if_alpha_zero_kernelILi16ELi16EfPfEviiT1_lT2_lli,@function
_ZL44rocblas_set_matrix_zero_if_alpha_zero_kernelILi16ELi16EfPfEviiT1_lT2_lli: ; @_ZL44rocblas_set_matrix_zero_if_alpha_zero_kernelILi16ELi16EfPfEviiT1_lT2_lli
; %bb.0:
	s_load_dwordx4 s[0:3], s[4:5], 0x0
	s_waitcnt lgkmcnt(0)
	v_cmp_neq_f32_e64 s2, s2, 0
	s_and_b32 vcc_lo, exec_lo, s2
	s_cbranch_vccnz .LBB195_4
; %bb.1:
	v_mov_b32_e32 v3, 0
	v_lshl_add_u32 v2, s6, 4, v0
	v_lshl_add_u32 v0, s7, 4, v1
	s_ashr_i32 s7, s0, 31
	s_mov_b32 s6, s0
	v_mov_b32_e32 v1, v3
	s_ashr_i32 s3, s1, 31
	s_mov_b32 s2, s1
	v_cmp_gt_i64_e32 vcc_lo, s[6:7], v[2:3]
	v_cmp_gt_i64_e64 s0, s[2:3], v[0:1]
	s_and_b32 s0, vcc_lo, s0
	s_and_saveexec_b32 s1, s0
	s_cbranch_execz .LBB195_4
; %bb.2:
	s_clause 0x2
	s_load_dwordx4 s[12:15], s[4:5], 0x18
	s_load_dwordx2 s[0:1], s[4:5], 0x28
	s_load_dword s6, s[4:5], 0x3c
	s_waitcnt lgkmcnt(0)
	v_mad_u64_u32 v[4:5], null, s14, v0, 0
	s_mul_i32 s1, s1, s8
	s_mul_hi_u32 s5, s0, s8
	s_mul_i32 s4, s0, s8
	s_add_i32 s5, s5, s1
	s_lshl_b32 s1, s6, 4
	s_lshl_b64 s[4:5], s[4:5], 2
	v_mad_u64_u32 v[5:6], null, s15, v0, v[5:6]
	v_lshlrev_b64 v[6:7], 2, v[2:3]
	s_mul_i32 s0, s15, s1
	s_mov_b32 s6, 0
	v_lshlrev_b64 v[4:5], 2, v[4:5]
	v_add_co_u32 v2, vcc_lo, s4, v4
	v_add_co_ci_u32_e64 v4, null, s5, v5, vcc_lo
	s_mul_hi_u32 s4, s14, s1
	v_add_co_u32 v2, vcc_lo, v2, v6
	v_add_co_ci_u32_e64 v5, null, v4, v7, vcc_lo
	s_add_i32 s5, s4, s0
	v_add_co_u32 v4, vcc_lo, s12, v2
	v_add_co_ci_u32_e64 v5, null, s13, v5, vcc_lo
	s_mul_i32 s4, s14, s1
	s_lshl_b64 s[4:5], s[4:5], 2
.LBB195_3:                              ; =>This Inner Loop Header: Depth=1
	v_add_co_u32 v0, vcc_lo, v0, s1
	v_add_co_ci_u32_e64 v1, null, 0, v1, vcc_lo
	global_store_dword v[4:5], v3, off
	v_add_co_u32 v4, s0, v4, s4
	v_cmp_le_i64_e32 vcc_lo, s[2:3], v[0:1]
	v_add_co_ci_u32_e64 v5, null, s5, v5, s0
	s_or_b32 s6, vcc_lo, s6
	s_andn2_b32 exec_lo, exec_lo, s6
	s_cbranch_execnz .LBB195_3
.LBB195_4:
	s_endpgm
	.section	.rodata,"a",@progbits
	.p2align	6, 0x0
	.amdhsa_kernel _ZL44rocblas_set_matrix_zero_if_alpha_zero_kernelILi16ELi16EfPfEviiT1_lT2_lli
		.amdhsa_group_segment_fixed_size 0
		.amdhsa_private_segment_fixed_size 0
		.amdhsa_kernarg_size 312
		.amdhsa_user_sgpr_count 6
		.amdhsa_user_sgpr_private_segment_buffer 1
		.amdhsa_user_sgpr_dispatch_ptr 0
		.amdhsa_user_sgpr_queue_ptr 0
		.amdhsa_user_sgpr_kernarg_segment_ptr 1
		.amdhsa_user_sgpr_dispatch_id 0
		.amdhsa_user_sgpr_flat_scratch_init 0
		.amdhsa_user_sgpr_private_segment_size 0
		.amdhsa_wavefront_size32 1
		.amdhsa_uses_dynamic_stack 0
		.amdhsa_system_sgpr_private_segment_wavefront_offset 0
		.amdhsa_system_sgpr_workgroup_id_x 1
		.amdhsa_system_sgpr_workgroup_id_y 1
		.amdhsa_system_sgpr_workgroup_id_z 1
		.amdhsa_system_sgpr_workgroup_info 0
		.amdhsa_system_vgpr_workitem_id 1
		.amdhsa_next_free_vgpr 8
		.amdhsa_next_free_sgpr 16
		.amdhsa_reserve_vcc 1
		.amdhsa_reserve_flat_scratch 0
		.amdhsa_float_round_mode_32 0
		.amdhsa_float_round_mode_16_64 0
		.amdhsa_float_denorm_mode_32 3
		.amdhsa_float_denorm_mode_16_64 3
		.amdhsa_dx10_clamp 1
		.amdhsa_ieee_mode 1
		.amdhsa_fp16_overflow 0
		.amdhsa_workgroup_processor_mode 1
		.amdhsa_memory_ordered 1
		.amdhsa_forward_progress 1
		.amdhsa_shared_vgpr_count 0
		.amdhsa_exception_fp_ieee_invalid_op 0
		.amdhsa_exception_fp_denorm_src 0
		.amdhsa_exception_fp_ieee_div_zero 0
		.amdhsa_exception_fp_ieee_overflow 0
		.amdhsa_exception_fp_ieee_underflow 0
		.amdhsa_exception_fp_ieee_inexact 0
		.amdhsa_exception_int_div_zero 0
	.end_amdhsa_kernel
	.section	.text._ZL44rocblas_set_matrix_zero_if_alpha_zero_kernelILi16ELi16EfPfEviiT1_lT2_lli,"axG",@progbits,_ZL44rocblas_set_matrix_zero_if_alpha_zero_kernelILi16ELi16EfPfEviiT1_lT2_lli,comdat
.Lfunc_end195:
	.size	_ZL44rocblas_set_matrix_zero_if_alpha_zero_kernelILi16ELi16EfPfEviiT1_lT2_lli, .Lfunc_end195-_ZL44rocblas_set_matrix_zero_if_alpha_zero_kernelILi16ELi16EfPfEviiT1_lT2_lli
                                        ; -- End function
	.set _ZL44rocblas_set_matrix_zero_if_alpha_zero_kernelILi16ELi16EfPfEviiT1_lT2_lli.num_vgpr, 8
	.set _ZL44rocblas_set_matrix_zero_if_alpha_zero_kernelILi16ELi16EfPfEviiT1_lT2_lli.num_agpr, 0
	.set _ZL44rocblas_set_matrix_zero_if_alpha_zero_kernelILi16ELi16EfPfEviiT1_lT2_lli.numbered_sgpr, 16
	.set _ZL44rocblas_set_matrix_zero_if_alpha_zero_kernelILi16ELi16EfPfEviiT1_lT2_lli.num_named_barrier, 0
	.set _ZL44rocblas_set_matrix_zero_if_alpha_zero_kernelILi16ELi16EfPfEviiT1_lT2_lli.private_seg_size, 0
	.set _ZL44rocblas_set_matrix_zero_if_alpha_zero_kernelILi16ELi16EfPfEviiT1_lT2_lli.uses_vcc, 1
	.set _ZL44rocblas_set_matrix_zero_if_alpha_zero_kernelILi16ELi16EfPfEviiT1_lT2_lli.uses_flat_scratch, 0
	.set _ZL44rocblas_set_matrix_zero_if_alpha_zero_kernelILi16ELi16EfPfEviiT1_lT2_lli.has_dyn_sized_stack, 0
	.set _ZL44rocblas_set_matrix_zero_if_alpha_zero_kernelILi16ELi16EfPfEviiT1_lT2_lli.has_recursion, 0
	.set _ZL44rocblas_set_matrix_zero_if_alpha_zero_kernelILi16ELi16EfPfEviiT1_lT2_lli.has_indirect_call, 0
	.section	.AMDGPU.csdata,"",@progbits
; Kernel info:
; codeLenInByte = 312
; TotalNumSgprs: 18
; NumVgprs: 8
; ScratchSize: 0
; MemoryBound: 0
; FloatMode: 240
; IeeeMode: 1
; LDSByteSize: 0 bytes/workgroup (compile time only)
; SGPRBlocks: 0
; VGPRBlocks: 0
; NumSGPRsForWavesPerEU: 18
; NumVGPRsForWavesPerEU: 8
; Occupancy: 16
; WaveLimiterHint : 0
; COMPUTE_PGM_RSRC2:SCRATCH_EN: 0
; COMPUTE_PGM_RSRC2:USER_SGPR: 6
; COMPUTE_PGM_RSRC2:TRAP_HANDLER: 0
; COMPUTE_PGM_RSRC2:TGID_X_EN: 1
; COMPUTE_PGM_RSRC2:TGID_Y_EN: 1
; COMPUTE_PGM_RSRC2:TGID_Z_EN: 1
; COMPUTE_PGM_RSRC2:TIDIG_COMP_CNT: 1
	.section	.text._ZL44rocblas_set_matrix_zero_if_alpha_zero_kernelILi16ELi16EPKdPdEviiT1_lT2_lli,"axG",@progbits,_ZL44rocblas_set_matrix_zero_if_alpha_zero_kernelILi16ELi16EPKdPdEviiT1_lT2_lli,comdat
	.globl	_ZL44rocblas_set_matrix_zero_if_alpha_zero_kernelILi16ELi16EPKdPdEviiT1_lT2_lli ; -- Begin function _ZL44rocblas_set_matrix_zero_if_alpha_zero_kernelILi16ELi16EPKdPdEviiT1_lT2_lli
	.p2align	8
	.type	_ZL44rocblas_set_matrix_zero_if_alpha_zero_kernelILi16ELi16EPKdPdEviiT1_lT2_lli,@function
_ZL44rocblas_set_matrix_zero_if_alpha_zero_kernelILi16ELi16EPKdPdEviiT1_lT2_lli: ; @_ZL44rocblas_set_matrix_zero_if_alpha_zero_kernelILi16ELi16EPKdPdEviiT1_lT2_lli
; %bb.0:
	s_load_dwordx8 s[12:19], s[4:5], 0x8
	s_waitcnt lgkmcnt(0)
	s_mul_i32 s0, s15, s8
	s_mul_hi_u32 s1, s14, s8
	s_add_i32 s1, s1, s0
	s_mul_i32 s0, s14, s8
	s_lshl_b64 s[0:1], s[0:1], 3
	s_add_u32 s0, s12, s0
	s_addc_u32 s1, s13, s1
	s_load_dwordx2 s[0:1], s[0:1], 0x0
	s_waitcnt lgkmcnt(0)
	v_cmp_neq_f64_e64 s0, s[0:1], 0
	s_and_b32 vcc_lo, exec_lo, s0
	s_cbranch_vccnz .LBB196_4
; %bb.1:
	s_load_dwordx2 s[0:1], s[4:5], 0x0
	v_mov_b32_e32 v3, 0
	v_lshl_add_u32 v2, s6, 4, v0
	v_lshl_add_u32 v0, s7, 4, v1
	v_mov_b32_e32 v1, v3
	s_waitcnt lgkmcnt(0)
	s_ashr_i32 s7, s0, 31
	s_mov_b32 s6, s0
	s_ashr_i32 s3, s1, 31
	s_mov_b32 s2, s1
	v_cmp_gt_i64_e32 vcc_lo, s[6:7], v[2:3]
	v_cmp_gt_i64_e64 s0, s[2:3], v[0:1]
	s_and_b32 s0, vcc_lo, s0
	s_and_saveexec_b32 s1, s0
	s_cbranch_execz .LBB196_4
; %bb.2:
	s_clause 0x1
	s_load_dword s0, s[4:5], 0x3c
	s_load_dwordx2 s[4:5], s[4:5], 0x28
	v_mad_u64_u32 v[4:5], null, s18, v0, 0
	s_mov_b32 s6, 0
	v_mad_u64_u32 v[5:6], null, s19, v0, v[5:6]
	v_lshlrev_b64 v[6:7], 3, v[2:3]
	v_lshlrev_b64 v[4:5], 3, v[4:5]
	s_waitcnt lgkmcnt(0)
	s_lshl_b32 s1, s0, 4
	s_mul_i32 s0, s5, s8
	s_mul_hi_u32 s5, s4, s8
	s_mul_i32 s4, s4, s8
	s_add_i32 s5, s5, s0
	s_mul_i32 s0, s19, s1
	s_lshl_b64 s[4:5], s[4:5], 3
	v_add_co_u32 v2, vcc_lo, s4, v4
	v_add_co_ci_u32_e64 v4, null, s5, v5, vcc_lo
	s_mul_hi_u32 s4, s18, s1
	v_add_co_u32 v2, vcc_lo, v2, v6
	v_add_co_ci_u32_e64 v5, null, v4, v7, vcc_lo
	s_add_i32 s5, s4, s0
	v_add_co_u32 v4, vcc_lo, s16, v2
	v_add_co_ci_u32_e64 v5, null, s17, v5, vcc_lo
	v_mov_b32_e32 v2, v3
	s_mul_i32 s4, s18, s1
	s_lshl_b64 s[4:5], s[4:5], 3
.LBB196_3:                              ; =>This Inner Loop Header: Depth=1
	v_add_co_u32 v0, vcc_lo, v0, s1
	v_add_co_ci_u32_e64 v1, null, 0, v1, vcc_lo
	global_store_dwordx2 v[4:5], v[2:3], off
	v_add_co_u32 v4, s0, v4, s4
	v_cmp_le_i64_e32 vcc_lo, s[2:3], v[0:1]
	v_add_co_ci_u32_e64 v5, null, s5, v5, s0
	s_or_b32 s6, vcc_lo, s6
	s_andn2_b32 exec_lo, exec_lo, s6
	s_cbranch_execnz .LBB196_3
.LBB196_4:
	s_endpgm
	.section	.rodata,"a",@progbits
	.p2align	6, 0x0
	.amdhsa_kernel _ZL44rocblas_set_matrix_zero_if_alpha_zero_kernelILi16ELi16EPKdPdEviiT1_lT2_lli
		.amdhsa_group_segment_fixed_size 0
		.amdhsa_private_segment_fixed_size 0
		.amdhsa_kernarg_size 312
		.amdhsa_user_sgpr_count 6
		.amdhsa_user_sgpr_private_segment_buffer 1
		.amdhsa_user_sgpr_dispatch_ptr 0
		.amdhsa_user_sgpr_queue_ptr 0
		.amdhsa_user_sgpr_kernarg_segment_ptr 1
		.amdhsa_user_sgpr_dispatch_id 0
		.amdhsa_user_sgpr_flat_scratch_init 0
		.amdhsa_user_sgpr_private_segment_size 0
		.amdhsa_wavefront_size32 1
		.amdhsa_uses_dynamic_stack 0
		.amdhsa_system_sgpr_private_segment_wavefront_offset 0
		.amdhsa_system_sgpr_workgroup_id_x 1
		.amdhsa_system_sgpr_workgroup_id_y 1
		.amdhsa_system_sgpr_workgroup_id_z 1
		.amdhsa_system_sgpr_workgroup_info 0
		.amdhsa_system_vgpr_workitem_id 1
		.amdhsa_next_free_vgpr 8
		.amdhsa_next_free_sgpr 20
		.amdhsa_reserve_vcc 1
		.amdhsa_reserve_flat_scratch 0
		.amdhsa_float_round_mode_32 0
		.amdhsa_float_round_mode_16_64 0
		.amdhsa_float_denorm_mode_32 3
		.amdhsa_float_denorm_mode_16_64 3
		.amdhsa_dx10_clamp 1
		.amdhsa_ieee_mode 1
		.amdhsa_fp16_overflow 0
		.amdhsa_workgroup_processor_mode 1
		.amdhsa_memory_ordered 1
		.amdhsa_forward_progress 1
		.amdhsa_shared_vgpr_count 0
		.amdhsa_exception_fp_ieee_invalid_op 0
		.amdhsa_exception_fp_denorm_src 0
		.amdhsa_exception_fp_ieee_div_zero 0
		.amdhsa_exception_fp_ieee_overflow 0
		.amdhsa_exception_fp_ieee_underflow 0
		.amdhsa_exception_fp_ieee_inexact 0
		.amdhsa_exception_int_div_zero 0
	.end_amdhsa_kernel
	.section	.text._ZL44rocblas_set_matrix_zero_if_alpha_zero_kernelILi16ELi16EPKdPdEviiT1_lT2_lli,"axG",@progbits,_ZL44rocblas_set_matrix_zero_if_alpha_zero_kernelILi16ELi16EPKdPdEviiT1_lT2_lli,comdat
.Lfunc_end196:
	.size	_ZL44rocblas_set_matrix_zero_if_alpha_zero_kernelILi16ELi16EPKdPdEviiT1_lT2_lli, .Lfunc_end196-_ZL44rocblas_set_matrix_zero_if_alpha_zero_kernelILi16ELi16EPKdPdEviiT1_lT2_lli
                                        ; -- End function
	.set _ZL44rocblas_set_matrix_zero_if_alpha_zero_kernelILi16ELi16EPKdPdEviiT1_lT2_lli.num_vgpr, 8
	.set _ZL44rocblas_set_matrix_zero_if_alpha_zero_kernelILi16ELi16EPKdPdEviiT1_lT2_lli.num_agpr, 0
	.set _ZL44rocblas_set_matrix_zero_if_alpha_zero_kernelILi16ELi16EPKdPdEviiT1_lT2_lli.numbered_sgpr, 20
	.set _ZL44rocblas_set_matrix_zero_if_alpha_zero_kernelILi16ELi16EPKdPdEviiT1_lT2_lli.num_named_barrier, 0
	.set _ZL44rocblas_set_matrix_zero_if_alpha_zero_kernelILi16ELi16EPKdPdEviiT1_lT2_lli.private_seg_size, 0
	.set _ZL44rocblas_set_matrix_zero_if_alpha_zero_kernelILi16ELi16EPKdPdEviiT1_lT2_lli.uses_vcc, 1
	.set _ZL44rocblas_set_matrix_zero_if_alpha_zero_kernelILi16ELi16EPKdPdEviiT1_lT2_lli.uses_flat_scratch, 0
	.set _ZL44rocblas_set_matrix_zero_if_alpha_zero_kernelILi16ELi16EPKdPdEviiT1_lT2_lli.has_dyn_sized_stack, 0
	.set _ZL44rocblas_set_matrix_zero_if_alpha_zero_kernelILi16ELi16EPKdPdEviiT1_lT2_lli.has_recursion, 0
	.set _ZL44rocblas_set_matrix_zero_if_alpha_zero_kernelILi16ELi16EPKdPdEviiT1_lT2_lli.has_indirect_call, 0
	.section	.AMDGPU.csdata,"",@progbits
; Kernel info:
; codeLenInByte = 360
; TotalNumSgprs: 22
; NumVgprs: 8
; ScratchSize: 0
; MemoryBound: 0
; FloatMode: 240
; IeeeMode: 1
; LDSByteSize: 0 bytes/workgroup (compile time only)
; SGPRBlocks: 0
; VGPRBlocks: 0
; NumSGPRsForWavesPerEU: 22
; NumVGPRsForWavesPerEU: 8
; Occupancy: 16
; WaveLimiterHint : 0
; COMPUTE_PGM_RSRC2:SCRATCH_EN: 0
; COMPUTE_PGM_RSRC2:USER_SGPR: 6
; COMPUTE_PGM_RSRC2:TRAP_HANDLER: 0
; COMPUTE_PGM_RSRC2:TGID_X_EN: 1
; COMPUTE_PGM_RSRC2:TGID_Y_EN: 1
; COMPUTE_PGM_RSRC2:TGID_Z_EN: 1
; COMPUTE_PGM_RSRC2:TIDIG_COMP_CNT: 1
	.section	.text._ZL44rocblas_set_matrix_zero_if_alpha_zero_kernelILi16ELi16EdPdEviiT1_lT2_lli,"axG",@progbits,_ZL44rocblas_set_matrix_zero_if_alpha_zero_kernelILi16ELi16EdPdEviiT1_lT2_lli,comdat
	.globl	_ZL44rocblas_set_matrix_zero_if_alpha_zero_kernelILi16ELi16EdPdEviiT1_lT2_lli ; -- Begin function _ZL44rocblas_set_matrix_zero_if_alpha_zero_kernelILi16ELi16EdPdEviiT1_lT2_lli
	.p2align	8
	.type	_ZL44rocblas_set_matrix_zero_if_alpha_zero_kernelILi16ELi16EdPdEviiT1_lT2_lli,@function
_ZL44rocblas_set_matrix_zero_if_alpha_zero_kernelILi16ELi16EdPdEviiT1_lT2_lli: ; @_ZL44rocblas_set_matrix_zero_if_alpha_zero_kernelILi16ELi16EdPdEviiT1_lT2_lli
; %bb.0:
	s_load_dwordx2 s[0:1], s[4:5], 0x8
	s_waitcnt lgkmcnt(0)
	v_cmp_neq_f64_e64 s0, s[0:1], 0
	s_and_b32 vcc_lo, exec_lo, s0
	s_cbranch_vccnz .LBB197_4
; %bb.1:
	s_load_dwordx2 s[0:1], s[4:5], 0x0
	v_mov_b32_e32 v3, 0
	v_lshl_add_u32 v2, s6, 4, v0
	v_lshl_add_u32 v0, s7, 4, v1
	v_mov_b32_e32 v1, v3
	s_waitcnt lgkmcnt(0)
	s_ashr_i32 s3, s0, 31
	s_mov_b32 s2, s0
	s_ashr_i32 s7, s1, 31
	s_mov_b32 s6, s1
	v_cmp_gt_i64_e32 vcc_lo, s[2:3], v[2:3]
	v_cmp_gt_i64_e64 s0, s[6:7], v[0:1]
	s_and_b32 s0, vcc_lo, s0
	s_and_saveexec_b32 s1, s0
	s_cbranch_execz .LBB197_4
; %bb.2:
	s_clause 0x2
	s_load_dwordx4 s[0:3], s[4:5], 0x18
	s_load_dwordx2 s[10:11], s[4:5], 0x28
	s_load_dword s4, s[4:5], 0x3c
	s_waitcnt lgkmcnt(0)
	v_mad_u64_u32 v[4:5], null, s2, v0, 0
	s_mul_i32 s5, s11, s8
	s_mul_hi_u32 s9, s10, s8
	s_mul_i32 s8, s10, s8
	s_add_i32 s9, s9, s5
	s_lshl_b32 s4, s4, 4
	s_lshl_b64 s[8:9], s[8:9], 3
	v_mad_u64_u32 v[5:6], null, s3, v0, v[5:6]
	v_lshlrev_b64 v[6:7], 3, v[2:3]
	s_mul_i32 s3, s3, s4
	s_mul_hi_u32 s5, s2, s4
	s_mul_i32 s2, s2, s4
	s_add_i32 s3, s5, s3
	s_lshl_b64 s[2:3], s[2:3], 3
	v_lshlrev_b64 v[4:5], 3, v[4:5]
	v_add_co_u32 v2, vcc_lo, s8, v4
	v_add_co_ci_u32_e64 v4, null, s9, v5, vcc_lo
	v_add_co_u32 v2, vcc_lo, v2, v6
	v_add_co_ci_u32_e64 v5, null, v4, v7, vcc_lo
	;; [unrolled: 2-line block ×3, first 2 shown]
	v_mov_b32_e32 v2, v3
	s_mov_b32 s1, 0
.LBB197_3:                              ; =>This Inner Loop Header: Depth=1
	v_add_co_u32 v0, vcc_lo, v0, s4
	v_add_co_ci_u32_e64 v1, null, 0, v1, vcc_lo
	global_store_dwordx2 v[4:5], v[2:3], off
	v_add_co_u32 v4, s0, v4, s2
	v_cmp_le_i64_e32 vcc_lo, s[6:7], v[0:1]
	v_add_co_ci_u32_e64 v5, null, s3, v5, s0
	s_or_b32 s1, vcc_lo, s1
	s_andn2_b32 exec_lo, exec_lo, s1
	s_cbranch_execnz .LBB197_3
.LBB197_4:
	s_endpgm
	.section	.rodata,"a",@progbits
	.p2align	6, 0x0
	.amdhsa_kernel _ZL44rocblas_set_matrix_zero_if_alpha_zero_kernelILi16ELi16EdPdEviiT1_lT2_lli
		.amdhsa_group_segment_fixed_size 0
		.amdhsa_private_segment_fixed_size 0
		.amdhsa_kernarg_size 312
		.amdhsa_user_sgpr_count 6
		.amdhsa_user_sgpr_private_segment_buffer 1
		.amdhsa_user_sgpr_dispatch_ptr 0
		.amdhsa_user_sgpr_queue_ptr 0
		.amdhsa_user_sgpr_kernarg_segment_ptr 1
		.amdhsa_user_sgpr_dispatch_id 0
		.amdhsa_user_sgpr_flat_scratch_init 0
		.amdhsa_user_sgpr_private_segment_size 0
		.amdhsa_wavefront_size32 1
		.amdhsa_uses_dynamic_stack 0
		.amdhsa_system_sgpr_private_segment_wavefront_offset 0
		.amdhsa_system_sgpr_workgroup_id_x 1
		.amdhsa_system_sgpr_workgroup_id_y 1
		.amdhsa_system_sgpr_workgroup_id_z 1
		.amdhsa_system_sgpr_workgroup_info 0
		.amdhsa_system_vgpr_workitem_id 1
		.amdhsa_next_free_vgpr 8
		.amdhsa_next_free_sgpr 12
		.amdhsa_reserve_vcc 1
		.amdhsa_reserve_flat_scratch 0
		.amdhsa_float_round_mode_32 0
		.amdhsa_float_round_mode_16_64 0
		.amdhsa_float_denorm_mode_32 3
		.amdhsa_float_denorm_mode_16_64 3
		.amdhsa_dx10_clamp 1
		.amdhsa_ieee_mode 1
		.amdhsa_fp16_overflow 0
		.amdhsa_workgroup_processor_mode 1
		.amdhsa_memory_ordered 1
		.amdhsa_forward_progress 1
		.amdhsa_shared_vgpr_count 0
		.amdhsa_exception_fp_ieee_invalid_op 0
		.amdhsa_exception_fp_denorm_src 0
		.amdhsa_exception_fp_ieee_div_zero 0
		.amdhsa_exception_fp_ieee_overflow 0
		.amdhsa_exception_fp_ieee_underflow 0
		.amdhsa_exception_fp_ieee_inexact 0
		.amdhsa_exception_int_div_zero 0
	.end_amdhsa_kernel
	.section	.text._ZL44rocblas_set_matrix_zero_if_alpha_zero_kernelILi16ELi16EdPdEviiT1_lT2_lli,"axG",@progbits,_ZL44rocblas_set_matrix_zero_if_alpha_zero_kernelILi16ELi16EdPdEviiT1_lT2_lli,comdat
.Lfunc_end197:
	.size	_ZL44rocblas_set_matrix_zero_if_alpha_zero_kernelILi16ELi16EdPdEviiT1_lT2_lli, .Lfunc_end197-_ZL44rocblas_set_matrix_zero_if_alpha_zero_kernelILi16ELi16EdPdEviiT1_lT2_lli
                                        ; -- End function
	.set _ZL44rocblas_set_matrix_zero_if_alpha_zero_kernelILi16ELi16EdPdEviiT1_lT2_lli.num_vgpr, 8
	.set _ZL44rocblas_set_matrix_zero_if_alpha_zero_kernelILi16ELi16EdPdEviiT1_lT2_lli.num_agpr, 0
	.set _ZL44rocblas_set_matrix_zero_if_alpha_zero_kernelILi16ELi16EdPdEviiT1_lT2_lli.numbered_sgpr, 12
	.set _ZL44rocblas_set_matrix_zero_if_alpha_zero_kernelILi16ELi16EdPdEviiT1_lT2_lli.num_named_barrier, 0
	.set _ZL44rocblas_set_matrix_zero_if_alpha_zero_kernelILi16ELi16EdPdEviiT1_lT2_lli.private_seg_size, 0
	.set _ZL44rocblas_set_matrix_zero_if_alpha_zero_kernelILi16ELi16EdPdEviiT1_lT2_lli.uses_vcc, 1
	.set _ZL44rocblas_set_matrix_zero_if_alpha_zero_kernelILi16ELi16EdPdEviiT1_lT2_lli.uses_flat_scratch, 0
	.set _ZL44rocblas_set_matrix_zero_if_alpha_zero_kernelILi16ELi16EdPdEviiT1_lT2_lli.has_dyn_sized_stack, 0
	.set _ZL44rocblas_set_matrix_zero_if_alpha_zero_kernelILi16ELi16EdPdEviiT1_lT2_lli.has_recursion, 0
	.set _ZL44rocblas_set_matrix_zero_if_alpha_zero_kernelILi16ELi16EdPdEviiT1_lT2_lli.has_indirect_call, 0
	.section	.AMDGPU.csdata,"",@progbits
; Kernel info:
; codeLenInByte = 328
; TotalNumSgprs: 14
; NumVgprs: 8
; ScratchSize: 0
; MemoryBound: 0
; FloatMode: 240
; IeeeMode: 1
; LDSByteSize: 0 bytes/workgroup (compile time only)
; SGPRBlocks: 0
; VGPRBlocks: 0
; NumSGPRsForWavesPerEU: 14
; NumVGPRsForWavesPerEU: 8
; Occupancy: 16
; WaveLimiterHint : 0
; COMPUTE_PGM_RSRC2:SCRATCH_EN: 0
; COMPUTE_PGM_RSRC2:USER_SGPR: 6
; COMPUTE_PGM_RSRC2:TRAP_HANDLER: 0
; COMPUTE_PGM_RSRC2:TGID_X_EN: 1
; COMPUTE_PGM_RSRC2:TGID_Y_EN: 1
; COMPUTE_PGM_RSRC2:TGID_Z_EN: 1
; COMPUTE_PGM_RSRC2:TIDIG_COMP_CNT: 1
	.section	.text._ZL44rocblas_set_matrix_zero_if_alpha_zero_kernelILi16ELi16EPKdPKPdEviiT1_lT2_lli,"axG",@progbits,_ZL44rocblas_set_matrix_zero_if_alpha_zero_kernelILi16ELi16EPKdPKPdEviiT1_lT2_lli,comdat
	.globl	_ZL44rocblas_set_matrix_zero_if_alpha_zero_kernelILi16ELi16EPKdPKPdEviiT1_lT2_lli ; -- Begin function _ZL44rocblas_set_matrix_zero_if_alpha_zero_kernelILi16ELi16EPKdPKPdEviiT1_lT2_lli
	.p2align	8
	.type	_ZL44rocblas_set_matrix_zero_if_alpha_zero_kernelILi16ELi16EPKdPKPdEviiT1_lT2_lli,@function
_ZL44rocblas_set_matrix_zero_if_alpha_zero_kernelILi16ELi16EPKdPKPdEviiT1_lT2_lli: ; @_ZL44rocblas_set_matrix_zero_if_alpha_zero_kernelILi16ELi16EPKdPKPdEviiT1_lT2_lli
; %bb.0:
	s_load_dwordx8 s[12:19], s[4:5], 0x8
	s_waitcnt lgkmcnt(0)
	s_mul_i32 s0, s15, s8
	s_mul_hi_u32 s1, s14, s8
	s_add_i32 s1, s1, s0
	s_mul_i32 s0, s14, s8
	s_lshl_b64 s[0:1], s[0:1], 3
	s_add_u32 s0, s12, s0
	s_addc_u32 s1, s13, s1
	s_load_dwordx2 s[0:1], s[0:1], 0x0
	s_waitcnt lgkmcnt(0)
	v_cmp_neq_f64_e64 s0, s[0:1], 0
	s_and_b32 vcc_lo, exec_lo, s0
	s_cbranch_vccnz .LBB198_4
; %bb.1:
	s_load_dwordx2 s[0:1], s[4:5], 0x0
	v_mov_b32_e32 v3, 0
	v_lshl_add_u32 v2, s6, 4, v0
	v_lshl_add_u32 v0, s7, 4, v1
	v_mov_b32_e32 v1, v3
	s_waitcnt lgkmcnt(0)
	s_ashr_i32 s7, s0, 31
	s_mov_b32 s6, s0
	s_ashr_i32 s3, s1, 31
	s_mov_b32 s2, s1
	v_cmp_gt_i64_e32 vcc_lo, s[6:7], v[2:3]
	v_cmp_gt_i64_e64 s0, s[2:3], v[0:1]
	s_and_b32 s0, vcc_lo, s0
	s_and_saveexec_b32 s1, s0
	s_cbranch_execz .LBB198_4
; %bb.2:
	v_mad_u64_u32 v[4:5], null, s18, v0, 0
	s_clause 0x1
	s_load_dword s10, s[4:5], 0x3c
	s_load_dwordx2 s[4:5], s[4:5], 0x28
	s_mov_b32 s9, 0
	s_lshl_b64 s[0:1], s[8:9], 3
	s_add_u32 s0, s16, s0
	v_mad_u64_u32 v[5:6], null, s19, v0, v[5:6]
	s_addc_u32 s1, s17, s1
	v_lshlrev_b64 v[6:7], 3, v[2:3]
	s_load_dwordx2 s[6:7], s[0:1], 0x0
	v_lshlrev_b64 v[4:5], 3, v[4:5]
	s_waitcnt lgkmcnt(0)
	s_lshl_b32 s1, s10, 4
	s_lshl_b64 s[4:5], s[4:5], 3
	s_mul_i32 s0, s19, s1
	v_add_co_u32 v2, vcc_lo, v4, s4
	v_add_co_ci_u32_e64 v4, null, s5, v5, vcc_lo
	s_mul_hi_u32 s4, s18, s1
	v_add_co_u32 v2, vcc_lo, v2, v6
	v_add_co_ci_u32_e64 v5, null, v4, v7, vcc_lo
	s_add_i32 s5, s4, s0
	v_add_co_u32 v4, vcc_lo, s6, v2
	v_add_co_ci_u32_e64 v5, null, s7, v5, vcc_lo
	v_mov_b32_e32 v2, v3
	s_mul_i32 s4, s18, s1
	s_lshl_b64 s[4:5], s[4:5], 3
.LBB198_3:                              ; =>This Inner Loop Header: Depth=1
	v_add_co_u32 v0, vcc_lo, v0, s1
	v_add_co_ci_u32_e64 v1, null, 0, v1, vcc_lo
	flat_store_dwordx2 v[4:5], v[2:3]
	v_add_co_u32 v4, s0, v4, s4
	v_cmp_le_i64_e32 vcc_lo, s[2:3], v[0:1]
	v_add_co_ci_u32_e64 v5, null, s5, v5, s0
	s_or_b32 s9, vcc_lo, s9
	s_andn2_b32 exec_lo, exec_lo, s9
	s_cbranch_execnz .LBB198_3
.LBB198_4:
	s_endpgm
	.section	.rodata,"a",@progbits
	.p2align	6, 0x0
	.amdhsa_kernel _ZL44rocblas_set_matrix_zero_if_alpha_zero_kernelILi16ELi16EPKdPKPdEviiT1_lT2_lli
		.amdhsa_group_segment_fixed_size 0
		.amdhsa_private_segment_fixed_size 0
		.amdhsa_kernarg_size 312
		.amdhsa_user_sgpr_count 6
		.amdhsa_user_sgpr_private_segment_buffer 1
		.amdhsa_user_sgpr_dispatch_ptr 0
		.amdhsa_user_sgpr_queue_ptr 0
		.amdhsa_user_sgpr_kernarg_segment_ptr 1
		.amdhsa_user_sgpr_dispatch_id 0
		.amdhsa_user_sgpr_flat_scratch_init 0
		.amdhsa_user_sgpr_private_segment_size 0
		.amdhsa_wavefront_size32 1
		.amdhsa_uses_dynamic_stack 0
		.amdhsa_system_sgpr_private_segment_wavefront_offset 0
		.amdhsa_system_sgpr_workgroup_id_x 1
		.amdhsa_system_sgpr_workgroup_id_y 1
		.amdhsa_system_sgpr_workgroup_id_z 1
		.amdhsa_system_sgpr_workgroup_info 0
		.amdhsa_system_vgpr_workitem_id 1
		.amdhsa_next_free_vgpr 8
		.amdhsa_next_free_sgpr 20
		.amdhsa_reserve_vcc 1
		.amdhsa_reserve_flat_scratch 0
		.amdhsa_float_round_mode_32 0
		.amdhsa_float_round_mode_16_64 0
		.amdhsa_float_denorm_mode_32 3
		.amdhsa_float_denorm_mode_16_64 3
		.amdhsa_dx10_clamp 1
		.amdhsa_ieee_mode 1
		.amdhsa_fp16_overflow 0
		.amdhsa_workgroup_processor_mode 1
		.amdhsa_memory_ordered 1
		.amdhsa_forward_progress 1
		.amdhsa_shared_vgpr_count 0
		.amdhsa_exception_fp_ieee_invalid_op 0
		.amdhsa_exception_fp_denorm_src 0
		.amdhsa_exception_fp_ieee_div_zero 0
		.amdhsa_exception_fp_ieee_overflow 0
		.amdhsa_exception_fp_ieee_underflow 0
		.amdhsa_exception_fp_ieee_inexact 0
		.amdhsa_exception_int_div_zero 0
	.end_amdhsa_kernel
	.section	.text._ZL44rocblas_set_matrix_zero_if_alpha_zero_kernelILi16ELi16EPKdPKPdEviiT1_lT2_lli,"axG",@progbits,_ZL44rocblas_set_matrix_zero_if_alpha_zero_kernelILi16ELi16EPKdPKPdEviiT1_lT2_lli,comdat
.Lfunc_end198:
	.size	_ZL44rocblas_set_matrix_zero_if_alpha_zero_kernelILi16ELi16EPKdPKPdEviiT1_lT2_lli, .Lfunc_end198-_ZL44rocblas_set_matrix_zero_if_alpha_zero_kernelILi16ELi16EPKdPKPdEviiT1_lT2_lli
                                        ; -- End function
	.set _ZL44rocblas_set_matrix_zero_if_alpha_zero_kernelILi16ELi16EPKdPKPdEviiT1_lT2_lli.num_vgpr, 8
	.set _ZL44rocblas_set_matrix_zero_if_alpha_zero_kernelILi16ELi16EPKdPKPdEviiT1_lT2_lli.num_agpr, 0
	.set _ZL44rocblas_set_matrix_zero_if_alpha_zero_kernelILi16ELi16EPKdPKPdEviiT1_lT2_lli.numbered_sgpr, 20
	.set _ZL44rocblas_set_matrix_zero_if_alpha_zero_kernelILi16ELi16EPKdPKPdEviiT1_lT2_lli.num_named_barrier, 0
	.set _ZL44rocblas_set_matrix_zero_if_alpha_zero_kernelILi16ELi16EPKdPKPdEviiT1_lT2_lli.private_seg_size, 0
	.set _ZL44rocblas_set_matrix_zero_if_alpha_zero_kernelILi16ELi16EPKdPKPdEviiT1_lT2_lli.uses_vcc, 1
	.set _ZL44rocblas_set_matrix_zero_if_alpha_zero_kernelILi16ELi16EPKdPKPdEviiT1_lT2_lli.uses_flat_scratch, 0
	.set _ZL44rocblas_set_matrix_zero_if_alpha_zero_kernelILi16ELi16EPKdPKPdEviiT1_lT2_lli.has_dyn_sized_stack, 0
	.set _ZL44rocblas_set_matrix_zero_if_alpha_zero_kernelILi16ELi16EPKdPKPdEviiT1_lT2_lli.has_recursion, 0
	.set _ZL44rocblas_set_matrix_zero_if_alpha_zero_kernelILi16ELi16EPKdPKPdEviiT1_lT2_lli.has_indirect_call, 0
	.section	.AMDGPU.csdata,"",@progbits
; Kernel info:
; codeLenInByte = 364
; TotalNumSgprs: 22
; NumVgprs: 8
; ScratchSize: 0
; MemoryBound: 0
; FloatMode: 240
; IeeeMode: 1
; LDSByteSize: 0 bytes/workgroup (compile time only)
; SGPRBlocks: 0
; VGPRBlocks: 0
; NumSGPRsForWavesPerEU: 22
; NumVGPRsForWavesPerEU: 8
; Occupancy: 16
; WaveLimiterHint : 0
; COMPUTE_PGM_RSRC2:SCRATCH_EN: 0
; COMPUTE_PGM_RSRC2:USER_SGPR: 6
; COMPUTE_PGM_RSRC2:TRAP_HANDLER: 0
; COMPUTE_PGM_RSRC2:TGID_X_EN: 1
; COMPUTE_PGM_RSRC2:TGID_Y_EN: 1
; COMPUTE_PGM_RSRC2:TGID_Z_EN: 1
; COMPUTE_PGM_RSRC2:TIDIG_COMP_CNT: 1
	.section	.text._ZL44rocblas_set_matrix_zero_if_alpha_zero_kernelILi16ELi16EdPKPdEviiT1_lT2_lli,"axG",@progbits,_ZL44rocblas_set_matrix_zero_if_alpha_zero_kernelILi16ELi16EdPKPdEviiT1_lT2_lli,comdat
	.globl	_ZL44rocblas_set_matrix_zero_if_alpha_zero_kernelILi16ELi16EdPKPdEviiT1_lT2_lli ; -- Begin function _ZL44rocblas_set_matrix_zero_if_alpha_zero_kernelILi16ELi16EdPKPdEviiT1_lT2_lli
	.p2align	8
	.type	_ZL44rocblas_set_matrix_zero_if_alpha_zero_kernelILi16ELi16EdPKPdEviiT1_lT2_lli,@function
_ZL44rocblas_set_matrix_zero_if_alpha_zero_kernelILi16ELi16EdPKPdEviiT1_lT2_lli: ; @_ZL44rocblas_set_matrix_zero_if_alpha_zero_kernelILi16ELi16EdPKPdEviiT1_lT2_lli
; %bb.0:
	s_load_dwordx2 s[0:1], s[4:5], 0x8
	s_waitcnt lgkmcnt(0)
	v_cmp_neq_f64_e64 s0, s[0:1], 0
	s_and_b32 vcc_lo, exec_lo, s0
	s_cbranch_vccnz .LBB199_4
; %bb.1:
	s_load_dwordx2 s[0:1], s[4:5], 0x0
	v_mov_b32_e32 v3, 0
	v_lshl_add_u32 v2, s6, 4, v0
	v_lshl_add_u32 v0, s7, 4, v1
	v_mov_b32_e32 v1, v3
	s_waitcnt lgkmcnt(0)
	s_ashr_i32 s3, s0, 31
	s_mov_b32 s2, s0
	s_ashr_i32 s7, s1, 31
	s_mov_b32 s6, s1
	v_cmp_gt_i64_e32 vcc_lo, s[2:3], v[2:3]
	v_cmp_gt_i64_e64 s0, s[6:7], v[0:1]
	s_and_b32 s0, vcc_lo, s0
	s_and_saveexec_b32 s1, s0
	s_cbranch_execz .LBB199_4
; %bb.2:
	s_clause 0x1
	s_load_dwordx4 s[0:3], s[4:5], 0x18
	s_load_dwordx2 s[10:11], s[4:5], 0x28
	s_mov_b32 s9, 0
	s_load_dword s12, s[4:5], 0x3c
	s_lshl_b64 s[4:5], s[8:9], 3
	s_waitcnt lgkmcnt(0)
	v_mad_u64_u32 v[4:5], null, s2, v0, 0
	s_add_u32 s0, s0, s4
	s_addc_u32 s1, s1, s5
	s_lshl_b64 s[10:11], s[10:11], 3
	s_load_dwordx2 s[4:5], s[0:1], 0x0
	s_lshl_b32 s1, s12, 4
	s_mul_i32 s0, s3, s1
	v_mad_u64_u32 v[5:6], null, s3, v0, v[5:6]
	v_lshlrev_b64 v[6:7], 3, v[2:3]
	s_mul_hi_u32 s3, s2, s1
	s_mul_i32 s2, s2, s1
	s_add_i32 s3, s3, s0
	s_lshl_b64 s[2:3], s[2:3], 3
	v_lshlrev_b64 v[4:5], 3, v[4:5]
	v_add_co_u32 v2, vcc_lo, v4, s10
	v_add_co_ci_u32_e64 v4, null, s11, v5, vcc_lo
	v_add_co_u32 v2, vcc_lo, v2, v6
	v_add_co_ci_u32_e64 v5, null, v4, v7, vcc_lo
	s_waitcnt lgkmcnt(0)
	v_add_co_u32 v4, vcc_lo, s4, v2
	v_add_co_ci_u32_e64 v5, null, s5, v5, vcc_lo
	v_mov_b32_e32 v2, v3
.LBB199_3:                              ; =>This Inner Loop Header: Depth=1
	v_add_co_u32 v0, vcc_lo, v0, s1
	v_add_co_ci_u32_e64 v1, null, 0, v1, vcc_lo
	flat_store_dwordx2 v[4:5], v[2:3]
	v_add_co_u32 v4, s0, v4, s2
	v_cmp_le_i64_e32 vcc_lo, s[6:7], v[0:1]
	v_add_co_ci_u32_e64 v5, null, s3, v5, s0
	s_or_b32 s9, vcc_lo, s9
	s_andn2_b32 exec_lo, exec_lo, s9
	s_cbranch_execnz .LBB199_3
.LBB199_4:
	s_endpgm
	.section	.rodata,"a",@progbits
	.p2align	6, 0x0
	.amdhsa_kernel _ZL44rocblas_set_matrix_zero_if_alpha_zero_kernelILi16ELi16EdPKPdEviiT1_lT2_lli
		.amdhsa_group_segment_fixed_size 0
		.amdhsa_private_segment_fixed_size 0
		.amdhsa_kernarg_size 312
		.amdhsa_user_sgpr_count 6
		.amdhsa_user_sgpr_private_segment_buffer 1
		.amdhsa_user_sgpr_dispatch_ptr 0
		.amdhsa_user_sgpr_queue_ptr 0
		.amdhsa_user_sgpr_kernarg_segment_ptr 1
		.amdhsa_user_sgpr_dispatch_id 0
		.amdhsa_user_sgpr_flat_scratch_init 0
		.amdhsa_user_sgpr_private_segment_size 0
		.amdhsa_wavefront_size32 1
		.amdhsa_uses_dynamic_stack 0
		.amdhsa_system_sgpr_private_segment_wavefront_offset 0
		.amdhsa_system_sgpr_workgroup_id_x 1
		.amdhsa_system_sgpr_workgroup_id_y 1
		.amdhsa_system_sgpr_workgroup_id_z 1
		.amdhsa_system_sgpr_workgroup_info 0
		.amdhsa_system_vgpr_workitem_id 1
		.amdhsa_next_free_vgpr 8
		.amdhsa_next_free_sgpr 13
		.amdhsa_reserve_vcc 1
		.amdhsa_reserve_flat_scratch 0
		.amdhsa_float_round_mode_32 0
		.amdhsa_float_round_mode_16_64 0
		.amdhsa_float_denorm_mode_32 3
		.amdhsa_float_denorm_mode_16_64 3
		.amdhsa_dx10_clamp 1
		.amdhsa_ieee_mode 1
		.amdhsa_fp16_overflow 0
		.amdhsa_workgroup_processor_mode 1
		.amdhsa_memory_ordered 1
		.amdhsa_forward_progress 1
		.amdhsa_shared_vgpr_count 0
		.amdhsa_exception_fp_ieee_invalid_op 0
		.amdhsa_exception_fp_denorm_src 0
		.amdhsa_exception_fp_ieee_div_zero 0
		.amdhsa_exception_fp_ieee_overflow 0
		.amdhsa_exception_fp_ieee_underflow 0
		.amdhsa_exception_fp_ieee_inexact 0
		.amdhsa_exception_int_div_zero 0
	.end_amdhsa_kernel
	.section	.text._ZL44rocblas_set_matrix_zero_if_alpha_zero_kernelILi16ELi16EdPKPdEviiT1_lT2_lli,"axG",@progbits,_ZL44rocblas_set_matrix_zero_if_alpha_zero_kernelILi16ELi16EdPKPdEviiT1_lT2_lli,comdat
.Lfunc_end199:
	.size	_ZL44rocblas_set_matrix_zero_if_alpha_zero_kernelILi16ELi16EdPKPdEviiT1_lT2_lli, .Lfunc_end199-_ZL44rocblas_set_matrix_zero_if_alpha_zero_kernelILi16ELi16EdPKPdEviiT1_lT2_lli
                                        ; -- End function
	.set _ZL44rocblas_set_matrix_zero_if_alpha_zero_kernelILi16ELi16EdPKPdEviiT1_lT2_lli.num_vgpr, 8
	.set _ZL44rocblas_set_matrix_zero_if_alpha_zero_kernelILi16ELi16EdPKPdEviiT1_lT2_lli.num_agpr, 0
	.set _ZL44rocblas_set_matrix_zero_if_alpha_zero_kernelILi16ELi16EdPKPdEviiT1_lT2_lli.numbered_sgpr, 13
	.set _ZL44rocblas_set_matrix_zero_if_alpha_zero_kernelILi16ELi16EdPKPdEviiT1_lT2_lli.num_named_barrier, 0
	.set _ZL44rocblas_set_matrix_zero_if_alpha_zero_kernelILi16ELi16EdPKPdEviiT1_lT2_lli.private_seg_size, 0
	.set _ZL44rocblas_set_matrix_zero_if_alpha_zero_kernelILi16ELi16EdPKPdEviiT1_lT2_lli.uses_vcc, 1
	.set _ZL44rocblas_set_matrix_zero_if_alpha_zero_kernelILi16ELi16EdPKPdEviiT1_lT2_lli.uses_flat_scratch, 0
	.set _ZL44rocblas_set_matrix_zero_if_alpha_zero_kernelILi16ELi16EdPKPdEviiT1_lT2_lli.has_dyn_sized_stack, 0
	.set _ZL44rocblas_set_matrix_zero_if_alpha_zero_kernelILi16ELi16EdPKPdEviiT1_lT2_lli.has_recursion, 0
	.set _ZL44rocblas_set_matrix_zero_if_alpha_zero_kernelILi16ELi16EdPKPdEviiT1_lT2_lli.has_indirect_call, 0
	.section	.AMDGPU.csdata,"",@progbits
; Kernel info:
; codeLenInByte = 336
; TotalNumSgprs: 15
; NumVgprs: 8
; ScratchSize: 0
; MemoryBound: 0
; FloatMode: 240
; IeeeMode: 1
; LDSByteSize: 0 bytes/workgroup (compile time only)
; SGPRBlocks: 0
; VGPRBlocks: 0
; NumSGPRsForWavesPerEU: 15
; NumVGPRsForWavesPerEU: 8
; Occupancy: 16
; WaveLimiterHint : 0
; COMPUTE_PGM_RSRC2:SCRATCH_EN: 0
; COMPUTE_PGM_RSRC2:USER_SGPR: 6
; COMPUTE_PGM_RSRC2:TRAP_HANDLER: 0
; COMPUTE_PGM_RSRC2:TGID_X_EN: 1
; COMPUTE_PGM_RSRC2:TGID_Y_EN: 1
; COMPUTE_PGM_RSRC2:TGID_Z_EN: 1
; COMPUTE_PGM_RSRC2:TIDIG_COMP_CNT: 1
	.section	.text._ZL44rocblas_set_matrix_zero_if_alpha_zero_kernelILi16ELi16EPK19rocblas_complex_numIfEPKPS1_EviiT1_lT2_lli,"axG",@progbits,_ZL44rocblas_set_matrix_zero_if_alpha_zero_kernelILi16ELi16EPK19rocblas_complex_numIfEPKPS1_EviiT1_lT2_lli,comdat
	.globl	_ZL44rocblas_set_matrix_zero_if_alpha_zero_kernelILi16ELi16EPK19rocblas_complex_numIfEPKPS1_EviiT1_lT2_lli ; -- Begin function _ZL44rocblas_set_matrix_zero_if_alpha_zero_kernelILi16ELi16EPK19rocblas_complex_numIfEPKPS1_EviiT1_lT2_lli
	.p2align	8
	.type	_ZL44rocblas_set_matrix_zero_if_alpha_zero_kernelILi16ELi16EPK19rocblas_complex_numIfEPKPS1_EviiT1_lT2_lli,@function
_ZL44rocblas_set_matrix_zero_if_alpha_zero_kernelILi16ELi16EPK19rocblas_complex_numIfEPKPS1_EviiT1_lT2_lli: ; @_ZL44rocblas_set_matrix_zero_if_alpha_zero_kernelILi16ELi16EPK19rocblas_complex_numIfEPKPS1_EviiT1_lT2_lli
; %bb.0:
	s_load_dwordx8 s[12:19], s[4:5], 0x8
	s_mov_b32 s9, 0
	s_waitcnt lgkmcnt(0)
	s_mul_i32 s1, s15, s8
	s_mul_hi_u32 s2, s14, s8
	s_mul_i32 s0, s14, s8
	s_add_i32 s1, s2, s1
	s_lshl_b64 s[0:1], s[0:1], 3
	s_add_u32 s0, s12, s0
	s_addc_u32 s1, s13, s1
	s_load_dwordx2 s[0:1], s[0:1], 0x0
	s_waitcnt lgkmcnt(0)
	v_cmp_eq_f32_e64 s0, s0, 0
	v_cmp_eq_f32_e64 s1, s1, 0
	s_and_b32 s0, s0, s1
	s_andn2_b32 vcc_lo, exec_lo, s0
	s_cbranch_vccnz .LBB200_4
; %bb.1:
	s_load_dwordx2 s[0:1], s[4:5], 0x0
	v_mov_b32_e32 v3, 0
	v_lshl_add_u32 v2, s6, 4, v0
	v_lshl_add_u32 v0, s7, 4, v1
	v_mov_b32_e32 v1, v3
	s_waitcnt lgkmcnt(0)
	s_ashr_i32 s7, s0, 31
	s_mov_b32 s6, s0
	s_ashr_i32 s3, s1, 31
	s_mov_b32 s2, s1
	v_cmp_gt_i64_e32 vcc_lo, s[6:7], v[2:3]
	v_cmp_gt_i64_e64 s0, s[2:3], v[0:1]
	s_and_b32 s0, vcc_lo, s0
	s_and_saveexec_b32 s1, s0
	s_cbranch_execz .LBB200_4
; %bb.2:
	v_mad_u64_u32 v[4:5], null, s18, v0, 0
	s_clause 0x1
	s_load_dwordx2 s[6:7], s[4:5], 0x28
	s_load_dword s10, s[4:5], 0x3c
	s_lshl_b64 s[0:1], s[8:9], 3
	s_add_u32 s4, s16, s0
	s_addc_u32 s5, s17, s1
	v_mad_u64_u32 v[5:6], null, s19, v0, v[5:6]
	v_lshlrev_b64 v[6:7], 3, v[2:3]
	v_lshlrev_b64 v[4:5], 3, v[4:5]
	s_waitcnt lgkmcnt(0)
	s_lshl_b64 s[6:7], s[6:7], 3
	s_lshl_b32 s1, s10, 4
	v_add_co_u32 v2, vcc_lo, v4, s6
	v_add_co_ci_u32_e64 v5, null, s7, v5, vcc_lo
	s_mul_i32 s0, s19, s1
	v_add_co_u32 v4, vcc_lo, v2, v6
	s_mul_hi_u32 s8, s18, s1
	v_add_co_ci_u32_e64 v5, null, v5, v7, vcc_lo
	v_mov_b32_e32 v2, v3
	s_add_i32 s7, s8, s0
	s_mul_i32 s6, s18, s1
	s_mov_b32 s8, 0
	s_lshl_b64 s[6:7], s[6:7], 3
	.p2align	6
.LBB200_3:                              ; =>This Inner Loop Header: Depth=1
	global_load_dwordx2 v[6:7], v3, s[4:5]
	v_add_co_u32 v0, vcc_lo, v0, s1
	v_add_co_ci_u32_e64 v1, null, 0, v1, vcc_lo
	v_cmp_le_i64_e32 vcc_lo, s[2:3], v[0:1]
	s_or_b32 s8, vcc_lo, s8
	s_waitcnt vmcnt(0)
	v_add_co_u32 v6, s0, v6, v4
	v_add_co_ci_u32_e64 v7, null, v7, v5, s0
	v_add_co_u32 v4, s0, v4, s6
	v_add_co_ci_u32_e64 v5, null, s7, v5, s0
	flat_store_dwordx2 v[6:7], v[2:3]
	s_andn2_b32 exec_lo, exec_lo, s8
	s_cbranch_execnz .LBB200_3
.LBB200_4:
	s_endpgm
	.section	.rodata,"a",@progbits
	.p2align	6, 0x0
	.amdhsa_kernel _ZL44rocblas_set_matrix_zero_if_alpha_zero_kernelILi16ELi16EPK19rocblas_complex_numIfEPKPS1_EviiT1_lT2_lli
		.amdhsa_group_segment_fixed_size 0
		.amdhsa_private_segment_fixed_size 0
		.amdhsa_kernarg_size 312
		.amdhsa_user_sgpr_count 6
		.amdhsa_user_sgpr_private_segment_buffer 1
		.amdhsa_user_sgpr_dispatch_ptr 0
		.amdhsa_user_sgpr_queue_ptr 0
		.amdhsa_user_sgpr_kernarg_segment_ptr 1
		.amdhsa_user_sgpr_dispatch_id 0
		.amdhsa_user_sgpr_flat_scratch_init 0
		.amdhsa_user_sgpr_private_segment_size 0
		.amdhsa_wavefront_size32 1
		.amdhsa_uses_dynamic_stack 0
		.amdhsa_system_sgpr_private_segment_wavefront_offset 0
		.amdhsa_system_sgpr_workgroup_id_x 1
		.amdhsa_system_sgpr_workgroup_id_y 1
		.amdhsa_system_sgpr_workgroup_id_z 1
		.amdhsa_system_sgpr_workgroup_info 0
		.amdhsa_system_vgpr_workitem_id 1
		.amdhsa_next_free_vgpr 8
		.amdhsa_next_free_sgpr 20
		.amdhsa_reserve_vcc 1
		.amdhsa_reserve_flat_scratch 0
		.amdhsa_float_round_mode_32 0
		.amdhsa_float_round_mode_16_64 0
		.amdhsa_float_denorm_mode_32 3
		.amdhsa_float_denorm_mode_16_64 3
		.amdhsa_dx10_clamp 1
		.amdhsa_ieee_mode 1
		.amdhsa_fp16_overflow 0
		.amdhsa_workgroup_processor_mode 1
		.amdhsa_memory_ordered 1
		.amdhsa_forward_progress 1
		.amdhsa_shared_vgpr_count 0
		.amdhsa_exception_fp_ieee_invalid_op 0
		.amdhsa_exception_fp_denorm_src 0
		.amdhsa_exception_fp_ieee_div_zero 0
		.amdhsa_exception_fp_ieee_overflow 0
		.amdhsa_exception_fp_ieee_underflow 0
		.amdhsa_exception_fp_ieee_inexact 0
		.amdhsa_exception_int_div_zero 0
	.end_amdhsa_kernel
	.section	.text._ZL44rocblas_set_matrix_zero_if_alpha_zero_kernelILi16ELi16EPK19rocblas_complex_numIfEPKPS1_EviiT1_lT2_lli,"axG",@progbits,_ZL44rocblas_set_matrix_zero_if_alpha_zero_kernelILi16ELi16EPK19rocblas_complex_numIfEPKPS1_EviiT1_lT2_lli,comdat
.Lfunc_end200:
	.size	_ZL44rocblas_set_matrix_zero_if_alpha_zero_kernelILi16ELi16EPK19rocblas_complex_numIfEPKPS1_EviiT1_lT2_lli, .Lfunc_end200-_ZL44rocblas_set_matrix_zero_if_alpha_zero_kernelILi16ELi16EPK19rocblas_complex_numIfEPKPS1_EviiT1_lT2_lli
                                        ; -- End function
	.set _ZL44rocblas_set_matrix_zero_if_alpha_zero_kernelILi16ELi16EPK19rocblas_complex_numIfEPKPS1_EviiT1_lT2_lli.num_vgpr, 8
	.set _ZL44rocblas_set_matrix_zero_if_alpha_zero_kernelILi16ELi16EPK19rocblas_complex_numIfEPKPS1_EviiT1_lT2_lli.num_agpr, 0
	.set _ZL44rocblas_set_matrix_zero_if_alpha_zero_kernelILi16ELi16EPK19rocblas_complex_numIfEPKPS1_EviiT1_lT2_lli.numbered_sgpr, 20
	.set _ZL44rocblas_set_matrix_zero_if_alpha_zero_kernelILi16ELi16EPK19rocblas_complex_numIfEPKPS1_EviiT1_lT2_lli.num_named_barrier, 0
	.set _ZL44rocblas_set_matrix_zero_if_alpha_zero_kernelILi16ELi16EPK19rocblas_complex_numIfEPKPS1_EviiT1_lT2_lli.private_seg_size, 0
	.set _ZL44rocblas_set_matrix_zero_if_alpha_zero_kernelILi16ELi16EPK19rocblas_complex_numIfEPKPS1_EviiT1_lT2_lli.uses_vcc, 1
	.set _ZL44rocblas_set_matrix_zero_if_alpha_zero_kernelILi16ELi16EPK19rocblas_complex_numIfEPKPS1_EviiT1_lT2_lli.uses_flat_scratch, 0
	.set _ZL44rocblas_set_matrix_zero_if_alpha_zero_kernelILi16ELi16EPK19rocblas_complex_numIfEPKPS1_EviiT1_lT2_lli.has_dyn_sized_stack, 0
	.set _ZL44rocblas_set_matrix_zero_if_alpha_zero_kernelILi16ELi16EPK19rocblas_complex_numIfEPKPS1_EviiT1_lT2_lli.has_recursion, 0
	.set _ZL44rocblas_set_matrix_zero_if_alpha_zero_kernelILi16ELi16EPK19rocblas_complex_numIfEPKPS1_EviiT1_lT2_lli.has_indirect_call, 0
	.section	.AMDGPU.csdata,"",@progbits
; Kernel info:
; codeLenInByte = 408
; TotalNumSgprs: 22
; NumVgprs: 8
; ScratchSize: 0
; MemoryBound: 0
; FloatMode: 240
; IeeeMode: 1
; LDSByteSize: 0 bytes/workgroup (compile time only)
; SGPRBlocks: 0
; VGPRBlocks: 0
; NumSGPRsForWavesPerEU: 22
; NumVGPRsForWavesPerEU: 8
; Occupancy: 16
; WaveLimiterHint : 1
; COMPUTE_PGM_RSRC2:SCRATCH_EN: 0
; COMPUTE_PGM_RSRC2:USER_SGPR: 6
; COMPUTE_PGM_RSRC2:TRAP_HANDLER: 0
; COMPUTE_PGM_RSRC2:TGID_X_EN: 1
; COMPUTE_PGM_RSRC2:TGID_Y_EN: 1
; COMPUTE_PGM_RSRC2:TGID_Z_EN: 1
; COMPUTE_PGM_RSRC2:TIDIG_COMP_CNT: 1
	.section	.text._ZL44rocblas_set_matrix_zero_if_alpha_zero_kernelILi16ELi16E19rocblas_complex_numIfEPKPS1_EviiT1_lT2_lli,"axG",@progbits,_ZL44rocblas_set_matrix_zero_if_alpha_zero_kernelILi16ELi16E19rocblas_complex_numIfEPKPS1_EviiT1_lT2_lli,comdat
	.globl	_ZL44rocblas_set_matrix_zero_if_alpha_zero_kernelILi16ELi16E19rocblas_complex_numIfEPKPS1_EviiT1_lT2_lli ; -- Begin function _ZL44rocblas_set_matrix_zero_if_alpha_zero_kernelILi16ELi16E19rocblas_complex_numIfEPKPS1_EviiT1_lT2_lli
	.p2align	8
	.type	_ZL44rocblas_set_matrix_zero_if_alpha_zero_kernelILi16ELi16E19rocblas_complex_numIfEPKPS1_EviiT1_lT2_lli,@function
_ZL44rocblas_set_matrix_zero_if_alpha_zero_kernelILi16ELi16E19rocblas_complex_numIfEPKPS1_EviiT1_lT2_lli: ; @_ZL44rocblas_set_matrix_zero_if_alpha_zero_kernelILi16ELi16E19rocblas_complex_numIfEPKPS1_EviiT1_lT2_lli
; %bb.0:
	s_load_dwordx4 s[0:3], s[4:5], 0x0
	s_waitcnt lgkmcnt(0)
	v_cmp_eq_f32_e64 s2, s2, 0
	v_cmp_eq_f32_e64 s3, s3, 0
	s_and_b32 s2, s2, s3
	s_andn2_b32 vcc_lo, exec_lo, s2
	s_cbranch_vccnz .LBB201_4
; %bb.1:
	v_mov_b32_e32 v3, 0
	v_lshl_add_u32 v2, s6, 4, v0
	v_lshl_add_u32 v0, s7, 4, v1
	s_ashr_i32 s3, s0, 31
	s_mov_b32 s2, s0
	v_mov_b32_e32 v1, v3
	s_ashr_i32 s7, s1, 31
	s_mov_b32 s6, s1
	v_cmp_gt_i64_e32 vcc_lo, s[2:3], v[2:3]
	v_cmp_gt_i64_e64 s0, s[6:7], v[0:1]
	s_and_b32 s0, vcc_lo, s0
	s_and_saveexec_b32 s1, s0
	s_cbranch_execz .LBB201_4
; %bb.2:
	s_clause 0x2
	s_load_dwordx4 s[0:3], s[4:5], 0x18
	s_load_dwordx2 s[10:11], s[4:5], 0x28
	s_load_dword s12, s[4:5], 0x3c
	s_mov_b32 s9, 0
	s_lshl_b64 s[4:5], s[8:9], 3
	s_waitcnt lgkmcnt(0)
	v_mad_u64_u32 v[4:5], null, s2, v0, 0
	s_add_u32 s4, s0, s4
	s_addc_u32 s5, s1, s5
	s_lshl_b64 s[10:11], s[10:11], 3
	s_lshl_b32 s1, s12, 4
	s_mul_i32 s0, s3, s1
	v_mad_u64_u32 v[5:6], null, s3, v0, v[5:6]
	v_lshlrev_b64 v[6:7], 3, v[2:3]
	s_mul_hi_u32 s3, s2, s1
	s_mul_i32 s2, s2, s1
	s_add_i32 s3, s3, s0
	s_lshl_b64 s[2:3], s[2:3], 3
	v_lshlrev_b64 v[4:5], 3, v[4:5]
	v_add_co_u32 v2, vcc_lo, v4, s10
	v_add_co_ci_u32_e64 v5, null, s11, v5, vcc_lo
	v_add_co_u32 v4, vcc_lo, v2, v6
	v_add_co_ci_u32_e64 v5, null, v5, v7, vcc_lo
	v_mov_b32_e32 v2, v3
	.p2align	6
.LBB201_3:                              ; =>This Inner Loop Header: Depth=1
	global_load_dwordx2 v[6:7], v3, s[4:5]
	v_add_co_u32 v0, vcc_lo, v0, s1
	v_add_co_ci_u32_e64 v1, null, 0, v1, vcc_lo
	v_cmp_le_i64_e32 vcc_lo, s[6:7], v[0:1]
	s_or_b32 s9, vcc_lo, s9
	s_waitcnt vmcnt(0)
	v_add_co_u32 v6, s0, v6, v4
	v_add_co_ci_u32_e64 v7, null, v7, v5, s0
	v_add_co_u32 v4, s0, v4, s2
	v_add_co_ci_u32_e64 v5, null, s3, v5, s0
	flat_store_dwordx2 v[6:7], v[2:3]
	s_andn2_b32 exec_lo, exec_lo, s9
	s_cbranch_execnz .LBB201_3
.LBB201_4:
	s_endpgm
	.section	.rodata,"a",@progbits
	.p2align	6, 0x0
	.amdhsa_kernel _ZL44rocblas_set_matrix_zero_if_alpha_zero_kernelILi16ELi16E19rocblas_complex_numIfEPKPS1_EviiT1_lT2_lli
		.amdhsa_group_segment_fixed_size 0
		.amdhsa_private_segment_fixed_size 0
		.amdhsa_kernarg_size 312
		.amdhsa_user_sgpr_count 6
		.amdhsa_user_sgpr_private_segment_buffer 1
		.amdhsa_user_sgpr_dispatch_ptr 0
		.amdhsa_user_sgpr_queue_ptr 0
		.amdhsa_user_sgpr_kernarg_segment_ptr 1
		.amdhsa_user_sgpr_dispatch_id 0
		.amdhsa_user_sgpr_flat_scratch_init 0
		.amdhsa_user_sgpr_private_segment_size 0
		.amdhsa_wavefront_size32 1
		.amdhsa_uses_dynamic_stack 0
		.amdhsa_system_sgpr_private_segment_wavefront_offset 0
		.amdhsa_system_sgpr_workgroup_id_x 1
		.amdhsa_system_sgpr_workgroup_id_y 1
		.amdhsa_system_sgpr_workgroup_id_z 1
		.amdhsa_system_sgpr_workgroup_info 0
		.amdhsa_system_vgpr_workitem_id 1
		.amdhsa_next_free_vgpr 8
		.amdhsa_next_free_sgpr 13
		.amdhsa_reserve_vcc 1
		.amdhsa_reserve_flat_scratch 0
		.amdhsa_float_round_mode_32 0
		.amdhsa_float_round_mode_16_64 0
		.amdhsa_float_denorm_mode_32 3
		.amdhsa_float_denorm_mode_16_64 3
		.amdhsa_dx10_clamp 1
		.amdhsa_ieee_mode 1
		.amdhsa_fp16_overflow 0
		.amdhsa_workgroup_processor_mode 1
		.amdhsa_memory_ordered 1
		.amdhsa_forward_progress 1
		.amdhsa_shared_vgpr_count 0
		.amdhsa_exception_fp_ieee_invalid_op 0
		.amdhsa_exception_fp_denorm_src 0
		.amdhsa_exception_fp_ieee_div_zero 0
		.amdhsa_exception_fp_ieee_overflow 0
		.amdhsa_exception_fp_ieee_underflow 0
		.amdhsa_exception_fp_ieee_inexact 0
		.amdhsa_exception_int_div_zero 0
	.end_amdhsa_kernel
	.section	.text._ZL44rocblas_set_matrix_zero_if_alpha_zero_kernelILi16ELi16E19rocblas_complex_numIfEPKPS1_EviiT1_lT2_lli,"axG",@progbits,_ZL44rocblas_set_matrix_zero_if_alpha_zero_kernelILi16ELi16E19rocblas_complex_numIfEPKPS1_EviiT1_lT2_lli,comdat
.Lfunc_end201:
	.size	_ZL44rocblas_set_matrix_zero_if_alpha_zero_kernelILi16ELi16E19rocblas_complex_numIfEPKPS1_EviiT1_lT2_lli, .Lfunc_end201-_ZL44rocblas_set_matrix_zero_if_alpha_zero_kernelILi16ELi16E19rocblas_complex_numIfEPKPS1_EviiT1_lT2_lli
                                        ; -- End function
	.set _ZL44rocblas_set_matrix_zero_if_alpha_zero_kernelILi16ELi16E19rocblas_complex_numIfEPKPS1_EviiT1_lT2_lli.num_vgpr, 8
	.set _ZL44rocblas_set_matrix_zero_if_alpha_zero_kernelILi16ELi16E19rocblas_complex_numIfEPKPS1_EviiT1_lT2_lli.num_agpr, 0
	.set _ZL44rocblas_set_matrix_zero_if_alpha_zero_kernelILi16ELi16E19rocblas_complex_numIfEPKPS1_EviiT1_lT2_lli.numbered_sgpr, 13
	.set _ZL44rocblas_set_matrix_zero_if_alpha_zero_kernelILi16ELi16E19rocblas_complex_numIfEPKPS1_EviiT1_lT2_lli.num_named_barrier, 0
	.set _ZL44rocblas_set_matrix_zero_if_alpha_zero_kernelILi16ELi16E19rocblas_complex_numIfEPKPS1_EviiT1_lT2_lli.private_seg_size, 0
	.set _ZL44rocblas_set_matrix_zero_if_alpha_zero_kernelILi16ELi16E19rocblas_complex_numIfEPKPS1_EviiT1_lT2_lli.uses_vcc, 1
	.set _ZL44rocblas_set_matrix_zero_if_alpha_zero_kernelILi16ELi16E19rocblas_complex_numIfEPKPS1_EviiT1_lT2_lli.uses_flat_scratch, 0
	.set _ZL44rocblas_set_matrix_zero_if_alpha_zero_kernelILi16ELi16E19rocblas_complex_numIfEPKPS1_EviiT1_lT2_lli.has_dyn_sized_stack, 0
	.set _ZL44rocblas_set_matrix_zero_if_alpha_zero_kernelILi16ELi16E19rocblas_complex_numIfEPKPS1_EviiT1_lT2_lli.has_recursion, 0
	.set _ZL44rocblas_set_matrix_zero_if_alpha_zero_kernelILi16ELi16E19rocblas_complex_numIfEPKPS1_EviiT1_lT2_lli.has_indirect_call, 0
	.section	.AMDGPU.csdata,"",@progbits
; Kernel info:
; codeLenInByte = 344
; TotalNumSgprs: 15
; NumVgprs: 8
; ScratchSize: 0
; MemoryBound: 0
; FloatMode: 240
; IeeeMode: 1
; LDSByteSize: 0 bytes/workgroup (compile time only)
; SGPRBlocks: 0
; VGPRBlocks: 0
; NumSGPRsForWavesPerEU: 15
; NumVGPRsForWavesPerEU: 8
; Occupancy: 16
; WaveLimiterHint : 1
; COMPUTE_PGM_RSRC2:SCRATCH_EN: 0
; COMPUTE_PGM_RSRC2:USER_SGPR: 6
; COMPUTE_PGM_RSRC2:TRAP_HANDLER: 0
; COMPUTE_PGM_RSRC2:TGID_X_EN: 1
; COMPUTE_PGM_RSRC2:TGID_Y_EN: 1
; COMPUTE_PGM_RSRC2:TGID_Z_EN: 1
; COMPUTE_PGM_RSRC2:TIDIG_COMP_CNT: 1
	.section	.text._ZL44rocblas_set_matrix_zero_if_alpha_zero_kernelILi16ELi16EPK19rocblas_complex_numIfEPS1_EviiT1_lT2_lli,"axG",@progbits,_ZL44rocblas_set_matrix_zero_if_alpha_zero_kernelILi16ELi16EPK19rocblas_complex_numIfEPS1_EviiT1_lT2_lli,comdat
	.globl	_ZL44rocblas_set_matrix_zero_if_alpha_zero_kernelILi16ELi16EPK19rocblas_complex_numIfEPS1_EviiT1_lT2_lli ; -- Begin function _ZL44rocblas_set_matrix_zero_if_alpha_zero_kernelILi16ELi16EPK19rocblas_complex_numIfEPS1_EviiT1_lT2_lli
	.p2align	8
	.type	_ZL44rocblas_set_matrix_zero_if_alpha_zero_kernelILi16ELi16EPK19rocblas_complex_numIfEPS1_EviiT1_lT2_lli,@function
_ZL44rocblas_set_matrix_zero_if_alpha_zero_kernelILi16ELi16EPK19rocblas_complex_numIfEPS1_EviiT1_lT2_lli: ; @_ZL44rocblas_set_matrix_zero_if_alpha_zero_kernelILi16ELi16EPK19rocblas_complex_numIfEPS1_EviiT1_lT2_lli
; %bb.0:
	s_load_dwordx8 s[12:19], s[4:5], 0x8
	s_waitcnt lgkmcnt(0)
	s_mul_i32 s1, s15, s8
	s_mul_hi_u32 s2, s14, s8
	s_mul_i32 s0, s14, s8
	s_add_i32 s1, s2, s1
	s_lshl_b64 s[0:1], s[0:1], 3
	s_add_u32 s0, s12, s0
	s_addc_u32 s1, s13, s1
	s_load_dwordx2 s[0:1], s[0:1], 0x0
	s_waitcnt lgkmcnt(0)
	v_cmp_eq_f32_e64 s0, s0, 0
	v_cmp_eq_f32_e64 s1, s1, 0
	s_and_b32 s0, s0, s1
	s_andn2_b32 vcc_lo, exec_lo, s0
	s_cbranch_vccnz .LBB202_4
; %bb.1:
	s_load_dwordx2 s[0:1], s[4:5], 0x0
	v_mov_b32_e32 v3, 0
	v_lshl_add_u32 v2, s6, 4, v0
	v_lshl_add_u32 v0, s7, 4, v1
	v_mov_b32_e32 v1, v3
	s_waitcnt lgkmcnt(0)
	s_ashr_i32 s7, s0, 31
	s_mov_b32 s6, s0
	s_ashr_i32 s3, s1, 31
	s_mov_b32 s2, s1
	v_cmp_gt_i64_e32 vcc_lo, s[6:7], v[2:3]
	v_cmp_gt_i64_e64 s0, s[2:3], v[0:1]
	s_and_b32 s0, vcc_lo, s0
	s_and_saveexec_b32 s1, s0
	s_cbranch_execz .LBB202_4
; %bb.2:
	s_clause 0x1
	s_load_dwordx2 s[0:1], s[4:5], 0x28
	s_load_dword s6, s[4:5], 0x3c
	v_mad_u64_u32 v[4:5], null, s18, v0, 0
	v_mad_u64_u32 v[5:6], null, s19, v0, v[5:6]
	v_lshlrev_b64 v[6:7], 3, v[2:3]
	v_lshlrev_b64 v[4:5], 3, v[4:5]
	s_waitcnt lgkmcnt(0)
	s_mul_i32 s1, s1, s8
	s_mul_hi_u32 s5, s0, s8
	s_mul_i32 s4, s0, s8
	s_add_i32 s5, s5, s1
	s_lshl_b32 s1, s6, 4
	s_lshl_b64 s[4:5], s[4:5], 3
	s_mul_i32 s0, s19, s1
	v_add_co_u32 v2, vcc_lo, s4, v4
	v_add_co_ci_u32_e64 v4, null, s5, v5, vcc_lo
	s_mul_hi_u32 s4, s18, s1
	v_add_co_u32 v2, vcc_lo, v2, v6
	v_add_co_ci_u32_e64 v4, null, v4, v7, vcc_lo
	s_add_i32 s5, s4, s0
	v_add_co_u32 v2, vcc_lo, s16, v2
	v_add_co_ci_u32_e64 v5, null, s17, v4, vcc_lo
	s_mul_i32 s4, s18, s1
	v_add_co_u32 v4, vcc_lo, v2, 4
	v_add_co_ci_u32_e64 v5, null, 0, v5, vcc_lo
	v_mov_b32_e32 v2, v3
	s_mov_b32 s6, 0
	s_lshl_b64 s[4:5], s[4:5], 3
.LBB202_3:                              ; =>This Inner Loop Header: Depth=1
	v_add_co_u32 v0, vcc_lo, v0, s1
	v_add_co_ci_u32_e64 v1, null, 0, v1, vcc_lo
	global_store_dwordx2 v[4:5], v[2:3], off offset:-4
	v_add_co_u32 v4, s0, v4, s4
	v_cmp_le_i64_e32 vcc_lo, s[2:3], v[0:1]
	v_add_co_ci_u32_e64 v5, null, s5, v5, s0
	s_or_b32 s6, vcc_lo, s6
	s_andn2_b32 exec_lo, exec_lo, s6
	s_cbranch_execnz .LBB202_3
.LBB202_4:
	s_endpgm
	.section	.rodata,"a",@progbits
	.p2align	6, 0x0
	.amdhsa_kernel _ZL44rocblas_set_matrix_zero_if_alpha_zero_kernelILi16ELi16EPK19rocblas_complex_numIfEPS1_EviiT1_lT2_lli
		.amdhsa_group_segment_fixed_size 0
		.amdhsa_private_segment_fixed_size 0
		.amdhsa_kernarg_size 312
		.amdhsa_user_sgpr_count 6
		.amdhsa_user_sgpr_private_segment_buffer 1
		.amdhsa_user_sgpr_dispatch_ptr 0
		.amdhsa_user_sgpr_queue_ptr 0
		.amdhsa_user_sgpr_kernarg_segment_ptr 1
		.amdhsa_user_sgpr_dispatch_id 0
		.amdhsa_user_sgpr_flat_scratch_init 0
		.amdhsa_user_sgpr_private_segment_size 0
		.amdhsa_wavefront_size32 1
		.amdhsa_uses_dynamic_stack 0
		.amdhsa_system_sgpr_private_segment_wavefront_offset 0
		.amdhsa_system_sgpr_workgroup_id_x 1
		.amdhsa_system_sgpr_workgroup_id_y 1
		.amdhsa_system_sgpr_workgroup_id_z 1
		.amdhsa_system_sgpr_workgroup_info 0
		.amdhsa_system_vgpr_workitem_id 1
		.amdhsa_next_free_vgpr 8
		.amdhsa_next_free_sgpr 20
		.amdhsa_reserve_vcc 1
		.amdhsa_reserve_flat_scratch 0
		.amdhsa_float_round_mode_32 0
		.amdhsa_float_round_mode_16_64 0
		.amdhsa_float_denorm_mode_32 3
		.amdhsa_float_denorm_mode_16_64 3
		.amdhsa_dx10_clamp 1
		.amdhsa_ieee_mode 1
		.amdhsa_fp16_overflow 0
		.amdhsa_workgroup_processor_mode 1
		.amdhsa_memory_ordered 1
		.amdhsa_forward_progress 1
		.amdhsa_shared_vgpr_count 0
		.amdhsa_exception_fp_ieee_invalid_op 0
		.amdhsa_exception_fp_denorm_src 0
		.amdhsa_exception_fp_ieee_div_zero 0
		.amdhsa_exception_fp_ieee_overflow 0
		.amdhsa_exception_fp_ieee_underflow 0
		.amdhsa_exception_fp_ieee_inexact 0
		.amdhsa_exception_int_div_zero 0
	.end_amdhsa_kernel
	.section	.text._ZL44rocblas_set_matrix_zero_if_alpha_zero_kernelILi16ELi16EPK19rocblas_complex_numIfEPS1_EviiT1_lT2_lli,"axG",@progbits,_ZL44rocblas_set_matrix_zero_if_alpha_zero_kernelILi16ELi16EPK19rocblas_complex_numIfEPS1_EviiT1_lT2_lli,comdat
.Lfunc_end202:
	.size	_ZL44rocblas_set_matrix_zero_if_alpha_zero_kernelILi16ELi16EPK19rocblas_complex_numIfEPS1_EviiT1_lT2_lli, .Lfunc_end202-_ZL44rocblas_set_matrix_zero_if_alpha_zero_kernelILi16ELi16EPK19rocblas_complex_numIfEPS1_EviiT1_lT2_lli
                                        ; -- End function
	.set _ZL44rocblas_set_matrix_zero_if_alpha_zero_kernelILi16ELi16EPK19rocblas_complex_numIfEPS1_EviiT1_lT2_lli.num_vgpr, 8
	.set _ZL44rocblas_set_matrix_zero_if_alpha_zero_kernelILi16ELi16EPK19rocblas_complex_numIfEPS1_EviiT1_lT2_lli.num_agpr, 0
	.set _ZL44rocblas_set_matrix_zero_if_alpha_zero_kernelILi16ELi16EPK19rocblas_complex_numIfEPS1_EviiT1_lT2_lli.numbered_sgpr, 20
	.set _ZL44rocblas_set_matrix_zero_if_alpha_zero_kernelILi16ELi16EPK19rocblas_complex_numIfEPS1_EviiT1_lT2_lli.num_named_barrier, 0
	.set _ZL44rocblas_set_matrix_zero_if_alpha_zero_kernelILi16ELi16EPK19rocblas_complex_numIfEPS1_EviiT1_lT2_lli.private_seg_size, 0
	.set _ZL44rocblas_set_matrix_zero_if_alpha_zero_kernelILi16ELi16EPK19rocblas_complex_numIfEPS1_EviiT1_lT2_lli.uses_vcc, 1
	.set _ZL44rocblas_set_matrix_zero_if_alpha_zero_kernelILi16ELi16EPK19rocblas_complex_numIfEPS1_EviiT1_lT2_lli.uses_flat_scratch, 0
	.set _ZL44rocblas_set_matrix_zero_if_alpha_zero_kernelILi16ELi16EPK19rocblas_complex_numIfEPS1_EviiT1_lT2_lli.has_dyn_sized_stack, 0
	.set _ZL44rocblas_set_matrix_zero_if_alpha_zero_kernelILi16ELi16EPK19rocblas_complex_numIfEPS1_EviiT1_lT2_lli.has_recursion, 0
	.set _ZL44rocblas_set_matrix_zero_if_alpha_zero_kernelILi16ELi16EPK19rocblas_complex_numIfEPS1_EviiT1_lT2_lli.has_indirect_call, 0
	.section	.AMDGPU.csdata,"",@progbits
; Kernel info:
; codeLenInByte = 388
; TotalNumSgprs: 22
; NumVgprs: 8
; ScratchSize: 0
; MemoryBound: 0
; FloatMode: 240
; IeeeMode: 1
; LDSByteSize: 0 bytes/workgroup (compile time only)
; SGPRBlocks: 0
; VGPRBlocks: 0
; NumSGPRsForWavesPerEU: 22
; NumVGPRsForWavesPerEU: 8
; Occupancy: 16
; WaveLimiterHint : 0
; COMPUTE_PGM_RSRC2:SCRATCH_EN: 0
; COMPUTE_PGM_RSRC2:USER_SGPR: 6
; COMPUTE_PGM_RSRC2:TRAP_HANDLER: 0
; COMPUTE_PGM_RSRC2:TGID_X_EN: 1
; COMPUTE_PGM_RSRC2:TGID_Y_EN: 1
; COMPUTE_PGM_RSRC2:TGID_Z_EN: 1
; COMPUTE_PGM_RSRC2:TIDIG_COMP_CNT: 1
	.section	.text._ZL44rocblas_set_matrix_zero_if_alpha_zero_kernelILi16ELi16E19rocblas_complex_numIfEPS1_EviiT1_lT2_lli,"axG",@progbits,_ZL44rocblas_set_matrix_zero_if_alpha_zero_kernelILi16ELi16E19rocblas_complex_numIfEPS1_EviiT1_lT2_lli,comdat
	.globl	_ZL44rocblas_set_matrix_zero_if_alpha_zero_kernelILi16ELi16E19rocblas_complex_numIfEPS1_EviiT1_lT2_lli ; -- Begin function _ZL44rocblas_set_matrix_zero_if_alpha_zero_kernelILi16ELi16E19rocblas_complex_numIfEPS1_EviiT1_lT2_lli
	.p2align	8
	.type	_ZL44rocblas_set_matrix_zero_if_alpha_zero_kernelILi16ELi16E19rocblas_complex_numIfEPS1_EviiT1_lT2_lli,@function
_ZL44rocblas_set_matrix_zero_if_alpha_zero_kernelILi16ELi16E19rocblas_complex_numIfEPS1_EviiT1_lT2_lli: ; @_ZL44rocblas_set_matrix_zero_if_alpha_zero_kernelILi16ELi16E19rocblas_complex_numIfEPS1_EviiT1_lT2_lli
; %bb.0:
	s_load_dwordx4 s[0:3], s[4:5], 0x0
	s_waitcnt lgkmcnt(0)
	v_cmp_eq_f32_e64 s2, s2, 0
	v_cmp_eq_f32_e64 s3, s3, 0
	s_and_b32 s2, s2, s3
	s_andn2_b32 vcc_lo, exec_lo, s2
	s_cbranch_vccnz .LBB203_4
; %bb.1:
	v_mov_b32_e32 v3, 0
	v_lshl_add_u32 v2, s6, 4, v0
	v_lshl_add_u32 v0, s7, 4, v1
	s_ashr_i32 s3, s0, 31
	s_mov_b32 s2, s0
	v_mov_b32_e32 v1, v3
	s_ashr_i32 s7, s1, 31
	s_mov_b32 s6, s1
	v_cmp_gt_i64_e32 vcc_lo, s[2:3], v[2:3]
	v_cmp_gt_i64_e64 s0, s[6:7], v[0:1]
	s_and_b32 s0, vcc_lo, s0
	s_and_saveexec_b32 s1, s0
	s_cbranch_execz .LBB203_4
; %bb.2:
	s_clause 0x2
	s_load_dwordx4 s[0:3], s[4:5], 0x18
	s_load_dwordx2 s[10:11], s[4:5], 0x28
	s_load_dword s4, s[4:5], 0x3c
	s_waitcnt lgkmcnt(0)
	v_mad_u64_u32 v[4:5], null, s2, v0, 0
	s_mul_i32 s5, s11, s8
	s_mul_hi_u32 s9, s10, s8
	s_mul_i32 s8, s10, s8
	s_add_i32 s9, s9, s5
	s_lshl_b32 s4, s4, 4
	s_lshl_b64 s[8:9], s[8:9], 3
	v_mad_u64_u32 v[5:6], null, s3, v0, v[5:6]
	v_lshlrev_b64 v[6:7], 3, v[2:3]
	s_mul_i32 s3, s3, s4
	s_mul_hi_u32 s5, s2, s4
	s_mul_i32 s2, s2, s4
	s_add_i32 s3, s5, s3
	s_lshl_b64 s[2:3], s[2:3], 3
	v_lshlrev_b64 v[4:5], 3, v[4:5]
	v_add_co_u32 v2, vcc_lo, s8, v4
	v_add_co_ci_u32_e64 v4, null, s9, v5, vcc_lo
	v_add_co_u32 v2, vcc_lo, v2, v6
	v_add_co_ci_u32_e64 v4, null, v4, v7, vcc_lo
	;; [unrolled: 2-line block ×3, first 2 shown]
	s_mov_b32 s1, 0
	v_add_co_u32 v4, vcc_lo, v2, 4
	v_add_co_ci_u32_e64 v5, null, 0, v5, vcc_lo
	v_mov_b32_e32 v2, v3
.LBB203_3:                              ; =>This Inner Loop Header: Depth=1
	v_add_co_u32 v0, vcc_lo, v0, s4
	v_add_co_ci_u32_e64 v1, null, 0, v1, vcc_lo
	global_store_dwordx2 v[4:5], v[2:3], off offset:-4
	v_add_co_u32 v4, s0, v4, s2
	v_cmp_le_i64_e32 vcc_lo, s[6:7], v[0:1]
	v_add_co_ci_u32_e64 v5, null, s3, v5, s0
	s_or_b32 s1, vcc_lo, s1
	s_andn2_b32 exec_lo, exec_lo, s1
	s_cbranch_execnz .LBB203_3
.LBB203_4:
	s_endpgm
	.section	.rodata,"a",@progbits
	.p2align	6, 0x0
	.amdhsa_kernel _ZL44rocblas_set_matrix_zero_if_alpha_zero_kernelILi16ELi16E19rocblas_complex_numIfEPS1_EviiT1_lT2_lli
		.amdhsa_group_segment_fixed_size 0
		.amdhsa_private_segment_fixed_size 0
		.amdhsa_kernarg_size 312
		.amdhsa_user_sgpr_count 6
		.amdhsa_user_sgpr_private_segment_buffer 1
		.amdhsa_user_sgpr_dispatch_ptr 0
		.amdhsa_user_sgpr_queue_ptr 0
		.amdhsa_user_sgpr_kernarg_segment_ptr 1
		.amdhsa_user_sgpr_dispatch_id 0
		.amdhsa_user_sgpr_flat_scratch_init 0
		.amdhsa_user_sgpr_private_segment_size 0
		.amdhsa_wavefront_size32 1
		.amdhsa_uses_dynamic_stack 0
		.amdhsa_system_sgpr_private_segment_wavefront_offset 0
		.amdhsa_system_sgpr_workgroup_id_x 1
		.amdhsa_system_sgpr_workgroup_id_y 1
		.amdhsa_system_sgpr_workgroup_id_z 1
		.amdhsa_system_sgpr_workgroup_info 0
		.amdhsa_system_vgpr_workitem_id 1
		.amdhsa_next_free_vgpr 8
		.amdhsa_next_free_sgpr 12
		.amdhsa_reserve_vcc 1
		.amdhsa_reserve_flat_scratch 0
		.amdhsa_float_round_mode_32 0
		.amdhsa_float_round_mode_16_64 0
		.amdhsa_float_denorm_mode_32 3
		.amdhsa_float_denorm_mode_16_64 3
		.amdhsa_dx10_clamp 1
		.amdhsa_ieee_mode 1
		.amdhsa_fp16_overflow 0
		.amdhsa_workgroup_processor_mode 1
		.amdhsa_memory_ordered 1
		.amdhsa_forward_progress 1
		.amdhsa_shared_vgpr_count 0
		.amdhsa_exception_fp_ieee_invalid_op 0
		.amdhsa_exception_fp_denorm_src 0
		.amdhsa_exception_fp_ieee_div_zero 0
		.amdhsa_exception_fp_ieee_overflow 0
		.amdhsa_exception_fp_ieee_underflow 0
		.amdhsa_exception_fp_ieee_inexact 0
		.amdhsa_exception_int_div_zero 0
	.end_amdhsa_kernel
	.section	.text._ZL44rocblas_set_matrix_zero_if_alpha_zero_kernelILi16ELi16E19rocblas_complex_numIfEPS1_EviiT1_lT2_lli,"axG",@progbits,_ZL44rocblas_set_matrix_zero_if_alpha_zero_kernelILi16ELi16E19rocblas_complex_numIfEPS1_EviiT1_lT2_lli,comdat
.Lfunc_end203:
	.size	_ZL44rocblas_set_matrix_zero_if_alpha_zero_kernelILi16ELi16E19rocblas_complex_numIfEPS1_EviiT1_lT2_lli, .Lfunc_end203-_ZL44rocblas_set_matrix_zero_if_alpha_zero_kernelILi16ELi16E19rocblas_complex_numIfEPS1_EviiT1_lT2_lli
                                        ; -- End function
	.set _ZL44rocblas_set_matrix_zero_if_alpha_zero_kernelILi16ELi16E19rocblas_complex_numIfEPS1_EviiT1_lT2_lli.num_vgpr, 8
	.set _ZL44rocblas_set_matrix_zero_if_alpha_zero_kernelILi16ELi16E19rocblas_complex_numIfEPS1_EviiT1_lT2_lli.num_agpr, 0
	.set _ZL44rocblas_set_matrix_zero_if_alpha_zero_kernelILi16ELi16E19rocblas_complex_numIfEPS1_EviiT1_lT2_lli.numbered_sgpr, 12
	.set _ZL44rocblas_set_matrix_zero_if_alpha_zero_kernelILi16ELi16E19rocblas_complex_numIfEPS1_EviiT1_lT2_lli.num_named_barrier, 0
	.set _ZL44rocblas_set_matrix_zero_if_alpha_zero_kernelILi16ELi16E19rocblas_complex_numIfEPS1_EviiT1_lT2_lli.private_seg_size, 0
	.set _ZL44rocblas_set_matrix_zero_if_alpha_zero_kernelILi16ELi16E19rocblas_complex_numIfEPS1_EviiT1_lT2_lli.uses_vcc, 1
	.set _ZL44rocblas_set_matrix_zero_if_alpha_zero_kernelILi16ELi16E19rocblas_complex_numIfEPS1_EviiT1_lT2_lli.uses_flat_scratch, 0
	.set _ZL44rocblas_set_matrix_zero_if_alpha_zero_kernelILi16ELi16E19rocblas_complex_numIfEPS1_EviiT1_lT2_lli.has_dyn_sized_stack, 0
	.set _ZL44rocblas_set_matrix_zero_if_alpha_zero_kernelILi16ELi16E19rocblas_complex_numIfEPS1_EviiT1_lT2_lli.has_recursion, 0
	.set _ZL44rocblas_set_matrix_zero_if_alpha_zero_kernelILi16ELi16E19rocblas_complex_numIfEPS1_EviiT1_lT2_lli.has_indirect_call, 0
	.section	.AMDGPU.csdata,"",@progbits
; Kernel info:
; codeLenInByte = 344
; TotalNumSgprs: 14
; NumVgprs: 8
; ScratchSize: 0
; MemoryBound: 0
; FloatMode: 240
; IeeeMode: 1
; LDSByteSize: 0 bytes/workgroup (compile time only)
; SGPRBlocks: 0
; VGPRBlocks: 0
; NumSGPRsForWavesPerEU: 14
; NumVGPRsForWavesPerEU: 8
; Occupancy: 16
; WaveLimiterHint : 0
; COMPUTE_PGM_RSRC2:SCRATCH_EN: 0
; COMPUTE_PGM_RSRC2:USER_SGPR: 6
; COMPUTE_PGM_RSRC2:TRAP_HANDLER: 0
; COMPUTE_PGM_RSRC2:TGID_X_EN: 1
; COMPUTE_PGM_RSRC2:TGID_Y_EN: 1
; COMPUTE_PGM_RSRC2:TGID_Z_EN: 1
; COMPUTE_PGM_RSRC2:TIDIG_COMP_CNT: 1
	.section	.text._ZL44rocblas_set_matrix_zero_if_alpha_zero_kernelILi16ELi16EPK19rocblas_complex_numIdEPKPS1_EviiT1_lT2_lli,"axG",@progbits,_ZL44rocblas_set_matrix_zero_if_alpha_zero_kernelILi16ELi16EPK19rocblas_complex_numIdEPKPS1_EviiT1_lT2_lli,comdat
	.globl	_ZL44rocblas_set_matrix_zero_if_alpha_zero_kernelILi16ELi16EPK19rocblas_complex_numIdEPKPS1_EviiT1_lT2_lli ; -- Begin function _ZL44rocblas_set_matrix_zero_if_alpha_zero_kernelILi16ELi16EPK19rocblas_complex_numIdEPKPS1_EviiT1_lT2_lli
	.p2align	8
	.type	_ZL44rocblas_set_matrix_zero_if_alpha_zero_kernelILi16ELi16EPK19rocblas_complex_numIdEPKPS1_EviiT1_lT2_lli,@function
_ZL44rocblas_set_matrix_zero_if_alpha_zero_kernelILi16ELi16EPK19rocblas_complex_numIdEPKPS1_EviiT1_lT2_lli: ; @_ZL44rocblas_set_matrix_zero_if_alpha_zero_kernelILi16ELi16EPK19rocblas_complex_numIdEPKPS1_EviiT1_lT2_lli
; %bb.0:
	s_load_dwordx8 s[12:19], s[4:5], 0x8
	s_waitcnt lgkmcnt(0)
	s_mul_i32 s1, s15, s8
	s_mul_hi_u32 s2, s14, s8
	s_mul_i32 s0, s14, s8
	s_add_i32 s1, s2, s1
	s_lshl_b64 s[0:1], s[0:1], 4
	s_add_u32 s0, s12, s0
	s_addc_u32 s1, s13, s1
	s_load_dwordx4 s[0:3], s[0:1], 0x0
	s_waitcnt lgkmcnt(0)
	v_cmp_eq_f64_e64 s0, s[0:1], 0
	v_cmp_eq_f64_e64 s1, s[2:3], 0
	s_and_b32 s0, s0, s1
	s_andn2_b32 vcc_lo, exec_lo, s0
	s_cbranch_vccnz .LBB204_4
; %bb.1:
	s_load_dwordx2 s[0:1], s[4:5], 0x0
	v_mov_b32_e32 v3, 0
	v_lshl_add_u32 v2, s6, 4, v0
	v_lshl_add_u32 v0, s7, 4, v1
	v_mov_b32_e32 v1, v3
	s_waitcnt lgkmcnt(0)
	s_ashr_i32 s7, s0, 31
	s_mov_b32 s6, s0
	s_ashr_i32 s3, s1, 31
	s_mov_b32 s2, s1
	v_cmp_gt_i64_e32 vcc_lo, s[6:7], v[2:3]
	v_cmp_gt_i64_e64 s0, s[2:3], v[0:1]
	s_and_b32 s0, vcc_lo, s0
	s_and_saveexec_b32 s1, s0
	s_cbranch_execz .LBB204_4
; %bb.2:
	v_mad_u64_u32 v[4:5], null, s18, v0, 0
	s_clause 0x1
	s_load_dword s10, s[4:5], 0x3c
	s_load_dwordx2 s[4:5], s[4:5], 0x28
	s_mov_b32 s9, 0
	s_lshl_b64 s[0:1], s[8:9], 3
	s_add_u32 s0, s16, s0
	v_mad_u64_u32 v[5:6], null, s19, v0, v[5:6]
	s_addc_u32 s1, s17, s1
	v_lshlrev_b64 v[6:7], 4, v[2:3]
	s_load_dwordx2 s[6:7], s[0:1], 0x0
	v_mov_b32_e32 v2, v3
	v_lshlrev_b64 v[8:9], 4, v[4:5]
	v_mov_b32_e32 v4, v3
	s_waitcnt lgkmcnt(0)
	s_lshl_b32 s1, s10, 4
	s_lshl_b64 s[4:5], s[4:5], 4
	s_mul_i32 s0, s19, s1
	v_add_co_u32 v5, vcc_lo, v8, s4
	v_add_co_ci_u32_e64 v8, null, s5, v9, vcc_lo
	s_mul_hi_u32 s4, s18, s1
	v_add_co_u32 v5, vcc_lo, v5, v6
	v_add_co_ci_u32_e64 v7, null, v8, v7, vcc_lo
	s_add_i32 s5, s4, s0
	v_add_co_u32 v6, vcc_lo, s6, v5
	v_add_co_ci_u32_e64 v7, null, s7, v7, vcc_lo
	v_mov_b32_e32 v5, v3
	s_mul_i32 s4, s18, s1
	s_lshl_b64 s[4:5], s[4:5], 4
.LBB204_3:                              ; =>This Inner Loop Header: Depth=1
	v_add_co_u32 v0, vcc_lo, v0, s1
	v_add_co_ci_u32_e64 v1, null, 0, v1, vcc_lo
	flat_store_dwordx4 v[6:7], v[2:5]
	v_add_co_u32 v6, s0, v6, s4
	v_cmp_le_i64_e32 vcc_lo, s[2:3], v[0:1]
	v_add_co_ci_u32_e64 v7, null, s5, v7, s0
	s_or_b32 s9, vcc_lo, s9
	s_andn2_b32 exec_lo, exec_lo, s9
	s_cbranch_execnz .LBB204_3
.LBB204_4:
	s_endpgm
	.section	.rodata,"a",@progbits
	.p2align	6, 0x0
	.amdhsa_kernel _ZL44rocblas_set_matrix_zero_if_alpha_zero_kernelILi16ELi16EPK19rocblas_complex_numIdEPKPS1_EviiT1_lT2_lli
		.amdhsa_group_segment_fixed_size 0
		.amdhsa_private_segment_fixed_size 0
		.amdhsa_kernarg_size 312
		.amdhsa_user_sgpr_count 6
		.amdhsa_user_sgpr_private_segment_buffer 1
		.amdhsa_user_sgpr_dispatch_ptr 0
		.amdhsa_user_sgpr_queue_ptr 0
		.amdhsa_user_sgpr_kernarg_segment_ptr 1
		.amdhsa_user_sgpr_dispatch_id 0
		.amdhsa_user_sgpr_flat_scratch_init 0
		.amdhsa_user_sgpr_private_segment_size 0
		.amdhsa_wavefront_size32 1
		.amdhsa_uses_dynamic_stack 0
		.amdhsa_system_sgpr_private_segment_wavefront_offset 0
		.amdhsa_system_sgpr_workgroup_id_x 1
		.amdhsa_system_sgpr_workgroup_id_y 1
		.amdhsa_system_sgpr_workgroup_id_z 1
		.amdhsa_system_sgpr_workgroup_info 0
		.amdhsa_system_vgpr_workitem_id 1
		.amdhsa_next_free_vgpr 10
		.amdhsa_next_free_sgpr 20
		.amdhsa_reserve_vcc 1
		.amdhsa_reserve_flat_scratch 0
		.amdhsa_float_round_mode_32 0
		.amdhsa_float_round_mode_16_64 0
		.amdhsa_float_denorm_mode_32 3
		.amdhsa_float_denorm_mode_16_64 3
		.amdhsa_dx10_clamp 1
		.amdhsa_ieee_mode 1
		.amdhsa_fp16_overflow 0
		.amdhsa_workgroup_processor_mode 1
		.amdhsa_memory_ordered 1
		.amdhsa_forward_progress 1
		.amdhsa_shared_vgpr_count 0
		.amdhsa_exception_fp_ieee_invalid_op 0
		.amdhsa_exception_fp_denorm_src 0
		.amdhsa_exception_fp_ieee_div_zero 0
		.amdhsa_exception_fp_ieee_overflow 0
		.amdhsa_exception_fp_ieee_underflow 0
		.amdhsa_exception_fp_ieee_inexact 0
		.amdhsa_exception_int_div_zero 0
	.end_amdhsa_kernel
	.section	.text._ZL44rocblas_set_matrix_zero_if_alpha_zero_kernelILi16ELi16EPK19rocblas_complex_numIdEPKPS1_EviiT1_lT2_lli,"axG",@progbits,_ZL44rocblas_set_matrix_zero_if_alpha_zero_kernelILi16ELi16EPK19rocblas_complex_numIdEPKPS1_EviiT1_lT2_lli,comdat
.Lfunc_end204:
	.size	_ZL44rocblas_set_matrix_zero_if_alpha_zero_kernelILi16ELi16EPK19rocblas_complex_numIdEPKPS1_EviiT1_lT2_lli, .Lfunc_end204-_ZL44rocblas_set_matrix_zero_if_alpha_zero_kernelILi16ELi16EPK19rocblas_complex_numIdEPKPS1_EviiT1_lT2_lli
                                        ; -- End function
	.set _ZL44rocblas_set_matrix_zero_if_alpha_zero_kernelILi16ELi16EPK19rocblas_complex_numIdEPKPS1_EviiT1_lT2_lli.num_vgpr, 10
	.set _ZL44rocblas_set_matrix_zero_if_alpha_zero_kernelILi16ELi16EPK19rocblas_complex_numIdEPKPS1_EviiT1_lT2_lli.num_agpr, 0
	.set _ZL44rocblas_set_matrix_zero_if_alpha_zero_kernelILi16ELi16EPK19rocblas_complex_numIdEPKPS1_EviiT1_lT2_lli.numbered_sgpr, 20
	.set _ZL44rocblas_set_matrix_zero_if_alpha_zero_kernelILi16ELi16EPK19rocblas_complex_numIdEPKPS1_EviiT1_lT2_lli.num_named_barrier, 0
	.set _ZL44rocblas_set_matrix_zero_if_alpha_zero_kernelILi16ELi16EPK19rocblas_complex_numIdEPKPS1_EviiT1_lT2_lli.private_seg_size, 0
	.set _ZL44rocblas_set_matrix_zero_if_alpha_zero_kernelILi16ELi16EPK19rocblas_complex_numIdEPKPS1_EviiT1_lT2_lli.uses_vcc, 1
	.set _ZL44rocblas_set_matrix_zero_if_alpha_zero_kernelILi16ELi16EPK19rocblas_complex_numIdEPKPS1_EviiT1_lT2_lli.uses_flat_scratch, 0
	.set _ZL44rocblas_set_matrix_zero_if_alpha_zero_kernelILi16ELi16EPK19rocblas_complex_numIdEPKPS1_EviiT1_lT2_lli.has_dyn_sized_stack, 0
	.set _ZL44rocblas_set_matrix_zero_if_alpha_zero_kernelILi16ELi16EPK19rocblas_complex_numIdEPKPS1_EviiT1_lT2_lli.has_recursion, 0
	.set _ZL44rocblas_set_matrix_zero_if_alpha_zero_kernelILi16ELi16EPK19rocblas_complex_numIdEPKPS1_EviiT1_lT2_lli.has_indirect_call, 0
	.section	.AMDGPU.csdata,"",@progbits
; Kernel info:
; codeLenInByte = 384
; TotalNumSgprs: 22
; NumVgprs: 10
; ScratchSize: 0
; MemoryBound: 0
; FloatMode: 240
; IeeeMode: 1
; LDSByteSize: 0 bytes/workgroup (compile time only)
; SGPRBlocks: 0
; VGPRBlocks: 1
; NumSGPRsForWavesPerEU: 22
; NumVGPRsForWavesPerEU: 10
; Occupancy: 16
; WaveLimiterHint : 0
; COMPUTE_PGM_RSRC2:SCRATCH_EN: 0
; COMPUTE_PGM_RSRC2:USER_SGPR: 6
; COMPUTE_PGM_RSRC2:TRAP_HANDLER: 0
; COMPUTE_PGM_RSRC2:TGID_X_EN: 1
; COMPUTE_PGM_RSRC2:TGID_Y_EN: 1
; COMPUTE_PGM_RSRC2:TGID_Z_EN: 1
; COMPUTE_PGM_RSRC2:TIDIG_COMP_CNT: 1
	.section	.text._ZL44rocblas_set_matrix_zero_if_alpha_zero_kernelILi16ELi16E19rocblas_complex_numIdEPKPS1_EviiT1_lT2_lli,"axG",@progbits,_ZL44rocblas_set_matrix_zero_if_alpha_zero_kernelILi16ELi16E19rocblas_complex_numIdEPKPS1_EviiT1_lT2_lli,comdat
	.globl	_ZL44rocblas_set_matrix_zero_if_alpha_zero_kernelILi16ELi16E19rocblas_complex_numIdEPKPS1_EviiT1_lT2_lli ; -- Begin function _ZL44rocblas_set_matrix_zero_if_alpha_zero_kernelILi16ELi16E19rocblas_complex_numIdEPKPS1_EviiT1_lT2_lli
	.p2align	8
	.type	_ZL44rocblas_set_matrix_zero_if_alpha_zero_kernelILi16ELi16E19rocblas_complex_numIdEPKPS1_EviiT1_lT2_lli,@function
_ZL44rocblas_set_matrix_zero_if_alpha_zero_kernelILi16ELi16E19rocblas_complex_numIdEPKPS1_EviiT1_lT2_lli: ; @_ZL44rocblas_set_matrix_zero_if_alpha_zero_kernelILi16ELi16E19rocblas_complex_numIdEPKPS1_EviiT1_lT2_lli
; %bb.0:
	s_load_dwordx4 s[0:3], s[4:5], 0x8
	s_waitcnt lgkmcnt(0)
	v_cmp_eq_f64_e64 s0, s[0:1], 0
	v_cmp_eq_f64_e64 s1, s[2:3], 0
	s_and_b32 s0, s0, s1
	s_andn2_b32 vcc_lo, exec_lo, s0
	s_cbranch_vccnz .LBB205_4
; %bb.1:
	s_load_dwordx2 s[0:1], s[4:5], 0x0
	v_mov_b32_e32 v3, 0
	v_lshl_add_u32 v2, s6, 4, v0
	v_lshl_add_u32 v0, s7, 4, v1
	v_mov_b32_e32 v1, v3
	s_waitcnt lgkmcnt(0)
	s_ashr_i32 s3, s0, 31
	s_mov_b32 s2, s0
	s_ashr_i32 s7, s1, 31
	s_mov_b32 s6, s1
	v_cmp_gt_i64_e32 vcc_lo, s[2:3], v[2:3]
	v_cmp_gt_i64_e64 s0, s[6:7], v[0:1]
	s_and_b32 s0, vcc_lo, s0
	s_and_saveexec_b32 s1, s0
	s_cbranch_execz .LBB205_4
; %bb.2:
	s_clause 0x1
	s_load_dwordx4 s[0:3], s[4:5], 0x20
	s_load_dwordx2 s[10:11], s[4:5], 0x30
	s_mov_b32 s9, 0
	s_load_dword s12, s[4:5], 0x44
	s_lshl_b64 s[4:5], s[8:9], 3
	s_waitcnt lgkmcnt(0)
	v_mad_u64_u32 v[4:5], null, s2, v0, 0
	s_add_u32 s0, s0, s4
	s_addc_u32 s1, s1, s5
	s_lshl_b64 s[10:11], s[10:11], 4
	s_load_dwordx2 s[4:5], s[0:1], 0x0
	s_lshl_b32 s1, s12, 4
	s_mul_i32 s0, s3, s1
	v_mad_u64_u32 v[5:6], null, s3, v0, v[5:6]
	v_lshlrev_b64 v[6:7], 4, v[2:3]
	s_mul_hi_u32 s3, s2, s1
	v_mov_b32_e32 v2, v3
	s_add_i32 s3, s3, s0
	s_mul_i32 s2, s2, s1
	v_lshlrev_b64 v[8:9], 4, v[4:5]
	v_mov_b32_e32 v4, v3
	s_lshl_b64 s[2:3], s[2:3], 4
	v_add_co_u32 v5, vcc_lo, v8, s10
	v_add_co_ci_u32_e64 v8, null, s11, v9, vcc_lo
	v_add_co_u32 v5, vcc_lo, v5, v6
	v_add_co_ci_u32_e64 v7, null, v8, v7, vcc_lo
	s_waitcnt lgkmcnt(0)
	v_add_co_u32 v6, vcc_lo, s4, v5
	v_add_co_ci_u32_e64 v7, null, s5, v7, vcc_lo
	v_mov_b32_e32 v5, v3
.LBB205_3:                              ; =>This Inner Loop Header: Depth=1
	v_add_co_u32 v0, vcc_lo, v0, s1
	v_add_co_ci_u32_e64 v1, null, 0, v1, vcc_lo
	flat_store_dwordx4 v[6:7], v[2:5]
	v_add_co_u32 v6, s0, v6, s2
	v_cmp_le_i64_e32 vcc_lo, s[6:7], v[0:1]
	v_add_co_ci_u32_e64 v7, null, s3, v7, s0
	s_or_b32 s9, vcc_lo, s9
	s_andn2_b32 exec_lo, exec_lo, s9
	s_cbranch_execnz .LBB205_3
.LBB205_4:
	s_endpgm
	.section	.rodata,"a",@progbits
	.p2align	6, 0x0
	.amdhsa_kernel _ZL44rocblas_set_matrix_zero_if_alpha_zero_kernelILi16ELi16E19rocblas_complex_numIdEPKPS1_EviiT1_lT2_lli
		.amdhsa_group_segment_fixed_size 0
		.amdhsa_private_segment_fixed_size 0
		.amdhsa_kernarg_size 320
		.amdhsa_user_sgpr_count 6
		.amdhsa_user_sgpr_private_segment_buffer 1
		.amdhsa_user_sgpr_dispatch_ptr 0
		.amdhsa_user_sgpr_queue_ptr 0
		.amdhsa_user_sgpr_kernarg_segment_ptr 1
		.amdhsa_user_sgpr_dispatch_id 0
		.amdhsa_user_sgpr_flat_scratch_init 0
		.amdhsa_user_sgpr_private_segment_size 0
		.amdhsa_wavefront_size32 1
		.amdhsa_uses_dynamic_stack 0
		.amdhsa_system_sgpr_private_segment_wavefront_offset 0
		.amdhsa_system_sgpr_workgroup_id_x 1
		.amdhsa_system_sgpr_workgroup_id_y 1
		.amdhsa_system_sgpr_workgroup_id_z 1
		.amdhsa_system_sgpr_workgroup_info 0
		.amdhsa_system_vgpr_workitem_id 1
		.amdhsa_next_free_vgpr 10
		.amdhsa_next_free_sgpr 13
		.amdhsa_reserve_vcc 1
		.amdhsa_reserve_flat_scratch 0
		.amdhsa_float_round_mode_32 0
		.amdhsa_float_round_mode_16_64 0
		.amdhsa_float_denorm_mode_32 3
		.amdhsa_float_denorm_mode_16_64 3
		.amdhsa_dx10_clamp 1
		.amdhsa_ieee_mode 1
		.amdhsa_fp16_overflow 0
		.amdhsa_workgroup_processor_mode 1
		.amdhsa_memory_ordered 1
		.amdhsa_forward_progress 1
		.amdhsa_shared_vgpr_count 0
		.amdhsa_exception_fp_ieee_invalid_op 0
		.amdhsa_exception_fp_denorm_src 0
		.amdhsa_exception_fp_ieee_div_zero 0
		.amdhsa_exception_fp_ieee_overflow 0
		.amdhsa_exception_fp_ieee_underflow 0
		.amdhsa_exception_fp_ieee_inexact 0
		.amdhsa_exception_int_div_zero 0
	.end_amdhsa_kernel
	.section	.text._ZL44rocblas_set_matrix_zero_if_alpha_zero_kernelILi16ELi16E19rocblas_complex_numIdEPKPS1_EviiT1_lT2_lli,"axG",@progbits,_ZL44rocblas_set_matrix_zero_if_alpha_zero_kernelILi16ELi16E19rocblas_complex_numIdEPKPS1_EviiT1_lT2_lli,comdat
.Lfunc_end205:
	.size	_ZL44rocblas_set_matrix_zero_if_alpha_zero_kernelILi16ELi16E19rocblas_complex_numIdEPKPS1_EviiT1_lT2_lli, .Lfunc_end205-_ZL44rocblas_set_matrix_zero_if_alpha_zero_kernelILi16ELi16E19rocblas_complex_numIdEPKPS1_EviiT1_lT2_lli
                                        ; -- End function
	.set _ZL44rocblas_set_matrix_zero_if_alpha_zero_kernelILi16ELi16E19rocblas_complex_numIdEPKPS1_EviiT1_lT2_lli.num_vgpr, 10
	.set _ZL44rocblas_set_matrix_zero_if_alpha_zero_kernelILi16ELi16E19rocblas_complex_numIdEPKPS1_EviiT1_lT2_lli.num_agpr, 0
	.set _ZL44rocblas_set_matrix_zero_if_alpha_zero_kernelILi16ELi16E19rocblas_complex_numIdEPKPS1_EviiT1_lT2_lli.numbered_sgpr, 13
	.set _ZL44rocblas_set_matrix_zero_if_alpha_zero_kernelILi16ELi16E19rocblas_complex_numIdEPKPS1_EviiT1_lT2_lli.num_named_barrier, 0
	.set _ZL44rocblas_set_matrix_zero_if_alpha_zero_kernelILi16ELi16E19rocblas_complex_numIdEPKPS1_EviiT1_lT2_lli.private_seg_size, 0
	.set _ZL44rocblas_set_matrix_zero_if_alpha_zero_kernelILi16ELi16E19rocblas_complex_numIdEPKPS1_EviiT1_lT2_lli.uses_vcc, 1
	.set _ZL44rocblas_set_matrix_zero_if_alpha_zero_kernelILi16ELi16E19rocblas_complex_numIdEPKPS1_EviiT1_lT2_lli.uses_flat_scratch, 0
	.set _ZL44rocblas_set_matrix_zero_if_alpha_zero_kernelILi16ELi16E19rocblas_complex_numIdEPKPS1_EviiT1_lT2_lli.has_dyn_sized_stack, 0
	.set _ZL44rocblas_set_matrix_zero_if_alpha_zero_kernelILi16ELi16E19rocblas_complex_numIdEPKPS1_EviiT1_lT2_lli.has_recursion, 0
	.set _ZL44rocblas_set_matrix_zero_if_alpha_zero_kernelILi16ELi16E19rocblas_complex_numIdEPKPS1_EviiT1_lT2_lli.has_indirect_call, 0
	.section	.AMDGPU.csdata,"",@progbits
; Kernel info:
; codeLenInByte = 356
; TotalNumSgprs: 15
; NumVgprs: 10
; ScratchSize: 0
; MemoryBound: 0
; FloatMode: 240
; IeeeMode: 1
; LDSByteSize: 0 bytes/workgroup (compile time only)
; SGPRBlocks: 0
; VGPRBlocks: 1
; NumSGPRsForWavesPerEU: 15
; NumVGPRsForWavesPerEU: 10
; Occupancy: 16
; WaveLimiterHint : 0
; COMPUTE_PGM_RSRC2:SCRATCH_EN: 0
; COMPUTE_PGM_RSRC2:USER_SGPR: 6
; COMPUTE_PGM_RSRC2:TRAP_HANDLER: 0
; COMPUTE_PGM_RSRC2:TGID_X_EN: 1
; COMPUTE_PGM_RSRC2:TGID_Y_EN: 1
; COMPUTE_PGM_RSRC2:TGID_Z_EN: 1
; COMPUTE_PGM_RSRC2:TIDIG_COMP_CNT: 1
	.section	.text._ZL44rocblas_set_matrix_zero_if_alpha_zero_kernelILi16ELi16EPK19rocblas_complex_numIdEPS1_EviiT1_lT2_lli,"axG",@progbits,_ZL44rocblas_set_matrix_zero_if_alpha_zero_kernelILi16ELi16EPK19rocblas_complex_numIdEPS1_EviiT1_lT2_lli,comdat
	.globl	_ZL44rocblas_set_matrix_zero_if_alpha_zero_kernelILi16ELi16EPK19rocblas_complex_numIdEPS1_EviiT1_lT2_lli ; -- Begin function _ZL44rocblas_set_matrix_zero_if_alpha_zero_kernelILi16ELi16EPK19rocblas_complex_numIdEPS1_EviiT1_lT2_lli
	.p2align	8
	.type	_ZL44rocblas_set_matrix_zero_if_alpha_zero_kernelILi16ELi16EPK19rocblas_complex_numIdEPS1_EviiT1_lT2_lli,@function
_ZL44rocblas_set_matrix_zero_if_alpha_zero_kernelILi16ELi16EPK19rocblas_complex_numIdEPS1_EviiT1_lT2_lli: ; @_ZL44rocblas_set_matrix_zero_if_alpha_zero_kernelILi16ELi16EPK19rocblas_complex_numIdEPS1_EviiT1_lT2_lli
; %bb.0:
	s_load_dwordx8 s[12:19], s[4:5], 0x8
	s_waitcnt lgkmcnt(0)
	s_mul_i32 s1, s15, s8
	s_mul_hi_u32 s2, s14, s8
	s_mul_i32 s0, s14, s8
	s_add_i32 s1, s2, s1
	s_lshl_b64 s[0:1], s[0:1], 4
	s_add_u32 s0, s12, s0
	s_addc_u32 s1, s13, s1
	s_load_dwordx4 s[0:3], s[0:1], 0x0
	s_waitcnt lgkmcnt(0)
	v_cmp_eq_f64_e64 s0, s[0:1], 0
	v_cmp_eq_f64_e64 s1, s[2:3], 0
	s_and_b32 s0, s0, s1
	s_andn2_b32 vcc_lo, exec_lo, s0
	s_cbranch_vccnz .LBB206_4
; %bb.1:
	s_load_dwordx2 s[0:1], s[4:5], 0x0
	v_mov_b32_e32 v3, 0
	v_lshl_add_u32 v2, s6, 4, v0
	v_lshl_add_u32 v0, s7, 4, v1
	v_mov_b32_e32 v1, v3
	s_waitcnt lgkmcnt(0)
	s_ashr_i32 s7, s0, 31
	s_mov_b32 s6, s0
	s_ashr_i32 s3, s1, 31
	s_mov_b32 s2, s1
	v_cmp_gt_i64_e32 vcc_lo, s[6:7], v[2:3]
	v_cmp_gt_i64_e64 s0, s[2:3], v[0:1]
	s_and_b32 s0, vcc_lo, s0
	s_and_saveexec_b32 s1, s0
	s_cbranch_execz .LBB206_4
; %bb.2:
	v_mad_u64_u32 v[5:6], null, s18, v0, 0
	s_clause 0x1
	s_load_dwordx2 s[0:1], s[4:5], 0x28
	s_load_dword s6, s[4:5], 0x3c
	v_mov_b32_e32 v4, v6
	v_mad_u64_u32 v[6:7], null, s19, v0, v[4:5]
	v_lshlrev_b64 v[7:8], 4, v[2:3]
	v_mov_b32_e32 v2, v3
	v_mov_b32_e32 v4, v3
	v_lshlrev_b64 v[5:6], 4, v[5:6]
	s_waitcnt lgkmcnt(0)
	s_mul_i32 s1, s1, s8
	s_mul_hi_u32 s5, s0, s8
	s_mul_i32 s4, s0, s8
	s_add_i32 s5, s5, s1
	s_lshl_b32 s1, s6, 4
	s_lshl_b64 s[4:5], s[4:5], 4
	s_mul_i32 s0, s19, s1
	v_add_co_u32 v5, vcc_lo, s4, v5
	v_add_co_ci_u32_e64 v6, null, s5, v6, vcc_lo
	s_mul_hi_u32 s4, s18, s1
	v_add_co_u32 v5, vcc_lo, v5, v7
	v_add_co_ci_u32_e64 v6, null, v6, v8, vcc_lo
	s_add_i32 s5, s4, s0
	v_add_co_u32 v5, vcc_lo, s16, v5
	v_add_co_ci_u32_e64 v7, null, s17, v6, vcc_lo
	s_mul_i32 s4, s18, s1
	v_add_co_u32 v6, vcc_lo, v5, 8
	v_add_co_ci_u32_e64 v7, null, 0, v7, vcc_lo
	v_mov_b32_e32 v5, v3
	s_mov_b32 s6, 0
	s_lshl_b64 s[4:5], s[4:5], 4
.LBB206_3:                              ; =>This Inner Loop Header: Depth=1
	v_add_co_u32 v0, vcc_lo, v0, s1
	v_add_co_ci_u32_e64 v1, null, 0, v1, vcc_lo
	global_store_dwordx4 v[6:7], v[2:5], off offset:-8
	v_add_co_u32 v6, s0, v6, s4
	v_cmp_le_i64_e32 vcc_lo, s[2:3], v[0:1]
	v_add_co_ci_u32_e64 v7, null, s5, v7, s0
	s_or_b32 s6, vcc_lo, s6
	s_andn2_b32 exec_lo, exec_lo, s6
	s_cbranch_execnz .LBB206_3
.LBB206_4:
	s_endpgm
	.section	.rodata,"a",@progbits
	.p2align	6, 0x0
	.amdhsa_kernel _ZL44rocblas_set_matrix_zero_if_alpha_zero_kernelILi16ELi16EPK19rocblas_complex_numIdEPS1_EviiT1_lT2_lli
		.amdhsa_group_segment_fixed_size 0
		.amdhsa_private_segment_fixed_size 0
		.amdhsa_kernarg_size 312
		.amdhsa_user_sgpr_count 6
		.amdhsa_user_sgpr_private_segment_buffer 1
		.amdhsa_user_sgpr_dispatch_ptr 0
		.amdhsa_user_sgpr_queue_ptr 0
		.amdhsa_user_sgpr_kernarg_segment_ptr 1
		.amdhsa_user_sgpr_dispatch_id 0
		.amdhsa_user_sgpr_flat_scratch_init 0
		.amdhsa_user_sgpr_private_segment_size 0
		.amdhsa_wavefront_size32 1
		.amdhsa_uses_dynamic_stack 0
		.amdhsa_system_sgpr_private_segment_wavefront_offset 0
		.amdhsa_system_sgpr_workgroup_id_x 1
		.amdhsa_system_sgpr_workgroup_id_y 1
		.amdhsa_system_sgpr_workgroup_id_z 1
		.amdhsa_system_sgpr_workgroup_info 0
		.amdhsa_system_vgpr_workitem_id 1
		.amdhsa_next_free_vgpr 9
		.amdhsa_next_free_sgpr 20
		.amdhsa_reserve_vcc 1
		.amdhsa_reserve_flat_scratch 0
		.amdhsa_float_round_mode_32 0
		.amdhsa_float_round_mode_16_64 0
		.amdhsa_float_denorm_mode_32 3
		.amdhsa_float_denorm_mode_16_64 3
		.amdhsa_dx10_clamp 1
		.amdhsa_ieee_mode 1
		.amdhsa_fp16_overflow 0
		.amdhsa_workgroup_processor_mode 1
		.amdhsa_memory_ordered 1
		.amdhsa_forward_progress 1
		.amdhsa_shared_vgpr_count 0
		.amdhsa_exception_fp_ieee_invalid_op 0
		.amdhsa_exception_fp_denorm_src 0
		.amdhsa_exception_fp_ieee_div_zero 0
		.amdhsa_exception_fp_ieee_overflow 0
		.amdhsa_exception_fp_ieee_underflow 0
		.amdhsa_exception_fp_ieee_inexact 0
		.amdhsa_exception_int_div_zero 0
	.end_amdhsa_kernel
	.section	.text._ZL44rocblas_set_matrix_zero_if_alpha_zero_kernelILi16ELi16EPK19rocblas_complex_numIdEPS1_EviiT1_lT2_lli,"axG",@progbits,_ZL44rocblas_set_matrix_zero_if_alpha_zero_kernelILi16ELi16EPK19rocblas_complex_numIdEPS1_EviiT1_lT2_lli,comdat
.Lfunc_end206:
	.size	_ZL44rocblas_set_matrix_zero_if_alpha_zero_kernelILi16ELi16EPK19rocblas_complex_numIdEPS1_EviiT1_lT2_lli, .Lfunc_end206-_ZL44rocblas_set_matrix_zero_if_alpha_zero_kernelILi16ELi16EPK19rocblas_complex_numIdEPS1_EviiT1_lT2_lli
                                        ; -- End function
	.set _ZL44rocblas_set_matrix_zero_if_alpha_zero_kernelILi16ELi16EPK19rocblas_complex_numIdEPS1_EviiT1_lT2_lli.num_vgpr, 9
	.set _ZL44rocblas_set_matrix_zero_if_alpha_zero_kernelILi16ELi16EPK19rocblas_complex_numIdEPS1_EviiT1_lT2_lli.num_agpr, 0
	.set _ZL44rocblas_set_matrix_zero_if_alpha_zero_kernelILi16ELi16EPK19rocblas_complex_numIdEPS1_EviiT1_lT2_lli.numbered_sgpr, 20
	.set _ZL44rocblas_set_matrix_zero_if_alpha_zero_kernelILi16ELi16EPK19rocblas_complex_numIdEPS1_EviiT1_lT2_lli.num_named_barrier, 0
	.set _ZL44rocblas_set_matrix_zero_if_alpha_zero_kernelILi16ELi16EPK19rocblas_complex_numIdEPS1_EviiT1_lT2_lli.private_seg_size, 0
	.set _ZL44rocblas_set_matrix_zero_if_alpha_zero_kernelILi16ELi16EPK19rocblas_complex_numIdEPS1_EviiT1_lT2_lli.uses_vcc, 1
	.set _ZL44rocblas_set_matrix_zero_if_alpha_zero_kernelILi16ELi16EPK19rocblas_complex_numIdEPS1_EviiT1_lT2_lli.uses_flat_scratch, 0
	.set _ZL44rocblas_set_matrix_zero_if_alpha_zero_kernelILi16ELi16EPK19rocblas_complex_numIdEPS1_EviiT1_lT2_lli.has_dyn_sized_stack, 0
	.set _ZL44rocblas_set_matrix_zero_if_alpha_zero_kernelILi16ELi16EPK19rocblas_complex_numIdEPS1_EviiT1_lT2_lli.has_recursion, 0
	.set _ZL44rocblas_set_matrix_zero_if_alpha_zero_kernelILi16ELi16EPK19rocblas_complex_numIdEPS1_EviiT1_lT2_lli.has_indirect_call, 0
	.section	.AMDGPU.csdata,"",@progbits
; Kernel info:
; codeLenInByte = 400
; TotalNumSgprs: 22
; NumVgprs: 9
; ScratchSize: 0
; MemoryBound: 0
; FloatMode: 240
; IeeeMode: 1
; LDSByteSize: 0 bytes/workgroup (compile time only)
; SGPRBlocks: 0
; VGPRBlocks: 1
; NumSGPRsForWavesPerEU: 22
; NumVGPRsForWavesPerEU: 9
; Occupancy: 16
; WaveLimiterHint : 0
; COMPUTE_PGM_RSRC2:SCRATCH_EN: 0
; COMPUTE_PGM_RSRC2:USER_SGPR: 6
; COMPUTE_PGM_RSRC2:TRAP_HANDLER: 0
; COMPUTE_PGM_RSRC2:TGID_X_EN: 1
; COMPUTE_PGM_RSRC2:TGID_Y_EN: 1
; COMPUTE_PGM_RSRC2:TGID_Z_EN: 1
; COMPUTE_PGM_RSRC2:TIDIG_COMP_CNT: 1
	.section	.text._ZL44rocblas_set_matrix_zero_if_alpha_zero_kernelILi16ELi16E19rocblas_complex_numIdEPS1_EviiT1_lT2_lli,"axG",@progbits,_ZL44rocblas_set_matrix_zero_if_alpha_zero_kernelILi16ELi16E19rocblas_complex_numIdEPS1_EviiT1_lT2_lli,comdat
	.globl	_ZL44rocblas_set_matrix_zero_if_alpha_zero_kernelILi16ELi16E19rocblas_complex_numIdEPS1_EviiT1_lT2_lli ; -- Begin function _ZL44rocblas_set_matrix_zero_if_alpha_zero_kernelILi16ELi16E19rocblas_complex_numIdEPS1_EviiT1_lT2_lli
	.p2align	8
	.type	_ZL44rocblas_set_matrix_zero_if_alpha_zero_kernelILi16ELi16E19rocblas_complex_numIdEPS1_EviiT1_lT2_lli,@function
_ZL44rocblas_set_matrix_zero_if_alpha_zero_kernelILi16ELi16E19rocblas_complex_numIdEPS1_EviiT1_lT2_lli: ; @_ZL44rocblas_set_matrix_zero_if_alpha_zero_kernelILi16ELi16E19rocblas_complex_numIdEPS1_EviiT1_lT2_lli
; %bb.0:
	s_load_dwordx4 s[0:3], s[4:5], 0x8
	s_waitcnt lgkmcnt(0)
	v_cmp_eq_f64_e64 s0, s[0:1], 0
	v_cmp_eq_f64_e64 s1, s[2:3], 0
	s_and_b32 s0, s0, s1
	s_andn2_b32 vcc_lo, exec_lo, s0
	s_cbranch_vccnz .LBB207_4
; %bb.1:
	s_load_dwordx2 s[0:1], s[4:5], 0x0
	v_mov_b32_e32 v3, 0
	v_lshl_add_u32 v2, s6, 4, v0
	v_lshl_add_u32 v0, s7, 4, v1
	v_mov_b32_e32 v1, v3
	s_waitcnt lgkmcnt(0)
	s_ashr_i32 s3, s0, 31
	s_mov_b32 s2, s0
	s_ashr_i32 s7, s1, 31
	s_mov_b32 s6, s1
	v_cmp_gt_i64_e32 vcc_lo, s[2:3], v[2:3]
	v_cmp_gt_i64_e64 s0, s[6:7], v[0:1]
	s_and_b32 s0, vcc_lo, s0
	s_and_saveexec_b32 s1, s0
	s_cbranch_execz .LBB207_4
; %bb.2:
	s_clause 0x2
	s_load_dwordx4 s[0:3], s[4:5], 0x20
	s_load_dwordx2 s[10:11], s[4:5], 0x30
	s_load_dword s4, s[4:5], 0x44
	s_waitcnt lgkmcnt(0)
	v_mad_u64_u32 v[5:6], null, s2, v0, 0
	s_mul_i32 s5, s11, s8
	s_mul_hi_u32 s9, s10, s8
	s_mul_i32 s8, s10, s8
	s_add_i32 s9, s9, s5
	s_lshl_b32 s4, s4, 4
	s_lshl_b64 s[8:9], s[8:9], 4
	v_mov_b32_e32 v4, v6
	s_mul_hi_u32 s5, s2, s4
	s_mul_i32 s2, s2, s4
	v_mad_u64_u32 v[6:7], null, s3, v0, v[4:5]
	v_lshlrev_b64 v[7:8], 4, v[2:3]
	s_mul_i32 s3, s3, s4
	v_mov_b32_e32 v2, v3
	v_mov_b32_e32 v4, v3
	s_add_i32 s3, s5, s3
	s_lshl_b64 s[2:3], s[2:3], 4
	v_lshlrev_b64 v[5:6], 4, v[5:6]
	v_add_co_u32 v5, vcc_lo, s8, v5
	v_add_co_ci_u32_e64 v6, null, s9, v6, vcc_lo
	v_add_co_u32 v5, vcc_lo, v5, v7
	v_add_co_ci_u32_e64 v6, null, v6, v8, vcc_lo
	;; [unrolled: 2-line block ×3, first 2 shown]
	s_mov_b32 s1, 0
	v_add_co_u32 v6, vcc_lo, v5, 8
	v_add_co_ci_u32_e64 v7, null, 0, v7, vcc_lo
	v_mov_b32_e32 v5, v3
.LBB207_3:                              ; =>This Inner Loop Header: Depth=1
	v_add_co_u32 v0, vcc_lo, v0, s4
	v_add_co_ci_u32_e64 v1, null, 0, v1, vcc_lo
	global_store_dwordx4 v[6:7], v[2:5], off offset:-8
	v_add_co_u32 v6, s0, v6, s2
	v_cmp_le_i64_e32 vcc_lo, s[6:7], v[0:1]
	v_add_co_ci_u32_e64 v7, null, s3, v7, s0
	s_or_b32 s1, vcc_lo, s1
	s_andn2_b32 exec_lo, exec_lo, s1
	s_cbranch_execnz .LBB207_3
.LBB207_4:
	s_endpgm
	.section	.rodata,"a",@progbits
	.p2align	6, 0x0
	.amdhsa_kernel _ZL44rocblas_set_matrix_zero_if_alpha_zero_kernelILi16ELi16E19rocblas_complex_numIdEPS1_EviiT1_lT2_lli
		.amdhsa_group_segment_fixed_size 0
		.amdhsa_private_segment_fixed_size 0
		.amdhsa_kernarg_size 320
		.amdhsa_user_sgpr_count 6
		.amdhsa_user_sgpr_private_segment_buffer 1
		.amdhsa_user_sgpr_dispatch_ptr 0
		.amdhsa_user_sgpr_queue_ptr 0
		.amdhsa_user_sgpr_kernarg_segment_ptr 1
		.amdhsa_user_sgpr_dispatch_id 0
		.amdhsa_user_sgpr_flat_scratch_init 0
		.amdhsa_user_sgpr_private_segment_size 0
		.amdhsa_wavefront_size32 1
		.amdhsa_uses_dynamic_stack 0
		.amdhsa_system_sgpr_private_segment_wavefront_offset 0
		.amdhsa_system_sgpr_workgroup_id_x 1
		.amdhsa_system_sgpr_workgroup_id_y 1
		.amdhsa_system_sgpr_workgroup_id_z 1
		.amdhsa_system_sgpr_workgroup_info 0
		.amdhsa_system_vgpr_workitem_id 1
		.amdhsa_next_free_vgpr 9
		.amdhsa_next_free_sgpr 12
		.amdhsa_reserve_vcc 1
		.amdhsa_reserve_flat_scratch 0
		.amdhsa_float_round_mode_32 0
		.amdhsa_float_round_mode_16_64 0
		.amdhsa_float_denorm_mode_32 3
		.amdhsa_float_denorm_mode_16_64 3
		.amdhsa_dx10_clamp 1
		.amdhsa_ieee_mode 1
		.amdhsa_fp16_overflow 0
		.amdhsa_workgroup_processor_mode 1
		.amdhsa_memory_ordered 1
		.amdhsa_forward_progress 1
		.amdhsa_shared_vgpr_count 0
		.amdhsa_exception_fp_ieee_invalid_op 0
		.amdhsa_exception_fp_denorm_src 0
		.amdhsa_exception_fp_ieee_div_zero 0
		.amdhsa_exception_fp_ieee_overflow 0
		.amdhsa_exception_fp_ieee_underflow 0
		.amdhsa_exception_fp_ieee_inexact 0
		.amdhsa_exception_int_div_zero 0
	.end_amdhsa_kernel
	.section	.text._ZL44rocblas_set_matrix_zero_if_alpha_zero_kernelILi16ELi16E19rocblas_complex_numIdEPS1_EviiT1_lT2_lli,"axG",@progbits,_ZL44rocblas_set_matrix_zero_if_alpha_zero_kernelILi16ELi16E19rocblas_complex_numIdEPS1_EviiT1_lT2_lli,comdat
.Lfunc_end207:
	.size	_ZL44rocblas_set_matrix_zero_if_alpha_zero_kernelILi16ELi16E19rocblas_complex_numIdEPS1_EviiT1_lT2_lli, .Lfunc_end207-_ZL44rocblas_set_matrix_zero_if_alpha_zero_kernelILi16ELi16E19rocblas_complex_numIdEPS1_EviiT1_lT2_lli
                                        ; -- End function
	.set _ZL44rocblas_set_matrix_zero_if_alpha_zero_kernelILi16ELi16E19rocblas_complex_numIdEPS1_EviiT1_lT2_lli.num_vgpr, 9
	.set _ZL44rocblas_set_matrix_zero_if_alpha_zero_kernelILi16ELi16E19rocblas_complex_numIdEPS1_EviiT1_lT2_lli.num_agpr, 0
	.set _ZL44rocblas_set_matrix_zero_if_alpha_zero_kernelILi16ELi16E19rocblas_complex_numIdEPS1_EviiT1_lT2_lli.numbered_sgpr, 12
	.set _ZL44rocblas_set_matrix_zero_if_alpha_zero_kernelILi16ELi16E19rocblas_complex_numIdEPS1_EviiT1_lT2_lli.num_named_barrier, 0
	.set _ZL44rocblas_set_matrix_zero_if_alpha_zero_kernelILi16ELi16E19rocblas_complex_numIdEPS1_EviiT1_lT2_lli.private_seg_size, 0
	.set _ZL44rocblas_set_matrix_zero_if_alpha_zero_kernelILi16ELi16E19rocblas_complex_numIdEPS1_EviiT1_lT2_lli.uses_vcc, 1
	.set _ZL44rocblas_set_matrix_zero_if_alpha_zero_kernelILi16ELi16E19rocblas_complex_numIdEPS1_EviiT1_lT2_lli.uses_flat_scratch, 0
	.set _ZL44rocblas_set_matrix_zero_if_alpha_zero_kernelILi16ELi16E19rocblas_complex_numIdEPS1_EviiT1_lT2_lli.has_dyn_sized_stack, 0
	.set _ZL44rocblas_set_matrix_zero_if_alpha_zero_kernelILi16ELi16E19rocblas_complex_numIdEPS1_EviiT1_lT2_lli.has_recursion, 0
	.set _ZL44rocblas_set_matrix_zero_if_alpha_zero_kernelILi16ELi16E19rocblas_complex_numIdEPS1_EviiT1_lT2_lli.has_indirect_call, 0
	.section	.AMDGPU.csdata,"",@progbits
; Kernel info:
; codeLenInByte = 368
; TotalNumSgprs: 14
; NumVgprs: 9
; ScratchSize: 0
; MemoryBound: 0
; FloatMode: 240
; IeeeMode: 1
; LDSByteSize: 0 bytes/workgroup (compile time only)
; SGPRBlocks: 0
; VGPRBlocks: 1
; NumSGPRsForWavesPerEU: 14
; NumVGPRsForWavesPerEU: 9
; Occupancy: 16
; WaveLimiterHint : 0
; COMPUTE_PGM_RSRC2:SCRATCH_EN: 0
; COMPUTE_PGM_RSRC2:USER_SGPR: 6
; COMPUTE_PGM_RSRC2:TRAP_HANDLER: 0
; COMPUTE_PGM_RSRC2:TGID_X_EN: 1
; COMPUTE_PGM_RSRC2:TGID_Y_EN: 1
; COMPUTE_PGM_RSRC2:TGID_Z_EN: 1
; COMPUTE_PGM_RSRC2:TIDIG_COMP_CNT: 1
	.section	.AMDGPU.gpr_maximums,"",@progbits
	.set amdgpu.max_num_vgpr, 0
	.set amdgpu.max_num_agpr, 0
	.set amdgpu.max_num_sgpr, 0
	.section	.AMDGPU.csdata,"",@progbits
	.type	__hip_cuid_76a019ea32aea33b,@object ; @__hip_cuid_76a019ea32aea33b
	.section	.bss,"aw",@nobits
	.globl	__hip_cuid_76a019ea32aea33b
__hip_cuid_76a019ea32aea33b:
	.byte	0                               ; 0x0
	.size	__hip_cuid_76a019ea32aea33b, 1

	.ident	"AMD clang version 22.0.0git (https://github.com/RadeonOpenCompute/llvm-project roc-7.2.4 26084 f58b06dce1f9c15707c5f808fd002e18c2accf7e)"
	.section	".note.GNU-stack","",@progbits
	.addrsig
	.addrsig_sym __hip_cuid_76a019ea32aea33b
	.amdgpu_metadata
---
amdhsa.kernels:
  - .args:
      - .offset:         0
        .size:           4
        .value_kind:     by_value
      - .offset:         4
        .size:           4
        .value_kind:     by_value
      - .offset:         8
        .size:           4
        .value_kind:     by_value
      - .address_space:  global
        .offset:         16
        .size:           8
        .value_kind:     global_buffer
      - .offset:         24
        .size:           8
        .value_kind:     by_value
      - .address_space:  global
        .offset:         32
        .size:           8
        .value_kind:     global_buffer
      - .offset:         40
        .size:           8
        .value_kind:     by_value
      - .offset:         48
        .size:           8
        .value_kind:     by_value
      - .offset:         56
        .size:           8
        .value_kind:     by_value
      - .address_space:  global
        .offset:         64
        .size:           8
        .value_kind:     global_buffer
      - .offset:         72
        .size:           8
        .value_kind:     by_value
      - .offset:         80
        .size:           8
        .value_kind:     by_value
      - .offset:         88
        .size:           8
        .value_kind:     by_value
      - .address_space:  global
        .offset:         96
        .size:           8
        .value_kind:     global_buffer
      - .offset:         104
        .size:           8
        .value_kind:     by_value
      - .offset:         112
        .size:           8
        .value_kind:     by_value
      - .offset:         120
        .size:           8
        .value_kind:     by_value
      - .offset:         128
        .size:           4
        .value_kind:     by_value
      - .offset:         136
        .size:           4
        .value_kind:     hidden_block_count_x
      - .offset:         140
        .size:           4
        .value_kind:     hidden_block_count_y
      - .offset:         144
        .size:           4
        .value_kind:     hidden_block_count_z
      - .offset:         148
        .size:           2
        .value_kind:     hidden_group_size_x
      - .offset:         150
        .size:           2
        .value_kind:     hidden_group_size_y
      - .offset:         152
        .size:           2
        .value_kind:     hidden_group_size_z
      - .offset:         154
        .size:           2
        .value_kind:     hidden_remainder_x
      - .offset:         156
        .size:           2
        .value_kind:     hidden_remainder_y
      - .offset:         158
        .size:           2
        .value_kind:     hidden_remainder_z
      - .offset:         176
        .size:           8
        .value_kind:     hidden_global_offset_x
      - .offset:         184
        .size:           8
        .value_kind:     hidden_global_offset_y
      - .offset:         192
        .size:           8
        .value_kind:     hidden_global_offset_z
      - .offset:         200
        .size:           2
        .value_kind:     hidden_grid_dims
    .group_segment_fixed_size: 8192
    .kernarg_segment_align: 8
    .kernarg_segment_size: 392
    .language:       OpenCL C
    .language_version:
      - 2
      - 0
    .max_flat_workgroup_size: 1024
    .name:           _ZL30rocblas_trmm_outofplace_kernelIfLi32ELi2ELb1ELb0ELb0ELb0EPKfS0_fEv17rocblas_diagonal_iiT6_lPT7_lllS5_lllPT8_llli
    .private_segment_fixed_size: 0
    .sgpr_count:     50
    .sgpr_spill_count: 0
    .symbol:         _ZL30rocblas_trmm_outofplace_kernelIfLi32ELi2ELb1ELb0ELb0ELb0EPKfS0_fEv17rocblas_diagonal_iiT6_lPT7_lllS5_lllPT8_llli.kd
    .uniform_work_group_size: 1
    .uses_dynamic_stack: false
    .vgpr_count:     68
    .vgpr_spill_count: 0
    .wavefront_size: 32
    .workgroup_processor_mode: 1
  - .args:
      - .offset:         0
        .size:           4
        .value_kind:     by_value
      - .offset:         4
        .size:           4
        .value_kind:     by_value
      - .offset:         8
        .size:           4
        .value_kind:     by_value
      - .offset:         12
        .size:           4
        .value_kind:     by_value
      - .offset:         16
        .size:           8
        .value_kind:     by_value
      - .address_space:  global
        .offset:         24
        .size:           8
        .value_kind:     global_buffer
      - .offset:         32
        .size:           8
        .value_kind:     by_value
      - .offset:         40
        .size:           8
        .value_kind:     by_value
      - .offset:         48
        .size:           8
        .value_kind:     by_value
      - .address_space:  global
        .offset:         56
        .size:           8
        .value_kind:     global_buffer
      - .offset:         64
        .size:           8
        .value_kind:     by_value
      - .offset:         72
        .size:           8
        .value_kind:     by_value
      - .offset:         80
        .size:           8
        .value_kind:     by_value
      - .address_space:  global
        .offset:         88
        .size:           8
        .value_kind:     global_buffer
      - .offset:         96
        .size:           8
        .value_kind:     by_value
      - .offset:         104
        .size:           8
        .value_kind:     by_value
      - .offset:         112
        .size:           8
        .value_kind:     by_value
      - .offset:         120
        .size:           4
        .value_kind:     by_value
      - .offset:         128
        .size:           4
        .value_kind:     hidden_block_count_x
      - .offset:         132
        .size:           4
        .value_kind:     hidden_block_count_y
      - .offset:         136
        .size:           4
        .value_kind:     hidden_block_count_z
      - .offset:         140
        .size:           2
        .value_kind:     hidden_group_size_x
      - .offset:         142
        .size:           2
        .value_kind:     hidden_group_size_y
      - .offset:         144
        .size:           2
        .value_kind:     hidden_group_size_z
      - .offset:         146
        .size:           2
        .value_kind:     hidden_remainder_x
      - .offset:         148
        .size:           2
        .value_kind:     hidden_remainder_y
      - .offset:         150
        .size:           2
        .value_kind:     hidden_remainder_z
      - .offset:         168
        .size:           8
        .value_kind:     hidden_global_offset_x
      - .offset:         176
        .size:           8
        .value_kind:     hidden_global_offset_y
      - .offset:         184
        .size:           8
        .value_kind:     hidden_global_offset_z
      - .offset:         192
        .size:           2
        .value_kind:     hidden_grid_dims
    .group_segment_fixed_size: 8192
    .kernarg_segment_align: 8
    .kernarg_segment_size: 384
    .language:       OpenCL C
    .language_version:
      - 2
      - 0
    .max_flat_workgroup_size: 1024
    .name:           _ZL30rocblas_trmm_outofplace_kernelIfLi32ELi2ELb1ELb0ELb0ELb0EfKffEv17rocblas_diagonal_iiT6_lPT7_lllS4_lllPT8_llli
    .private_segment_fixed_size: 0
    .sgpr_count:     50
    .sgpr_spill_count: 0
    .symbol:         _ZL30rocblas_trmm_outofplace_kernelIfLi32ELi2ELb1ELb0ELb0ELb0EfKffEv17rocblas_diagonal_iiT6_lPT7_lllS4_lllPT8_llli.kd
    .uniform_work_group_size: 1
    .uses_dynamic_stack: false
    .vgpr_count:     68
    .vgpr_spill_count: 0
    .wavefront_size: 32
    .workgroup_processor_mode: 1
  - .args:
      - .offset:         0
        .size:           4
        .value_kind:     by_value
      - .offset:         4
        .size:           4
        .value_kind:     by_value
      - .offset:         8
        .size:           4
        .value_kind:     by_value
      - .address_space:  global
        .offset:         16
        .size:           8
        .value_kind:     global_buffer
      - .offset:         24
        .size:           8
        .value_kind:     by_value
      - .address_space:  global
        .offset:         32
        .size:           8
        .value_kind:     global_buffer
      - .offset:         40
        .size:           8
        .value_kind:     by_value
      - .offset:         48
        .size:           8
        .value_kind:     by_value
      - .offset:         56
        .size:           8
        .value_kind:     by_value
      - .address_space:  global
        .offset:         64
        .size:           8
        .value_kind:     global_buffer
      - .offset:         72
        .size:           8
        .value_kind:     by_value
      - .offset:         80
        .size:           8
        .value_kind:     by_value
      - .offset:         88
        .size:           8
        .value_kind:     by_value
      - .address_space:  global
        .offset:         96
        .size:           8
        .value_kind:     global_buffer
      - .offset:         104
        .size:           8
        .value_kind:     by_value
      - .offset:         112
        .size:           8
        .value_kind:     by_value
      - .offset:         120
        .size:           8
        .value_kind:     by_value
      - .offset:         128
        .size:           4
        .value_kind:     by_value
      - .offset:         136
        .size:           4
        .value_kind:     hidden_block_count_x
      - .offset:         140
        .size:           4
        .value_kind:     hidden_block_count_y
      - .offset:         144
        .size:           4
        .value_kind:     hidden_block_count_z
      - .offset:         148
        .size:           2
        .value_kind:     hidden_group_size_x
      - .offset:         150
        .size:           2
        .value_kind:     hidden_group_size_y
      - .offset:         152
        .size:           2
        .value_kind:     hidden_group_size_z
      - .offset:         154
        .size:           2
        .value_kind:     hidden_remainder_x
      - .offset:         156
        .size:           2
        .value_kind:     hidden_remainder_y
      - .offset:         158
        .size:           2
        .value_kind:     hidden_remainder_z
      - .offset:         176
        .size:           8
        .value_kind:     hidden_global_offset_x
      - .offset:         184
        .size:           8
        .value_kind:     hidden_global_offset_y
      - .offset:         192
        .size:           8
        .value_kind:     hidden_global_offset_z
      - .offset:         200
        .size:           2
        .value_kind:     hidden_grid_dims
    .group_segment_fixed_size: 8192
    .kernarg_segment_align: 8
    .kernarg_segment_size: 392
    .language:       OpenCL C
    .language_version:
      - 2
      - 0
    .max_flat_workgroup_size: 1024
    .name:           _ZL30rocblas_trmm_outofplace_kernelIfLi32ELi2ELb1ELb1ELb0ELb0EPKfS0_fEv17rocblas_diagonal_iiT6_lPT7_lllS5_lllPT8_llli
    .private_segment_fixed_size: 0
    .sgpr_count:     50
    .sgpr_spill_count: 0
    .symbol:         _ZL30rocblas_trmm_outofplace_kernelIfLi32ELi2ELb1ELb1ELb0ELb0EPKfS0_fEv17rocblas_diagonal_iiT6_lPT7_lllS5_lllPT8_llli.kd
    .uniform_work_group_size: 1
    .uses_dynamic_stack: false
    .vgpr_count:     67
    .vgpr_spill_count: 0
    .wavefront_size: 32
    .workgroup_processor_mode: 1
  - .args:
      - .offset:         0
        .size:           4
        .value_kind:     by_value
      - .offset:         4
        .size:           4
        .value_kind:     by_value
      - .offset:         8
        .size:           4
        .value_kind:     by_value
      - .offset:         12
        .size:           4
        .value_kind:     by_value
      - .offset:         16
        .size:           8
        .value_kind:     by_value
      - .address_space:  global
        .offset:         24
        .size:           8
        .value_kind:     global_buffer
      - .offset:         32
        .size:           8
        .value_kind:     by_value
      - .offset:         40
        .size:           8
        .value_kind:     by_value
      - .offset:         48
        .size:           8
        .value_kind:     by_value
      - .address_space:  global
        .offset:         56
        .size:           8
        .value_kind:     global_buffer
      - .offset:         64
        .size:           8
        .value_kind:     by_value
      - .offset:         72
        .size:           8
        .value_kind:     by_value
      - .offset:         80
        .size:           8
        .value_kind:     by_value
      - .address_space:  global
        .offset:         88
        .size:           8
        .value_kind:     global_buffer
      - .offset:         96
        .size:           8
        .value_kind:     by_value
      - .offset:         104
        .size:           8
        .value_kind:     by_value
      - .offset:         112
        .size:           8
        .value_kind:     by_value
      - .offset:         120
        .size:           4
        .value_kind:     by_value
      - .offset:         128
        .size:           4
        .value_kind:     hidden_block_count_x
      - .offset:         132
        .size:           4
        .value_kind:     hidden_block_count_y
      - .offset:         136
        .size:           4
        .value_kind:     hidden_block_count_z
      - .offset:         140
        .size:           2
        .value_kind:     hidden_group_size_x
      - .offset:         142
        .size:           2
        .value_kind:     hidden_group_size_y
      - .offset:         144
        .size:           2
        .value_kind:     hidden_group_size_z
      - .offset:         146
        .size:           2
        .value_kind:     hidden_remainder_x
      - .offset:         148
        .size:           2
        .value_kind:     hidden_remainder_y
      - .offset:         150
        .size:           2
        .value_kind:     hidden_remainder_z
      - .offset:         168
        .size:           8
        .value_kind:     hidden_global_offset_x
      - .offset:         176
        .size:           8
        .value_kind:     hidden_global_offset_y
      - .offset:         184
        .size:           8
        .value_kind:     hidden_global_offset_z
      - .offset:         192
        .size:           2
        .value_kind:     hidden_grid_dims
    .group_segment_fixed_size: 8192
    .kernarg_segment_align: 8
    .kernarg_segment_size: 384
    .language:       OpenCL C
    .language_version:
      - 2
      - 0
    .max_flat_workgroup_size: 1024
    .name:           _ZL30rocblas_trmm_outofplace_kernelIfLi32ELi2ELb1ELb1ELb0ELb0EfKffEv17rocblas_diagonal_iiT6_lPT7_lllS4_lllPT8_llli
    .private_segment_fixed_size: 0
    .sgpr_count:     50
    .sgpr_spill_count: 0
    .symbol:         _ZL30rocblas_trmm_outofplace_kernelIfLi32ELi2ELb1ELb1ELb0ELb0EfKffEv17rocblas_diagonal_iiT6_lPT7_lllS4_lllPT8_llli.kd
    .uniform_work_group_size: 1
    .uses_dynamic_stack: false
    .vgpr_count:     67
    .vgpr_spill_count: 0
    .wavefront_size: 32
    .workgroup_processor_mode: 1
  - .args:
      - .offset:         0
        .size:           4
        .value_kind:     by_value
      - .offset:         4
        .size:           4
        .value_kind:     by_value
      - .offset:         8
        .size:           4
        .value_kind:     by_value
      - .address_space:  global
        .offset:         16
        .size:           8
        .value_kind:     global_buffer
      - .offset:         24
        .size:           8
        .value_kind:     by_value
      - .address_space:  global
        .offset:         32
        .size:           8
        .value_kind:     global_buffer
      - .offset:         40
        .size:           8
        .value_kind:     by_value
      - .offset:         48
        .size:           8
        .value_kind:     by_value
      - .offset:         56
        .size:           8
        .value_kind:     by_value
      - .address_space:  global
        .offset:         64
        .size:           8
        .value_kind:     global_buffer
      - .offset:         72
        .size:           8
        .value_kind:     by_value
      - .offset:         80
        .size:           8
        .value_kind:     by_value
      - .offset:         88
        .size:           8
        .value_kind:     by_value
      - .address_space:  global
        .offset:         96
        .size:           8
        .value_kind:     global_buffer
      - .offset:         104
        .size:           8
        .value_kind:     by_value
      - .offset:         112
        .size:           8
        .value_kind:     by_value
      - .offset:         120
        .size:           8
        .value_kind:     by_value
      - .offset:         128
        .size:           4
        .value_kind:     by_value
      - .offset:         136
        .size:           4
        .value_kind:     hidden_block_count_x
      - .offset:         140
        .size:           4
        .value_kind:     hidden_block_count_y
      - .offset:         144
        .size:           4
        .value_kind:     hidden_block_count_z
      - .offset:         148
        .size:           2
        .value_kind:     hidden_group_size_x
      - .offset:         150
        .size:           2
        .value_kind:     hidden_group_size_y
      - .offset:         152
        .size:           2
        .value_kind:     hidden_group_size_z
      - .offset:         154
        .size:           2
        .value_kind:     hidden_remainder_x
      - .offset:         156
        .size:           2
        .value_kind:     hidden_remainder_y
      - .offset:         158
        .size:           2
        .value_kind:     hidden_remainder_z
      - .offset:         176
        .size:           8
        .value_kind:     hidden_global_offset_x
      - .offset:         184
        .size:           8
        .value_kind:     hidden_global_offset_y
      - .offset:         192
        .size:           8
        .value_kind:     hidden_global_offset_z
      - .offset:         200
        .size:           2
        .value_kind:     hidden_grid_dims
    .group_segment_fixed_size: 8192
    .kernarg_segment_align: 8
    .kernarg_segment_size: 392
    .language:       OpenCL C
    .language_version:
      - 2
      - 0
    .max_flat_workgroup_size: 1024
    .name:           _ZL30rocblas_trmm_outofplace_kernelIfLi32ELi2ELb1ELb0ELb1ELb0EPKfS0_fEv17rocblas_diagonal_iiT6_lPT7_lllS5_lllPT8_llli
    .private_segment_fixed_size: 0
    .sgpr_count:     47
    .sgpr_spill_count: 0
    .symbol:         _ZL30rocblas_trmm_outofplace_kernelIfLi32ELi2ELb1ELb0ELb1ELb0EPKfS0_fEv17rocblas_diagonal_iiT6_lPT7_lllS5_lllPT8_llli.kd
    .uniform_work_group_size: 1
    .uses_dynamic_stack: false
    .vgpr_count:     67
    .vgpr_spill_count: 0
    .wavefront_size: 32
    .workgroup_processor_mode: 1
  - .args:
      - .offset:         0
        .size:           4
        .value_kind:     by_value
      - .offset:         4
        .size:           4
        .value_kind:     by_value
      - .offset:         8
        .size:           4
        .value_kind:     by_value
      - .offset:         12
        .size:           4
        .value_kind:     by_value
      - .offset:         16
        .size:           8
        .value_kind:     by_value
      - .address_space:  global
        .offset:         24
        .size:           8
        .value_kind:     global_buffer
      - .offset:         32
        .size:           8
        .value_kind:     by_value
      - .offset:         40
        .size:           8
        .value_kind:     by_value
      - .offset:         48
        .size:           8
        .value_kind:     by_value
      - .address_space:  global
        .offset:         56
        .size:           8
        .value_kind:     global_buffer
      - .offset:         64
        .size:           8
        .value_kind:     by_value
      - .offset:         72
        .size:           8
        .value_kind:     by_value
      - .offset:         80
        .size:           8
        .value_kind:     by_value
      - .address_space:  global
        .offset:         88
        .size:           8
        .value_kind:     global_buffer
      - .offset:         96
        .size:           8
        .value_kind:     by_value
      - .offset:         104
        .size:           8
        .value_kind:     by_value
      - .offset:         112
        .size:           8
        .value_kind:     by_value
      - .offset:         120
        .size:           4
        .value_kind:     by_value
      - .offset:         128
        .size:           4
        .value_kind:     hidden_block_count_x
      - .offset:         132
        .size:           4
        .value_kind:     hidden_block_count_y
      - .offset:         136
        .size:           4
        .value_kind:     hidden_block_count_z
      - .offset:         140
        .size:           2
        .value_kind:     hidden_group_size_x
      - .offset:         142
        .size:           2
        .value_kind:     hidden_group_size_y
      - .offset:         144
        .size:           2
        .value_kind:     hidden_group_size_z
      - .offset:         146
        .size:           2
        .value_kind:     hidden_remainder_x
      - .offset:         148
        .size:           2
        .value_kind:     hidden_remainder_y
      - .offset:         150
        .size:           2
        .value_kind:     hidden_remainder_z
      - .offset:         168
        .size:           8
        .value_kind:     hidden_global_offset_x
      - .offset:         176
        .size:           8
        .value_kind:     hidden_global_offset_y
      - .offset:         184
        .size:           8
        .value_kind:     hidden_global_offset_z
      - .offset:         192
        .size:           2
        .value_kind:     hidden_grid_dims
    .group_segment_fixed_size: 8192
    .kernarg_segment_align: 8
    .kernarg_segment_size: 384
    .language:       OpenCL C
    .language_version:
      - 2
      - 0
    .max_flat_workgroup_size: 1024
    .name:           _ZL30rocblas_trmm_outofplace_kernelIfLi32ELi2ELb1ELb0ELb1ELb0EfKffEv17rocblas_diagonal_iiT6_lPT7_lllS4_lllPT8_llli
    .private_segment_fixed_size: 0
    .sgpr_count:     47
    .sgpr_spill_count: 0
    .symbol:         _ZL30rocblas_trmm_outofplace_kernelIfLi32ELi2ELb1ELb0ELb1ELb0EfKffEv17rocblas_diagonal_iiT6_lPT7_lllS4_lllPT8_llli.kd
    .uniform_work_group_size: 1
    .uses_dynamic_stack: false
    .vgpr_count:     67
    .vgpr_spill_count: 0
    .wavefront_size: 32
    .workgroup_processor_mode: 1
  - .args:
      - .offset:         0
        .size:           4
        .value_kind:     by_value
      - .offset:         4
        .size:           4
        .value_kind:     by_value
      - .offset:         8
        .size:           4
        .value_kind:     by_value
      - .address_space:  global
        .offset:         16
        .size:           8
        .value_kind:     global_buffer
      - .offset:         24
        .size:           8
        .value_kind:     by_value
      - .address_space:  global
        .offset:         32
        .size:           8
        .value_kind:     global_buffer
      - .offset:         40
        .size:           8
        .value_kind:     by_value
      - .offset:         48
        .size:           8
        .value_kind:     by_value
      - .offset:         56
        .size:           8
        .value_kind:     by_value
      - .address_space:  global
        .offset:         64
        .size:           8
        .value_kind:     global_buffer
      - .offset:         72
        .size:           8
        .value_kind:     by_value
      - .offset:         80
        .size:           8
        .value_kind:     by_value
      - .offset:         88
        .size:           8
        .value_kind:     by_value
      - .address_space:  global
        .offset:         96
        .size:           8
        .value_kind:     global_buffer
      - .offset:         104
        .size:           8
        .value_kind:     by_value
      - .offset:         112
        .size:           8
        .value_kind:     by_value
      - .offset:         120
        .size:           8
        .value_kind:     by_value
      - .offset:         128
        .size:           4
        .value_kind:     by_value
      - .offset:         136
        .size:           4
        .value_kind:     hidden_block_count_x
      - .offset:         140
        .size:           4
        .value_kind:     hidden_block_count_y
      - .offset:         144
        .size:           4
        .value_kind:     hidden_block_count_z
      - .offset:         148
        .size:           2
        .value_kind:     hidden_group_size_x
      - .offset:         150
        .size:           2
        .value_kind:     hidden_group_size_y
      - .offset:         152
        .size:           2
        .value_kind:     hidden_group_size_z
      - .offset:         154
        .size:           2
        .value_kind:     hidden_remainder_x
      - .offset:         156
        .size:           2
        .value_kind:     hidden_remainder_y
      - .offset:         158
        .size:           2
        .value_kind:     hidden_remainder_z
      - .offset:         176
        .size:           8
        .value_kind:     hidden_global_offset_x
      - .offset:         184
        .size:           8
        .value_kind:     hidden_global_offset_y
      - .offset:         192
        .size:           8
        .value_kind:     hidden_global_offset_z
      - .offset:         200
        .size:           2
        .value_kind:     hidden_grid_dims
    .group_segment_fixed_size: 8192
    .kernarg_segment_align: 8
    .kernarg_segment_size: 392
    .language:       OpenCL C
    .language_version:
      - 2
      - 0
    .max_flat_workgroup_size: 1024
    .name:           _ZL30rocblas_trmm_outofplace_kernelIfLi32ELi2ELb1ELb1ELb1ELb0EPKfS0_fEv17rocblas_diagonal_iiT6_lPT7_lllS5_lllPT8_llli
    .private_segment_fixed_size: 0
    .sgpr_count:     47
    .sgpr_spill_count: 0
    .symbol:         _ZL30rocblas_trmm_outofplace_kernelIfLi32ELi2ELb1ELb1ELb1ELb0EPKfS0_fEv17rocblas_diagonal_iiT6_lPT7_lllS5_lllPT8_llli.kd
    .uniform_work_group_size: 1
    .uses_dynamic_stack: false
    .vgpr_count:     66
    .vgpr_spill_count: 0
    .wavefront_size: 32
    .workgroup_processor_mode: 1
  - .args:
      - .offset:         0
        .size:           4
        .value_kind:     by_value
      - .offset:         4
        .size:           4
        .value_kind:     by_value
      - .offset:         8
        .size:           4
        .value_kind:     by_value
      - .offset:         12
        .size:           4
        .value_kind:     by_value
      - .offset:         16
        .size:           8
        .value_kind:     by_value
      - .address_space:  global
        .offset:         24
        .size:           8
        .value_kind:     global_buffer
      - .offset:         32
        .size:           8
        .value_kind:     by_value
      - .offset:         40
        .size:           8
        .value_kind:     by_value
      - .offset:         48
        .size:           8
        .value_kind:     by_value
      - .address_space:  global
        .offset:         56
        .size:           8
        .value_kind:     global_buffer
      - .offset:         64
        .size:           8
        .value_kind:     by_value
      - .offset:         72
        .size:           8
        .value_kind:     by_value
      - .offset:         80
        .size:           8
        .value_kind:     by_value
      - .address_space:  global
        .offset:         88
        .size:           8
        .value_kind:     global_buffer
      - .offset:         96
        .size:           8
        .value_kind:     by_value
      - .offset:         104
        .size:           8
        .value_kind:     by_value
      - .offset:         112
        .size:           8
        .value_kind:     by_value
      - .offset:         120
        .size:           4
        .value_kind:     by_value
      - .offset:         128
        .size:           4
        .value_kind:     hidden_block_count_x
      - .offset:         132
        .size:           4
        .value_kind:     hidden_block_count_y
      - .offset:         136
        .size:           4
        .value_kind:     hidden_block_count_z
      - .offset:         140
        .size:           2
        .value_kind:     hidden_group_size_x
      - .offset:         142
        .size:           2
        .value_kind:     hidden_group_size_y
      - .offset:         144
        .size:           2
        .value_kind:     hidden_group_size_z
      - .offset:         146
        .size:           2
        .value_kind:     hidden_remainder_x
      - .offset:         148
        .size:           2
        .value_kind:     hidden_remainder_y
      - .offset:         150
        .size:           2
        .value_kind:     hidden_remainder_z
      - .offset:         168
        .size:           8
        .value_kind:     hidden_global_offset_x
      - .offset:         176
        .size:           8
        .value_kind:     hidden_global_offset_y
      - .offset:         184
        .size:           8
        .value_kind:     hidden_global_offset_z
      - .offset:         192
        .size:           2
        .value_kind:     hidden_grid_dims
    .group_segment_fixed_size: 8192
    .kernarg_segment_align: 8
    .kernarg_segment_size: 384
    .language:       OpenCL C
    .language_version:
      - 2
      - 0
    .max_flat_workgroup_size: 1024
    .name:           _ZL30rocblas_trmm_outofplace_kernelIfLi32ELi2ELb1ELb1ELb1ELb0EfKffEv17rocblas_diagonal_iiT6_lPT7_lllS4_lllPT8_llli
    .private_segment_fixed_size: 0
    .sgpr_count:     47
    .sgpr_spill_count: 0
    .symbol:         _ZL30rocblas_trmm_outofplace_kernelIfLi32ELi2ELb1ELb1ELb1ELb0EfKffEv17rocblas_diagonal_iiT6_lPT7_lllS4_lllPT8_llli.kd
    .uniform_work_group_size: 1
    .uses_dynamic_stack: false
    .vgpr_count:     66
    .vgpr_spill_count: 0
    .wavefront_size: 32
    .workgroup_processor_mode: 1
  - .args:
      - .offset:         0
        .size:           4
        .value_kind:     by_value
      - .offset:         4
        .size:           4
        .value_kind:     by_value
      - .offset:         8
        .size:           4
        .value_kind:     by_value
      - .address_space:  global
        .offset:         16
        .size:           8
        .value_kind:     global_buffer
      - .offset:         24
        .size:           8
        .value_kind:     by_value
      - .address_space:  global
        .offset:         32
        .size:           8
        .value_kind:     global_buffer
      - .offset:         40
        .size:           8
        .value_kind:     by_value
      - .offset:         48
        .size:           8
        .value_kind:     by_value
      - .offset:         56
        .size:           8
        .value_kind:     by_value
      - .address_space:  global
        .offset:         64
        .size:           8
        .value_kind:     global_buffer
      - .offset:         72
        .size:           8
        .value_kind:     by_value
      - .offset:         80
        .size:           8
        .value_kind:     by_value
      - .offset:         88
        .size:           8
        .value_kind:     by_value
      - .address_space:  global
        .offset:         96
        .size:           8
        .value_kind:     global_buffer
      - .offset:         104
        .size:           8
        .value_kind:     by_value
      - .offset:         112
        .size:           8
        .value_kind:     by_value
      - .offset:         120
        .size:           8
        .value_kind:     by_value
      - .offset:         128
        .size:           4
        .value_kind:     by_value
      - .offset:         136
        .size:           4
        .value_kind:     hidden_block_count_x
      - .offset:         140
        .size:           4
        .value_kind:     hidden_block_count_y
      - .offset:         144
        .size:           4
        .value_kind:     hidden_block_count_z
      - .offset:         148
        .size:           2
        .value_kind:     hidden_group_size_x
      - .offset:         150
        .size:           2
        .value_kind:     hidden_group_size_y
      - .offset:         152
        .size:           2
        .value_kind:     hidden_group_size_z
      - .offset:         154
        .size:           2
        .value_kind:     hidden_remainder_x
      - .offset:         156
        .size:           2
        .value_kind:     hidden_remainder_y
      - .offset:         158
        .size:           2
        .value_kind:     hidden_remainder_z
      - .offset:         176
        .size:           8
        .value_kind:     hidden_global_offset_x
      - .offset:         184
        .size:           8
        .value_kind:     hidden_global_offset_y
      - .offset:         192
        .size:           8
        .value_kind:     hidden_global_offset_z
      - .offset:         200
        .size:           2
        .value_kind:     hidden_grid_dims
    .group_segment_fixed_size: 8192
    .kernarg_segment_align: 8
    .kernarg_segment_size: 392
    .language:       OpenCL C
    .language_version:
      - 2
      - 0
    .max_flat_workgroup_size: 1024
    .name:           _ZL30rocblas_trmm_outofplace_kernelIfLi32ELi2ELb1ELb0ELb1ELb1EPKfS0_fEv17rocblas_diagonal_iiT6_lPT7_lllS5_lllPT8_llli
    .private_segment_fixed_size: 0
    .sgpr_count:     47
    .sgpr_spill_count: 0
    .symbol:         _ZL30rocblas_trmm_outofplace_kernelIfLi32ELi2ELb1ELb0ELb1ELb1EPKfS0_fEv17rocblas_diagonal_iiT6_lPT7_lllS5_lllPT8_llli.kd
    .uniform_work_group_size: 1
    .uses_dynamic_stack: false
    .vgpr_count:     67
    .vgpr_spill_count: 0
    .wavefront_size: 32
    .workgroup_processor_mode: 1
  - .args:
      - .offset:         0
        .size:           4
        .value_kind:     by_value
      - .offset:         4
        .size:           4
        .value_kind:     by_value
      - .offset:         8
        .size:           4
        .value_kind:     by_value
      - .offset:         12
        .size:           4
        .value_kind:     by_value
      - .offset:         16
        .size:           8
        .value_kind:     by_value
      - .address_space:  global
        .offset:         24
        .size:           8
        .value_kind:     global_buffer
      - .offset:         32
        .size:           8
        .value_kind:     by_value
      - .offset:         40
        .size:           8
        .value_kind:     by_value
      - .offset:         48
        .size:           8
        .value_kind:     by_value
      - .address_space:  global
        .offset:         56
        .size:           8
        .value_kind:     global_buffer
      - .offset:         64
        .size:           8
        .value_kind:     by_value
      - .offset:         72
        .size:           8
        .value_kind:     by_value
      - .offset:         80
        .size:           8
        .value_kind:     by_value
      - .address_space:  global
        .offset:         88
        .size:           8
        .value_kind:     global_buffer
      - .offset:         96
        .size:           8
        .value_kind:     by_value
      - .offset:         104
        .size:           8
        .value_kind:     by_value
      - .offset:         112
        .size:           8
        .value_kind:     by_value
      - .offset:         120
        .size:           4
        .value_kind:     by_value
      - .offset:         128
        .size:           4
        .value_kind:     hidden_block_count_x
      - .offset:         132
        .size:           4
        .value_kind:     hidden_block_count_y
      - .offset:         136
        .size:           4
        .value_kind:     hidden_block_count_z
      - .offset:         140
        .size:           2
        .value_kind:     hidden_group_size_x
      - .offset:         142
        .size:           2
        .value_kind:     hidden_group_size_y
      - .offset:         144
        .size:           2
        .value_kind:     hidden_group_size_z
      - .offset:         146
        .size:           2
        .value_kind:     hidden_remainder_x
      - .offset:         148
        .size:           2
        .value_kind:     hidden_remainder_y
      - .offset:         150
        .size:           2
        .value_kind:     hidden_remainder_z
      - .offset:         168
        .size:           8
        .value_kind:     hidden_global_offset_x
      - .offset:         176
        .size:           8
        .value_kind:     hidden_global_offset_y
      - .offset:         184
        .size:           8
        .value_kind:     hidden_global_offset_z
      - .offset:         192
        .size:           2
        .value_kind:     hidden_grid_dims
    .group_segment_fixed_size: 8192
    .kernarg_segment_align: 8
    .kernarg_segment_size: 384
    .language:       OpenCL C
    .language_version:
      - 2
      - 0
    .max_flat_workgroup_size: 1024
    .name:           _ZL30rocblas_trmm_outofplace_kernelIfLi32ELi2ELb1ELb0ELb1ELb1EfKffEv17rocblas_diagonal_iiT6_lPT7_lllS4_lllPT8_llli
    .private_segment_fixed_size: 0
    .sgpr_count:     47
    .sgpr_spill_count: 0
    .symbol:         _ZL30rocblas_trmm_outofplace_kernelIfLi32ELi2ELb1ELb0ELb1ELb1EfKffEv17rocblas_diagonal_iiT6_lPT7_lllS4_lllPT8_llli.kd
    .uniform_work_group_size: 1
    .uses_dynamic_stack: false
    .vgpr_count:     67
    .vgpr_spill_count: 0
    .wavefront_size: 32
    .workgroup_processor_mode: 1
  - .args:
      - .offset:         0
        .size:           4
        .value_kind:     by_value
      - .offset:         4
        .size:           4
        .value_kind:     by_value
      - .offset:         8
        .size:           4
        .value_kind:     by_value
      - .address_space:  global
        .offset:         16
        .size:           8
        .value_kind:     global_buffer
      - .offset:         24
        .size:           8
        .value_kind:     by_value
      - .address_space:  global
        .offset:         32
        .size:           8
        .value_kind:     global_buffer
      - .offset:         40
        .size:           8
        .value_kind:     by_value
      - .offset:         48
        .size:           8
        .value_kind:     by_value
      - .offset:         56
        .size:           8
        .value_kind:     by_value
      - .address_space:  global
        .offset:         64
        .size:           8
        .value_kind:     global_buffer
      - .offset:         72
        .size:           8
        .value_kind:     by_value
      - .offset:         80
        .size:           8
        .value_kind:     by_value
      - .offset:         88
        .size:           8
        .value_kind:     by_value
      - .address_space:  global
        .offset:         96
        .size:           8
        .value_kind:     global_buffer
      - .offset:         104
        .size:           8
        .value_kind:     by_value
      - .offset:         112
        .size:           8
        .value_kind:     by_value
      - .offset:         120
        .size:           8
        .value_kind:     by_value
      - .offset:         128
        .size:           4
        .value_kind:     by_value
      - .offset:         136
        .size:           4
        .value_kind:     hidden_block_count_x
      - .offset:         140
        .size:           4
        .value_kind:     hidden_block_count_y
      - .offset:         144
        .size:           4
        .value_kind:     hidden_block_count_z
      - .offset:         148
        .size:           2
        .value_kind:     hidden_group_size_x
      - .offset:         150
        .size:           2
        .value_kind:     hidden_group_size_y
      - .offset:         152
        .size:           2
        .value_kind:     hidden_group_size_z
      - .offset:         154
        .size:           2
        .value_kind:     hidden_remainder_x
      - .offset:         156
        .size:           2
        .value_kind:     hidden_remainder_y
      - .offset:         158
        .size:           2
        .value_kind:     hidden_remainder_z
      - .offset:         176
        .size:           8
        .value_kind:     hidden_global_offset_x
      - .offset:         184
        .size:           8
        .value_kind:     hidden_global_offset_y
      - .offset:         192
        .size:           8
        .value_kind:     hidden_global_offset_z
      - .offset:         200
        .size:           2
        .value_kind:     hidden_grid_dims
    .group_segment_fixed_size: 8192
    .kernarg_segment_align: 8
    .kernarg_segment_size: 392
    .language:       OpenCL C
    .language_version:
      - 2
      - 0
    .max_flat_workgroup_size: 1024
    .name:           _ZL30rocblas_trmm_outofplace_kernelIfLi32ELi2ELb1ELb1ELb1ELb1EPKfS0_fEv17rocblas_diagonal_iiT6_lPT7_lllS5_lllPT8_llli
    .private_segment_fixed_size: 0
    .sgpr_count:     47
    .sgpr_spill_count: 0
    .symbol:         _ZL30rocblas_trmm_outofplace_kernelIfLi32ELi2ELb1ELb1ELb1ELb1EPKfS0_fEv17rocblas_diagonal_iiT6_lPT7_lllS5_lllPT8_llli.kd
    .uniform_work_group_size: 1
    .uses_dynamic_stack: false
    .vgpr_count:     66
    .vgpr_spill_count: 0
    .wavefront_size: 32
    .workgroup_processor_mode: 1
  - .args:
      - .offset:         0
        .size:           4
        .value_kind:     by_value
      - .offset:         4
        .size:           4
        .value_kind:     by_value
      - .offset:         8
        .size:           4
        .value_kind:     by_value
      - .offset:         12
        .size:           4
        .value_kind:     by_value
      - .offset:         16
        .size:           8
        .value_kind:     by_value
      - .address_space:  global
        .offset:         24
        .size:           8
        .value_kind:     global_buffer
      - .offset:         32
        .size:           8
        .value_kind:     by_value
      - .offset:         40
        .size:           8
        .value_kind:     by_value
      - .offset:         48
        .size:           8
        .value_kind:     by_value
      - .address_space:  global
        .offset:         56
        .size:           8
        .value_kind:     global_buffer
      - .offset:         64
        .size:           8
        .value_kind:     by_value
      - .offset:         72
        .size:           8
        .value_kind:     by_value
      - .offset:         80
        .size:           8
        .value_kind:     by_value
      - .address_space:  global
        .offset:         88
        .size:           8
        .value_kind:     global_buffer
      - .offset:         96
        .size:           8
        .value_kind:     by_value
      - .offset:         104
        .size:           8
        .value_kind:     by_value
      - .offset:         112
        .size:           8
        .value_kind:     by_value
      - .offset:         120
        .size:           4
        .value_kind:     by_value
      - .offset:         128
        .size:           4
        .value_kind:     hidden_block_count_x
      - .offset:         132
        .size:           4
        .value_kind:     hidden_block_count_y
      - .offset:         136
        .size:           4
        .value_kind:     hidden_block_count_z
      - .offset:         140
        .size:           2
        .value_kind:     hidden_group_size_x
      - .offset:         142
        .size:           2
        .value_kind:     hidden_group_size_y
      - .offset:         144
        .size:           2
        .value_kind:     hidden_group_size_z
      - .offset:         146
        .size:           2
        .value_kind:     hidden_remainder_x
      - .offset:         148
        .size:           2
        .value_kind:     hidden_remainder_y
      - .offset:         150
        .size:           2
        .value_kind:     hidden_remainder_z
      - .offset:         168
        .size:           8
        .value_kind:     hidden_global_offset_x
      - .offset:         176
        .size:           8
        .value_kind:     hidden_global_offset_y
      - .offset:         184
        .size:           8
        .value_kind:     hidden_global_offset_z
      - .offset:         192
        .size:           2
        .value_kind:     hidden_grid_dims
    .group_segment_fixed_size: 8192
    .kernarg_segment_align: 8
    .kernarg_segment_size: 384
    .language:       OpenCL C
    .language_version:
      - 2
      - 0
    .max_flat_workgroup_size: 1024
    .name:           _ZL30rocblas_trmm_outofplace_kernelIfLi32ELi2ELb1ELb1ELb1ELb1EfKffEv17rocblas_diagonal_iiT6_lPT7_lllS4_lllPT8_llli
    .private_segment_fixed_size: 0
    .sgpr_count:     47
    .sgpr_spill_count: 0
    .symbol:         _ZL30rocblas_trmm_outofplace_kernelIfLi32ELi2ELb1ELb1ELb1ELb1EfKffEv17rocblas_diagonal_iiT6_lPT7_lllS4_lllPT8_llli.kd
    .uniform_work_group_size: 1
    .uses_dynamic_stack: false
    .vgpr_count:     66
    .vgpr_spill_count: 0
    .wavefront_size: 32
    .workgroup_processor_mode: 1
  - .args:
      - .offset:         0
        .size:           4
        .value_kind:     by_value
      - .offset:         4
        .size:           4
        .value_kind:     by_value
      - .offset:         8
        .size:           4
        .value_kind:     by_value
      - .address_space:  global
        .offset:         16
        .size:           8
        .value_kind:     global_buffer
      - .offset:         24
        .size:           8
        .value_kind:     by_value
      - .address_space:  global
        .offset:         32
        .size:           8
        .value_kind:     global_buffer
      - .offset:         40
        .size:           8
        .value_kind:     by_value
      - .offset:         48
        .size:           8
        .value_kind:     by_value
      - .offset:         56
        .size:           8
        .value_kind:     by_value
      - .address_space:  global
        .offset:         64
        .size:           8
        .value_kind:     global_buffer
      - .offset:         72
        .size:           8
        .value_kind:     by_value
      - .offset:         80
        .size:           8
        .value_kind:     by_value
      - .offset:         88
        .size:           8
        .value_kind:     by_value
      - .address_space:  global
        .offset:         96
        .size:           8
        .value_kind:     global_buffer
      - .offset:         104
        .size:           8
        .value_kind:     by_value
      - .offset:         112
        .size:           8
        .value_kind:     by_value
      - .offset:         120
        .size:           8
        .value_kind:     by_value
      - .offset:         128
        .size:           4
        .value_kind:     by_value
      - .offset:         136
        .size:           4
        .value_kind:     hidden_block_count_x
      - .offset:         140
        .size:           4
        .value_kind:     hidden_block_count_y
      - .offset:         144
        .size:           4
        .value_kind:     hidden_block_count_z
      - .offset:         148
        .size:           2
        .value_kind:     hidden_group_size_x
      - .offset:         150
        .size:           2
        .value_kind:     hidden_group_size_y
      - .offset:         152
        .size:           2
        .value_kind:     hidden_group_size_z
      - .offset:         154
        .size:           2
        .value_kind:     hidden_remainder_x
      - .offset:         156
        .size:           2
        .value_kind:     hidden_remainder_y
      - .offset:         158
        .size:           2
        .value_kind:     hidden_remainder_z
      - .offset:         176
        .size:           8
        .value_kind:     hidden_global_offset_x
      - .offset:         184
        .size:           8
        .value_kind:     hidden_global_offset_y
      - .offset:         192
        .size:           8
        .value_kind:     hidden_global_offset_z
      - .offset:         200
        .size:           2
        .value_kind:     hidden_grid_dims
    .group_segment_fixed_size: 8192
    .kernarg_segment_align: 8
    .kernarg_segment_size: 392
    .language:       OpenCL C
    .language_version:
      - 2
      - 0
    .max_flat_workgroup_size: 1024
    .name:           _ZL30rocblas_trmm_outofplace_kernelIfLi32ELi2ELb0ELb0ELb0ELb0EPKfS0_fEv17rocblas_diagonal_iiT6_lPT7_lllS5_lllPT8_llli
    .private_segment_fixed_size: 0
    .sgpr_count:     48
    .sgpr_spill_count: 0
    .symbol:         _ZL30rocblas_trmm_outofplace_kernelIfLi32ELi2ELb0ELb0ELb0ELb0EPKfS0_fEv17rocblas_diagonal_iiT6_lPT7_lllS5_lllPT8_llli.kd
    .uniform_work_group_size: 1
    .uses_dynamic_stack: false
    .vgpr_count:     68
    .vgpr_spill_count: 0
    .wavefront_size: 32
    .workgroup_processor_mode: 1
  - .args:
      - .offset:         0
        .size:           4
        .value_kind:     by_value
      - .offset:         4
        .size:           4
        .value_kind:     by_value
      - .offset:         8
        .size:           4
        .value_kind:     by_value
      - .offset:         12
        .size:           4
        .value_kind:     by_value
      - .offset:         16
        .size:           8
        .value_kind:     by_value
      - .address_space:  global
        .offset:         24
        .size:           8
        .value_kind:     global_buffer
      - .offset:         32
        .size:           8
        .value_kind:     by_value
      - .offset:         40
        .size:           8
        .value_kind:     by_value
      - .offset:         48
        .size:           8
        .value_kind:     by_value
      - .address_space:  global
        .offset:         56
        .size:           8
        .value_kind:     global_buffer
      - .offset:         64
        .size:           8
        .value_kind:     by_value
      - .offset:         72
        .size:           8
        .value_kind:     by_value
      - .offset:         80
        .size:           8
        .value_kind:     by_value
      - .address_space:  global
        .offset:         88
        .size:           8
        .value_kind:     global_buffer
      - .offset:         96
        .size:           8
        .value_kind:     by_value
      - .offset:         104
        .size:           8
        .value_kind:     by_value
      - .offset:         112
        .size:           8
        .value_kind:     by_value
      - .offset:         120
        .size:           4
        .value_kind:     by_value
      - .offset:         128
        .size:           4
        .value_kind:     hidden_block_count_x
      - .offset:         132
        .size:           4
        .value_kind:     hidden_block_count_y
      - .offset:         136
        .size:           4
        .value_kind:     hidden_block_count_z
      - .offset:         140
        .size:           2
        .value_kind:     hidden_group_size_x
      - .offset:         142
        .size:           2
        .value_kind:     hidden_group_size_y
      - .offset:         144
        .size:           2
        .value_kind:     hidden_group_size_z
      - .offset:         146
        .size:           2
        .value_kind:     hidden_remainder_x
      - .offset:         148
        .size:           2
        .value_kind:     hidden_remainder_y
      - .offset:         150
        .size:           2
        .value_kind:     hidden_remainder_z
      - .offset:         168
        .size:           8
        .value_kind:     hidden_global_offset_x
      - .offset:         176
        .size:           8
        .value_kind:     hidden_global_offset_y
      - .offset:         184
        .size:           8
        .value_kind:     hidden_global_offset_z
      - .offset:         192
        .size:           2
        .value_kind:     hidden_grid_dims
    .group_segment_fixed_size: 8192
    .kernarg_segment_align: 8
    .kernarg_segment_size: 384
    .language:       OpenCL C
    .language_version:
      - 2
      - 0
    .max_flat_workgroup_size: 1024
    .name:           _ZL30rocblas_trmm_outofplace_kernelIfLi32ELi2ELb0ELb0ELb0ELb0EfKffEv17rocblas_diagonal_iiT6_lPT7_lllS4_lllPT8_llli
    .private_segment_fixed_size: 0
    .sgpr_count:     49
    .sgpr_spill_count: 0
    .symbol:         _ZL30rocblas_trmm_outofplace_kernelIfLi32ELi2ELb0ELb0ELb0ELb0EfKffEv17rocblas_diagonal_iiT6_lPT7_lllS4_lllPT8_llli.kd
    .uniform_work_group_size: 1
    .uses_dynamic_stack: false
    .vgpr_count:     68
    .vgpr_spill_count: 0
    .wavefront_size: 32
    .workgroup_processor_mode: 1
  - .args:
      - .offset:         0
        .size:           4
        .value_kind:     by_value
      - .offset:         4
        .size:           4
        .value_kind:     by_value
      - .offset:         8
        .size:           4
        .value_kind:     by_value
      - .address_space:  global
        .offset:         16
        .size:           8
        .value_kind:     global_buffer
      - .offset:         24
        .size:           8
        .value_kind:     by_value
      - .address_space:  global
        .offset:         32
        .size:           8
        .value_kind:     global_buffer
      - .offset:         40
        .size:           8
        .value_kind:     by_value
      - .offset:         48
        .size:           8
        .value_kind:     by_value
      - .offset:         56
        .size:           8
        .value_kind:     by_value
      - .address_space:  global
        .offset:         64
        .size:           8
        .value_kind:     global_buffer
      - .offset:         72
        .size:           8
        .value_kind:     by_value
      - .offset:         80
        .size:           8
        .value_kind:     by_value
      - .offset:         88
        .size:           8
        .value_kind:     by_value
      - .address_space:  global
        .offset:         96
        .size:           8
        .value_kind:     global_buffer
      - .offset:         104
        .size:           8
        .value_kind:     by_value
      - .offset:         112
        .size:           8
        .value_kind:     by_value
      - .offset:         120
        .size:           8
        .value_kind:     by_value
      - .offset:         128
        .size:           4
        .value_kind:     by_value
      - .offset:         136
        .size:           4
        .value_kind:     hidden_block_count_x
      - .offset:         140
        .size:           4
        .value_kind:     hidden_block_count_y
      - .offset:         144
        .size:           4
        .value_kind:     hidden_block_count_z
      - .offset:         148
        .size:           2
        .value_kind:     hidden_group_size_x
      - .offset:         150
        .size:           2
        .value_kind:     hidden_group_size_y
      - .offset:         152
        .size:           2
        .value_kind:     hidden_group_size_z
      - .offset:         154
        .size:           2
        .value_kind:     hidden_remainder_x
      - .offset:         156
        .size:           2
        .value_kind:     hidden_remainder_y
      - .offset:         158
        .size:           2
        .value_kind:     hidden_remainder_z
      - .offset:         176
        .size:           8
        .value_kind:     hidden_global_offset_x
      - .offset:         184
        .size:           8
        .value_kind:     hidden_global_offset_y
      - .offset:         192
        .size:           8
        .value_kind:     hidden_global_offset_z
      - .offset:         200
        .size:           2
        .value_kind:     hidden_grid_dims
    .group_segment_fixed_size: 8192
    .kernarg_segment_align: 8
    .kernarg_segment_size: 392
    .language:       OpenCL C
    .language_version:
      - 2
      - 0
    .max_flat_workgroup_size: 1024
    .name:           _ZL30rocblas_trmm_outofplace_kernelIfLi32ELi2ELb0ELb1ELb0ELb0EPKfS0_fEv17rocblas_diagonal_iiT6_lPT7_lllS5_lllPT8_llli
    .private_segment_fixed_size: 0
    .sgpr_count:     46
    .sgpr_spill_count: 0
    .symbol:         _ZL30rocblas_trmm_outofplace_kernelIfLi32ELi2ELb0ELb1ELb0ELb0EPKfS0_fEv17rocblas_diagonal_iiT6_lPT7_lllS5_lllPT8_llli.kd
    .uniform_work_group_size: 1
    .uses_dynamic_stack: false
    .vgpr_count:     67
    .vgpr_spill_count: 0
    .wavefront_size: 32
    .workgroup_processor_mode: 1
  - .args:
      - .offset:         0
        .size:           4
        .value_kind:     by_value
      - .offset:         4
        .size:           4
        .value_kind:     by_value
      - .offset:         8
        .size:           4
        .value_kind:     by_value
      - .offset:         12
        .size:           4
        .value_kind:     by_value
      - .offset:         16
        .size:           8
        .value_kind:     by_value
      - .address_space:  global
        .offset:         24
        .size:           8
        .value_kind:     global_buffer
      - .offset:         32
        .size:           8
        .value_kind:     by_value
      - .offset:         40
        .size:           8
        .value_kind:     by_value
      - .offset:         48
        .size:           8
        .value_kind:     by_value
      - .address_space:  global
        .offset:         56
        .size:           8
        .value_kind:     global_buffer
      - .offset:         64
        .size:           8
        .value_kind:     by_value
      - .offset:         72
        .size:           8
        .value_kind:     by_value
      - .offset:         80
        .size:           8
        .value_kind:     by_value
      - .address_space:  global
        .offset:         88
        .size:           8
        .value_kind:     global_buffer
      - .offset:         96
        .size:           8
        .value_kind:     by_value
      - .offset:         104
        .size:           8
        .value_kind:     by_value
      - .offset:         112
        .size:           8
        .value_kind:     by_value
      - .offset:         120
        .size:           4
        .value_kind:     by_value
      - .offset:         128
        .size:           4
        .value_kind:     hidden_block_count_x
      - .offset:         132
        .size:           4
        .value_kind:     hidden_block_count_y
      - .offset:         136
        .size:           4
        .value_kind:     hidden_block_count_z
      - .offset:         140
        .size:           2
        .value_kind:     hidden_group_size_x
      - .offset:         142
        .size:           2
        .value_kind:     hidden_group_size_y
      - .offset:         144
        .size:           2
        .value_kind:     hidden_group_size_z
      - .offset:         146
        .size:           2
        .value_kind:     hidden_remainder_x
      - .offset:         148
        .size:           2
        .value_kind:     hidden_remainder_y
      - .offset:         150
        .size:           2
        .value_kind:     hidden_remainder_z
      - .offset:         168
        .size:           8
        .value_kind:     hidden_global_offset_x
      - .offset:         176
        .size:           8
        .value_kind:     hidden_global_offset_y
      - .offset:         184
        .size:           8
        .value_kind:     hidden_global_offset_z
      - .offset:         192
        .size:           2
        .value_kind:     hidden_grid_dims
    .group_segment_fixed_size: 8192
    .kernarg_segment_align: 8
    .kernarg_segment_size: 384
    .language:       OpenCL C
    .language_version:
      - 2
      - 0
    .max_flat_workgroup_size: 1024
    .name:           _ZL30rocblas_trmm_outofplace_kernelIfLi32ELi2ELb0ELb1ELb0ELb0EfKffEv17rocblas_diagonal_iiT6_lPT7_lllS4_lllPT8_llli
    .private_segment_fixed_size: 0
    .sgpr_count:     46
    .sgpr_spill_count: 0
    .symbol:         _ZL30rocblas_trmm_outofplace_kernelIfLi32ELi2ELb0ELb1ELb0ELb0EfKffEv17rocblas_diagonal_iiT6_lPT7_lllS4_lllPT8_llli.kd
    .uniform_work_group_size: 1
    .uses_dynamic_stack: false
    .vgpr_count:     67
    .vgpr_spill_count: 0
    .wavefront_size: 32
    .workgroup_processor_mode: 1
  - .args:
      - .offset:         0
        .size:           4
        .value_kind:     by_value
      - .offset:         4
        .size:           4
        .value_kind:     by_value
      - .offset:         8
        .size:           4
        .value_kind:     by_value
      - .address_space:  global
        .offset:         16
        .size:           8
        .value_kind:     global_buffer
      - .offset:         24
        .size:           8
        .value_kind:     by_value
      - .address_space:  global
        .offset:         32
        .size:           8
        .value_kind:     global_buffer
      - .offset:         40
        .size:           8
        .value_kind:     by_value
      - .offset:         48
        .size:           8
        .value_kind:     by_value
      - .offset:         56
        .size:           8
        .value_kind:     by_value
      - .address_space:  global
        .offset:         64
        .size:           8
        .value_kind:     global_buffer
      - .offset:         72
        .size:           8
        .value_kind:     by_value
      - .offset:         80
        .size:           8
        .value_kind:     by_value
      - .offset:         88
        .size:           8
        .value_kind:     by_value
      - .address_space:  global
        .offset:         96
        .size:           8
        .value_kind:     global_buffer
      - .offset:         104
        .size:           8
        .value_kind:     by_value
      - .offset:         112
        .size:           8
        .value_kind:     by_value
      - .offset:         120
        .size:           8
        .value_kind:     by_value
      - .offset:         128
        .size:           4
        .value_kind:     by_value
      - .offset:         136
        .size:           4
        .value_kind:     hidden_block_count_x
      - .offset:         140
        .size:           4
        .value_kind:     hidden_block_count_y
      - .offset:         144
        .size:           4
        .value_kind:     hidden_block_count_z
      - .offset:         148
        .size:           2
        .value_kind:     hidden_group_size_x
      - .offset:         150
        .size:           2
        .value_kind:     hidden_group_size_y
      - .offset:         152
        .size:           2
        .value_kind:     hidden_group_size_z
      - .offset:         154
        .size:           2
        .value_kind:     hidden_remainder_x
      - .offset:         156
        .size:           2
        .value_kind:     hidden_remainder_y
      - .offset:         158
        .size:           2
        .value_kind:     hidden_remainder_z
      - .offset:         176
        .size:           8
        .value_kind:     hidden_global_offset_x
      - .offset:         184
        .size:           8
        .value_kind:     hidden_global_offset_y
      - .offset:         192
        .size:           8
        .value_kind:     hidden_global_offset_z
      - .offset:         200
        .size:           2
        .value_kind:     hidden_grid_dims
    .group_segment_fixed_size: 8192
    .kernarg_segment_align: 8
    .kernarg_segment_size: 392
    .language:       OpenCL C
    .language_version:
      - 2
      - 0
    .max_flat_workgroup_size: 1024
    .name:           _ZL30rocblas_trmm_outofplace_kernelIfLi32ELi2ELb0ELb0ELb1ELb0EPKfS0_fEv17rocblas_diagonal_iiT6_lPT7_lllS5_lllPT8_llli
    .private_segment_fixed_size: 0
    .sgpr_count:     46
    .sgpr_spill_count: 0
    .symbol:         _ZL30rocblas_trmm_outofplace_kernelIfLi32ELi2ELb0ELb0ELb1ELb0EPKfS0_fEv17rocblas_diagonal_iiT6_lPT7_lllS5_lllPT8_llli.kd
    .uniform_work_group_size: 1
    .uses_dynamic_stack: false
    .vgpr_count:     72
    .vgpr_spill_count: 0
    .wavefront_size: 32
    .workgroup_processor_mode: 1
  - .args:
      - .offset:         0
        .size:           4
        .value_kind:     by_value
      - .offset:         4
        .size:           4
        .value_kind:     by_value
      - .offset:         8
        .size:           4
        .value_kind:     by_value
      - .offset:         12
        .size:           4
        .value_kind:     by_value
      - .offset:         16
        .size:           8
        .value_kind:     by_value
      - .address_space:  global
        .offset:         24
        .size:           8
        .value_kind:     global_buffer
      - .offset:         32
        .size:           8
        .value_kind:     by_value
      - .offset:         40
        .size:           8
        .value_kind:     by_value
      - .offset:         48
        .size:           8
        .value_kind:     by_value
      - .address_space:  global
        .offset:         56
        .size:           8
        .value_kind:     global_buffer
      - .offset:         64
        .size:           8
        .value_kind:     by_value
      - .offset:         72
        .size:           8
        .value_kind:     by_value
      - .offset:         80
        .size:           8
        .value_kind:     by_value
      - .address_space:  global
        .offset:         88
        .size:           8
        .value_kind:     global_buffer
      - .offset:         96
        .size:           8
        .value_kind:     by_value
      - .offset:         104
        .size:           8
        .value_kind:     by_value
      - .offset:         112
        .size:           8
        .value_kind:     by_value
      - .offset:         120
        .size:           4
        .value_kind:     by_value
      - .offset:         128
        .size:           4
        .value_kind:     hidden_block_count_x
      - .offset:         132
        .size:           4
        .value_kind:     hidden_block_count_y
      - .offset:         136
        .size:           4
        .value_kind:     hidden_block_count_z
      - .offset:         140
        .size:           2
        .value_kind:     hidden_group_size_x
      - .offset:         142
        .size:           2
        .value_kind:     hidden_group_size_y
      - .offset:         144
        .size:           2
        .value_kind:     hidden_group_size_z
      - .offset:         146
        .size:           2
        .value_kind:     hidden_remainder_x
      - .offset:         148
        .size:           2
        .value_kind:     hidden_remainder_y
      - .offset:         150
        .size:           2
        .value_kind:     hidden_remainder_z
      - .offset:         168
        .size:           8
        .value_kind:     hidden_global_offset_x
      - .offset:         176
        .size:           8
        .value_kind:     hidden_global_offset_y
      - .offset:         184
        .size:           8
        .value_kind:     hidden_global_offset_z
      - .offset:         192
        .size:           2
        .value_kind:     hidden_grid_dims
    .group_segment_fixed_size: 8192
    .kernarg_segment_align: 8
    .kernarg_segment_size: 384
    .language:       OpenCL C
    .language_version:
      - 2
      - 0
    .max_flat_workgroup_size: 1024
    .name:           _ZL30rocblas_trmm_outofplace_kernelIfLi32ELi2ELb0ELb0ELb1ELb0EfKffEv17rocblas_diagonal_iiT6_lPT7_lllS4_lllPT8_llli
    .private_segment_fixed_size: 0
    .sgpr_count:     48
    .sgpr_spill_count: 0
    .symbol:         _ZL30rocblas_trmm_outofplace_kernelIfLi32ELi2ELb0ELb0ELb1ELb0EfKffEv17rocblas_diagonal_iiT6_lPT7_lllS4_lllPT8_llli.kd
    .uniform_work_group_size: 1
    .uses_dynamic_stack: false
    .vgpr_count:     72
    .vgpr_spill_count: 0
    .wavefront_size: 32
    .workgroup_processor_mode: 1
  - .args:
      - .offset:         0
        .size:           4
        .value_kind:     by_value
      - .offset:         4
        .size:           4
        .value_kind:     by_value
      - .offset:         8
        .size:           4
        .value_kind:     by_value
      - .address_space:  global
        .offset:         16
        .size:           8
        .value_kind:     global_buffer
      - .offset:         24
        .size:           8
        .value_kind:     by_value
      - .address_space:  global
        .offset:         32
        .size:           8
        .value_kind:     global_buffer
      - .offset:         40
        .size:           8
        .value_kind:     by_value
      - .offset:         48
        .size:           8
        .value_kind:     by_value
      - .offset:         56
        .size:           8
        .value_kind:     by_value
      - .address_space:  global
        .offset:         64
        .size:           8
        .value_kind:     global_buffer
      - .offset:         72
        .size:           8
        .value_kind:     by_value
      - .offset:         80
        .size:           8
        .value_kind:     by_value
      - .offset:         88
        .size:           8
        .value_kind:     by_value
      - .address_space:  global
        .offset:         96
        .size:           8
        .value_kind:     global_buffer
      - .offset:         104
        .size:           8
        .value_kind:     by_value
      - .offset:         112
        .size:           8
        .value_kind:     by_value
      - .offset:         120
        .size:           8
        .value_kind:     by_value
      - .offset:         128
        .size:           4
        .value_kind:     by_value
      - .offset:         136
        .size:           4
        .value_kind:     hidden_block_count_x
      - .offset:         140
        .size:           4
        .value_kind:     hidden_block_count_y
      - .offset:         144
        .size:           4
        .value_kind:     hidden_block_count_z
      - .offset:         148
        .size:           2
        .value_kind:     hidden_group_size_x
      - .offset:         150
        .size:           2
        .value_kind:     hidden_group_size_y
      - .offset:         152
        .size:           2
        .value_kind:     hidden_group_size_z
      - .offset:         154
        .size:           2
        .value_kind:     hidden_remainder_x
      - .offset:         156
        .size:           2
        .value_kind:     hidden_remainder_y
      - .offset:         158
        .size:           2
        .value_kind:     hidden_remainder_z
      - .offset:         176
        .size:           8
        .value_kind:     hidden_global_offset_x
      - .offset:         184
        .size:           8
        .value_kind:     hidden_global_offset_y
      - .offset:         192
        .size:           8
        .value_kind:     hidden_global_offset_z
      - .offset:         200
        .size:           2
        .value_kind:     hidden_grid_dims
    .group_segment_fixed_size: 8192
    .kernarg_segment_align: 8
    .kernarg_segment_size: 392
    .language:       OpenCL C
    .language_version:
      - 2
      - 0
    .max_flat_workgroup_size: 1024
    .name:           _ZL30rocblas_trmm_outofplace_kernelIfLi32ELi2ELb0ELb1ELb1ELb0EPKfS0_fEv17rocblas_diagonal_iiT6_lPT7_lllS5_lllPT8_llli
    .private_segment_fixed_size: 0
    .sgpr_count:     50
    .sgpr_spill_count: 0
    .symbol:         _ZL30rocblas_trmm_outofplace_kernelIfLi32ELi2ELb0ELb1ELb1ELb0EPKfS0_fEv17rocblas_diagonal_iiT6_lPT7_lllS5_lllPT8_llli.kd
    .uniform_work_group_size: 1
    .uses_dynamic_stack: false
    .vgpr_count:     68
    .vgpr_spill_count: 0
    .wavefront_size: 32
    .workgroup_processor_mode: 1
  - .args:
      - .offset:         0
        .size:           4
        .value_kind:     by_value
      - .offset:         4
        .size:           4
        .value_kind:     by_value
      - .offset:         8
        .size:           4
        .value_kind:     by_value
      - .offset:         12
        .size:           4
        .value_kind:     by_value
      - .offset:         16
        .size:           8
        .value_kind:     by_value
      - .address_space:  global
        .offset:         24
        .size:           8
        .value_kind:     global_buffer
      - .offset:         32
        .size:           8
        .value_kind:     by_value
      - .offset:         40
        .size:           8
        .value_kind:     by_value
      - .offset:         48
        .size:           8
        .value_kind:     by_value
      - .address_space:  global
        .offset:         56
        .size:           8
        .value_kind:     global_buffer
      - .offset:         64
        .size:           8
        .value_kind:     by_value
      - .offset:         72
        .size:           8
        .value_kind:     by_value
      - .offset:         80
        .size:           8
        .value_kind:     by_value
      - .address_space:  global
        .offset:         88
        .size:           8
        .value_kind:     global_buffer
      - .offset:         96
        .size:           8
        .value_kind:     by_value
      - .offset:         104
        .size:           8
        .value_kind:     by_value
      - .offset:         112
        .size:           8
        .value_kind:     by_value
      - .offset:         120
        .size:           4
        .value_kind:     by_value
      - .offset:         128
        .size:           4
        .value_kind:     hidden_block_count_x
      - .offset:         132
        .size:           4
        .value_kind:     hidden_block_count_y
      - .offset:         136
        .size:           4
        .value_kind:     hidden_block_count_z
      - .offset:         140
        .size:           2
        .value_kind:     hidden_group_size_x
      - .offset:         142
        .size:           2
        .value_kind:     hidden_group_size_y
      - .offset:         144
        .size:           2
        .value_kind:     hidden_group_size_z
      - .offset:         146
        .size:           2
        .value_kind:     hidden_remainder_x
      - .offset:         148
        .size:           2
        .value_kind:     hidden_remainder_y
      - .offset:         150
        .size:           2
        .value_kind:     hidden_remainder_z
      - .offset:         168
        .size:           8
        .value_kind:     hidden_global_offset_x
      - .offset:         176
        .size:           8
        .value_kind:     hidden_global_offset_y
      - .offset:         184
        .size:           8
        .value_kind:     hidden_global_offset_z
      - .offset:         192
        .size:           2
        .value_kind:     hidden_grid_dims
    .group_segment_fixed_size: 8192
    .kernarg_segment_align: 8
    .kernarg_segment_size: 384
    .language:       OpenCL C
    .language_version:
      - 2
      - 0
    .max_flat_workgroup_size: 1024
    .name:           _ZL30rocblas_trmm_outofplace_kernelIfLi32ELi2ELb0ELb1ELb1ELb0EfKffEv17rocblas_diagonal_iiT6_lPT7_lllS4_lllPT8_llli
    .private_segment_fixed_size: 0
    .sgpr_count:     51
    .sgpr_spill_count: 0
    .symbol:         _ZL30rocblas_trmm_outofplace_kernelIfLi32ELi2ELb0ELb1ELb1ELb0EfKffEv17rocblas_diagonal_iiT6_lPT7_lllS4_lllPT8_llli.kd
    .uniform_work_group_size: 1
    .uses_dynamic_stack: false
    .vgpr_count:     68
    .vgpr_spill_count: 0
    .wavefront_size: 32
    .workgroup_processor_mode: 1
  - .args:
      - .offset:         0
        .size:           4
        .value_kind:     by_value
      - .offset:         4
        .size:           4
        .value_kind:     by_value
      - .offset:         8
        .size:           4
        .value_kind:     by_value
      - .address_space:  global
        .offset:         16
        .size:           8
        .value_kind:     global_buffer
      - .offset:         24
        .size:           8
        .value_kind:     by_value
      - .address_space:  global
        .offset:         32
        .size:           8
        .value_kind:     global_buffer
      - .offset:         40
        .size:           8
        .value_kind:     by_value
      - .offset:         48
        .size:           8
        .value_kind:     by_value
      - .offset:         56
        .size:           8
        .value_kind:     by_value
      - .address_space:  global
        .offset:         64
        .size:           8
        .value_kind:     global_buffer
      - .offset:         72
        .size:           8
        .value_kind:     by_value
      - .offset:         80
        .size:           8
        .value_kind:     by_value
      - .offset:         88
        .size:           8
        .value_kind:     by_value
      - .address_space:  global
        .offset:         96
        .size:           8
        .value_kind:     global_buffer
      - .offset:         104
        .size:           8
        .value_kind:     by_value
      - .offset:         112
        .size:           8
        .value_kind:     by_value
      - .offset:         120
        .size:           8
        .value_kind:     by_value
      - .offset:         128
        .size:           4
        .value_kind:     by_value
      - .offset:         136
        .size:           4
        .value_kind:     hidden_block_count_x
      - .offset:         140
        .size:           4
        .value_kind:     hidden_block_count_y
      - .offset:         144
        .size:           4
        .value_kind:     hidden_block_count_z
      - .offset:         148
        .size:           2
        .value_kind:     hidden_group_size_x
      - .offset:         150
        .size:           2
        .value_kind:     hidden_group_size_y
      - .offset:         152
        .size:           2
        .value_kind:     hidden_group_size_z
      - .offset:         154
        .size:           2
        .value_kind:     hidden_remainder_x
      - .offset:         156
        .size:           2
        .value_kind:     hidden_remainder_y
      - .offset:         158
        .size:           2
        .value_kind:     hidden_remainder_z
      - .offset:         176
        .size:           8
        .value_kind:     hidden_global_offset_x
      - .offset:         184
        .size:           8
        .value_kind:     hidden_global_offset_y
      - .offset:         192
        .size:           8
        .value_kind:     hidden_global_offset_z
      - .offset:         200
        .size:           2
        .value_kind:     hidden_grid_dims
    .group_segment_fixed_size: 8192
    .kernarg_segment_align: 8
    .kernarg_segment_size: 392
    .language:       OpenCL C
    .language_version:
      - 2
      - 0
    .max_flat_workgroup_size: 1024
    .name:           _ZL30rocblas_trmm_outofplace_kernelIfLi32ELi2ELb0ELb0ELb1ELb1EPKfS0_fEv17rocblas_diagonal_iiT6_lPT7_lllS5_lllPT8_llli
    .private_segment_fixed_size: 0
    .sgpr_count:     46
    .sgpr_spill_count: 0
    .symbol:         _ZL30rocblas_trmm_outofplace_kernelIfLi32ELi2ELb0ELb0ELb1ELb1EPKfS0_fEv17rocblas_diagonal_iiT6_lPT7_lllS5_lllPT8_llli.kd
    .uniform_work_group_size: 1
    .uses_dynamic_stack: false
    .vgpr_count:     72
    .vgpr_spill_count: 0
    .wavefront_size: 32
    .workgroup_processor_mode: 1
  - .args:
      - .offset:         0
        .size:           4
        .value_kind:     by_value
      - .offset:         4
        .size:           4
        .value_kind:     by_value
      - .offset:         8
        .size:           4
        .value_kind:     by_value
      - .offset:         12
        .size:           4
        .value_kind:     by_value
      - .offset:         16
        .size:           8
        .value_kind:     by_value
      - .address_space:  global
        .offset:         24
        .size:           8
        .value_kind:     global_buffer
      - .offset:         32
        .size:           8
        .value_kind:     by_value
      - .offset:         40
        .size:           8
        .value_kind:     by_value
      - .offset:         48
        .size:           8
        .value_kind:     by_value
      - .address_space:  global
        .offset:         56
        .size:           8
        .value_kind:     global_buffer
      - .offset:         64
        .size:           8
        .value_kind:     by_value
      - .offset:         72
        .size:           8
        .value_kind:     by_value
      - .offset:         80
        .size:           8
        .value_kind:     by_value
      - .address_space:  global
        .offset:         88
        .size:           8
        .value_kind:     global_buffer
      - .offset:         96
        .size:           8
        .value_kind:     by_value
      - .offset:         104
        .size:           8
        .value_kind:     by_value
      - .offset:         112
        .size:           8
        .value_kind:     by_value
      - .offset:         120
        .size:           4
        .value_kind:     by_value
      - .offset:         128
        .size:           4
        .value_kind:     hidden_block_count_x
      - .offset:         132
        .size:           4
        .value_kind:     hidden_block_count_y
      - .offset:         136
        .size:           4
        .value_kind:     hidden_block_count_z
      - .offset:         140
        .size:           2
        .value_kind:     hidden_group_size_x
      - .offset:         142
        .size:           2
        .value_kind:     hidden_group_size_y
      - .offset:         144
        .size:           2
        .value_kind:     hidden_group_size_z
      - .offset:         146
        .size:           2
        .value_kind:     hidden_remainder_x
      - .offset:         148
        .size:           2
        .value_kind:     hidden_remainder_y
      - .offset:         150
        .size:           2
        .value_kind:     hidden_remainder_z
      - .offset:         168
        .size:           8
        .value_kind:     hidden_global_offset_x
      - .offset:         176
        .size:           8
        .value_kind:     hidden_global_offset_y
      - .offset:         184
        .size:           8
        .value_kind:     hidden_global_offset_z
      - .offset:         192
        .size:           2
        .value_kind:     hidden_grid_dims
    .group_segment_fixed_size: 8192
    .kernarg_segment_align: 8
    .kernarg_segment_size: 384
    .language:       OpenCL C
    .language_version:
      - 2
      - 0
    .max_flat_workgroup_size: 1024
    .name:           _ZL30rocblas_trmm_outofplace_kernelIfLi32ELi2ELb0ELb0ELb1ELb1EfKffEv17rocblas_diagonal_iiT6_lPT7_lllS4_lllPT8_llli
    .private_segment_fixed_size: 0
    .sgpr_count:     48
    .sgpr_spill_count: 0
    .symbol:         _ZL30rocblas_trmm_outofplace_kernelIfLi32ELi2ELb0ELb0ELb1ELb1EfKffEv17rocblas_diagonal_iiT6_lPT7_lllS4_lllPT8_llli.kd
    .uniform_work_group_size: 1
    .uses_dynamic_stack: false
    .vgpr_count:     72
    .vgpr_spill_count: 0
    .wavefront_size: 32
    .workgroup_processor_mode: 1
  - .args:
      - .offset:         0
        .size:           4
        .value_kind:     by_value
      - .offset:         4
        .size:           4
        .value_kind:     by_value
      - .offset:         8
        .size:           4
        .value_kind:     by_value
      - .address_space:  global
        .offset:         16
        .size:           8
        .value_kind:     global_buffer
      - .offset:         24
        .size:           8
        .value_kind:     by_value
      - .address_space:  global
        .offset:         32
        .size:           8
        .value_kind:     global_buffer
      - .offset:         40
        .size:           8
        .value_kind:     by_value
      - .offset:         48
        .size:           8
        .value_kind:     by_value
      - .offset:         56
        .size:           8
        .value_kind:     by_value
      - .address_space:  global
        .offset:         64
        .size:           8
        .value_kind:     global_buffer
      - .offset:         72
        .size:           8
        .value_kind:     by_value
      - .offset:         80
        .size:           8
        .value_kind:     by_value
      - .offset:         88
        .size:           8
        .value_kind:     by_value
      - .address_space:  global
        .offset:         96
        .size:           8
        .value_kind:     global_buffer
      - .offset:         104
        .size:           8
        .value_kind:     by_value
      - .offset:         112
        .size:           8
        .value_kind:     by_value
      - .offset:         120
        .size:           8
        .value_kind:     by_value
      - .offset:         128
        .size:           4
        .value_kind:     by_value
      - .offset:         136
        .size:           4
        .value_kind:     hidden_block_count_x
      - .offset:         140
        .size:           4
        .value_kind:     hidden_block_count_y
      - .offset:         144
        .size:           4
        .value_kind:     hidden_block_count_z
      - .offset:         148
        .size:           2
        .value_kind:     hidden_group_size_x
      - .offset:         150
        .size:           2
        .value_kind:     hidden_group_size_y
      - .offset:         152
        .size:           2
        .value_kind:     hidden_group_size_z
      - .offset:         154
        .size:           2
        .value_kind:     hidden_remainder_x
      - .offset:         156
        .size:           2
        .value_kind:     hidden_remainder_y
      - .offset:         158
        .size:           2
        .value_kind:     hidden_remainder_z
      - .offset:         176
        .size:           8
        .value_kind:     hidden_global_offset_x
      - .offset:         184
        .size:           8
        .value_kind:     hidden_global_offset_y
      - .offset:         192
        .size:           8
        .value_kind:     hidden_global_offset_z
      - .offset:         200
        .size:           2
        .value_kind:     hidden_grid_dims
    .group_segment_fixed_size: 8192
    .kernarg_segment_align: 8
    .kernarg_segment_size: 392
    .language:       OpenCL C
    .language_version:
      - 2
      - 0
    .max_flat_workgroup_size: 1024
    .name:           _ZL30rocblas_trmm_outofplace_kernelIfLi32ELi2ELb0ELb1ELb1ELb1EPKfS0_fEv17rocblas_diagonal_iiT6_lPT7_lllS5_lllPT8_llli
    .private_segment_fixed_size: 0
    .sgpr_count:     50
    .sgpr_spill_count: 0
    .symbol:         _ZL30rocblas_trmm_outofplace_kernelIfLi32ELi2ELb0ELb1ELb1ELb1EPKfS0_fEv17rocblas_diagonal_iiT6_lPT7_lllS5_lllPT8_llli.kd
    .uniform_work_group_size: 1
    .uses_dynamic_stack: false
    .vgpr_count:     68
    .vgpr_spill_count: 0
    .wavefront_size: 32
    .workgroup_processor_mode: 1
  - .args:
      - .offset:         0
        .size:           4
        .value_kind:     by_value
      - .offset:         4
        .size:           4
        .value_kind:     by_value
      - .offset:         8
        .size:           4
        .value_kind:     by_value
      - .offset:         12
        .size:           4
        .value_kind:     by_value
      - .offset:         16
        .size:           8
        .value_kind:     by_value
      - .address_space:  global
        .offset:         24
        .size:           8
        .value_kind:     global_buffer
      - .offset:         32
        .size:           8
        .value_kind:     by_value
      - .offset:         40
        .size:           8
        .value_kind:     by_value
      - .offset:         48
        .size:           8
        .value_kind:     by_value
      - .address_space:  global
        .offset:         56
        .size:           8
        .value_kind:     global_buffer
      - .offset:         64
        .size:           8
        .value_kind:     by_value
      - .offset:         72
        .size:           8
        .value_kind:     by_value
      - .offset:         80
        .size:           8
        .value_kind:     by_value
      - .address_space:  global
        .offset:         88
        .size:           8
        .value_kind:     global_buffer
      - .offset:         96
        .size:           8
        .value_kind:     by_value
      - .offset:         104
        .size:           8
        .value_kind:     by_value
      - .offset:         112
        .size:           8
        .value_kind:     by_value
      - .offset:         120
        .size:           4
        .value_kind:     by_value
      - .offset:         128
        .size:           4
        .value_kind:     hidden_block_count_x
      - .offset:         132
        .size:           4
        .value_kind:     hidden_block_count_y
      - .offset:         136
        .size:           4
        .value_kind:     hidden_block_count_z
      - .offset:         140
        .size:           2
        .value_kind:     hidden_group_size_x
      - .offset:         142
        .size:           2
        .value_kind:     hidden_group_size_y
      - .offset:         144
        .size:           2
        .value_kind:     hidden_group_size_z
      - .offset:         146
        .size:           2
        .value_kind:     hidden_remainder_x
      - .offset:         148
        .size:           2
        .value_kind:     hidden_remainder_y
      - .offset:         150
        .size:           2
        .value_kind:     hidden_remainder_z
      - .offset:         168
        .size:           8
        .value_kind:     hidden_global_offset_x
      - .offset:         176
        .size:           8
        .value_kind:     hidden_global_offset_y
      - .offset:         184
        .size:           8
        .value_kind:     hidden_global_offset_z
      - .offset:         192
        .size:           2
        .value_kind:     hidden_grid_dims
    .group_segment_fixed_size: 8192
    .kernarg_segment_align: 8
    .kernarg_segment_size: 384
    .language:       OpenCL C
    .language_version:
      - 2
      - 0
    .max_flat_workgroup_size: 1024
    .name:           _ZL30rocblas_trmm_outofplace_kernelIfLi32ELi2ELb0ELb1ELb1ELb1EfKffEv17rocblas_diagonal_iiT6_lPT7_lllS4_lllPT8_llli
    .private_segment_fixed_size: 0
    .sgpr_count:     51
    .sgpr_spill_count: 0
    .symbol:         _ZL30rocblas_trmm_outofplace_kernelIfLi32ELi2ELb0ELb1ELb1ELb1EfKffEv17rocblas_diagonal_iiT6_lPT7_lllS4_lllPT8_llli.kd
    .uniform_work_group_size: 1
    .uses_dynamic_stack: false
    .vgpr_count:     68
    .vgpr_spill_count: 0
    .wavefront_size: 32
    .workgroup_processor_mode: 1
  - .args:
      - .offset:         0
        .size:           4
        .value_kind:     by_value
      - .offset:         4
        .size:           4
        .value_kind:     by_value
      - .offset:         8
        .size:           4
        .value_kind:     by_value
      - .offset:         12
        .size:           4
        .value_kind:     by_value
      - .address_space:  global
        .offset:         16
        .size:           8
        .value_kind:     global_buffer
      - .offset:         24
        .size:           8
        .value_kind:     by_value
      - .address_space:  global
        .offset:         32
        .size:           8
        .value_kind:     global_buffer
      - .offset:         40
        .size:           8
        .value_kind:     by_value
      - .offset:         48
        .size:           8
        .value_kind:     by_value
      - .address_space:  global
        .offset:         56
        .size:           8
        .value_kind:     global_buffer
      - .offset:         64
        .size:           8
        .value_kind:     by_value
      - .offset:         72
        .size:           8
        .value_kind:     by_value
      - .address_space:  global
        .offset:         80
        .size:           8
        .value_kind:     global_buffer
      - .offset:         88
        .size:           8
        .value_kind:     by_value
      - .offset:         96
        .size:           8
        .value_kind:     by_value
      - .offset:         104
        .size:           4
        .value_kind:     by_value
    .group_segment_fixed_size: 8192
    .kernarg_segment_align: 8
    .kernarg_segment_size: 108
    .language:       OpenCL C
    .language_version:
      - 2
      - 0
    .max_flat_workgroup_size: 1024
    .name:           _ZL23rocblas_trmm_lNx_kernelILi32EfPKfS0_fEv13rocblas_fill_17rocblas_diagonal_iiT1_lPT2_llS6_llPT3_lli
    .private_segment_fixed_size: 0
    .sgpr_count:     26
    .sgpr_spill_count: 0
    .symbol:         _ZL23rocblas_trmm_lNx_kernelILi32EfPKfS0_fEv13rocblas_fill_17rocblas_diagonal_iiT1_lPT2_llS6_llPT3_lli.kd
    .uniform_work_group_size: 1
    .uses_dynamic_stack: false
    .vgpr_count:     21
    .vgpr_spill_count: 0
    .wavefront_size: 32
    .workgroup_processor_mode: 1
  - .args:
      - .offset:         0
        .size:           4
        .value_kind:     by_value
      - .offset:         4
        .size:           4
        .value_kind:     by_value
      - .offset:         8
        .size:           4
        .value_kind:     by_value
      - .offset:         12
        .size:           4
        .value_kind:     by_value
      - .offset:         16
        .size:           4
        .value_kind:     by_value
      - .offset:         24
        .size:           8
        .value_kind:     by_value
      - .address_space:  global
        .offset:         32
        .size:           8
        .value_kind:     global_buffer
      - .offset:         40
        .size:           8
        .value_kind:     by_value
      - .offset:         48
        .size:           8
        .value_kind:     by_value
      - .address_space:  global
        .offset:         56
        .size:           8
        .value_kind:     global_buffer
      - .offset:         64
        .size:           8
        .value_kind:     by_value
      - .offset:         72
        .size:           8
        .value_kind:     by_value
      - .address_space:  global
        .offset:         80
        .size:           8
        .value_kind:     global_buffer
      - .offset:         88
        .size:           8
        .value_kind:     by_value
      - .offset:         96
        .size:           8
        .value_kind:     by_value
      - .offset:         104
        .size:           4
        .value_kind:     by_value
    .group_segment_fixed_size: 8192
    .kernarg_segment_align: 8
    .kernarg_segment_size: 108
    .language:       OpenCL C
    .language_version:
      - 2
      - 0
    .max_flat_workgroup_size: 1024
    .name:           _ZL23rocblas_trmm_lNx_kernelILi32EffKffEv13rocblas_fill_17rocblas_diagonal_iiT1_lPT2_llS5_llPT3_lli
    .private_segment_fixed_size: 0
    .sgpr_count:     30
    .sgpr_spill_count: 0
    .symbol:         _ZL23rocblas_trmm_lNx_kernelILi32EffKffEv13rocblas_fill_17rocblas_diagonal_iiT1_lPT2_llS5_llPT3_lli.kd
    .uniform_work_group_size: 1
    .uses_dynamic_stack: false
    .vgpr_count:     21
    .vgpr_spill_count: 0
    .wavefront_size: 32
    .workgroup_processor_mode: 1
  - .args:
      - .offset:         0
        .size:           4
        .value_kind:     by_value
      - .offset:         4
        .size:           4
        .value_kind:     by_value
      - .offset:         8
        .size:           4
        .value_kind:     by_value
      - .offset:         12
        .size:           4
        .value_kind:     by_value
      - .address_space:  global
        .offset:         16
        .size:           8
        .value_kind:     global_buffer
      - .offset:         24
        .size:           8
        .value_kind:     by_value
      - .address_space:  global
        .offset:         32
        .size:           8
        .value_kind:     global_buffer
      - .offset:         40
        .size:           8
        .value_kind:     by_value
      - .offset:         48
        .size:           8
        .value_kind:     by_value
      - .address_space:  global
        .offset:         56
        .size:           8
        .value_kind:     global_buffer
      - .offset:         64
        .size:           8
        .value_kind:     by_value
      - .offset:         72
        .size:           8
        .value_kind:     by_value
      - .address_space:  global
        .offset:         80
        .size:           8
        .value_kind:     global_buffer
      - .offset:         88
        .size:           8
        .value_kind:     by_value
      - .offset:         96
        .size:           8
        .value_kind:     by_value
      - .offset:         104
        .size:           4
        .value_kind:     by_value
    .group_segment_fixed_size: 8192
    .kernarg_segment_align: 8
    .kernarg_segment_size: 108
    .language:       OpenCL C
    .language_version:
      - 2
      - 0
    .max_flat_workgroup_size: 1024
    .name:           _ZL23rocblas_trmm_lTx_kernelILi32ELb0EfPKfS0_fEv13rocblas_fill_17rocblas_diagonal_iiT2_lPT3_llS6_llPT4_lli
    .private_segment_fixed_size: 0
    .sgpr_count:     26
    .sgpr_spill_count: 0
    .symbol:         _ZL23rocblas_trmm_lTx_kernelILi32ELb0EfPKfS0_fEv13rocblas_fill_17rocblas_diagonal_iiT2_lPT3_llS6_llPT4_lli.kd
    .uniform_work_group_size: 1
    .uses_dynamic_stack: false
    .vgpr_count:     21
    .vgpr_spill_count: 0
    .wavefront_size: 32
    .workgroup_processor_mode: 1
  - .args:
      - .offset:         0
        .size:           4
        .value_kind:     by_value
      - .offset:         4
        .size:           4
        .value_kind:     by_value
      - .offset:         8
        .size:           4
        .value_kind:     by_value
      - .offset:         12
        .size:           4
        .value_kind:     by_value
      - .offset:         16
        .size:           4
        .value_kind:     by_value
      - .offset:         24
        .size:           8
        .value_kind:     by_value
      - .address_space:  global
        .offset:         32
        .size:           8
        .value_kind:     global_buffer
      - .offset:         40
        .size:           8
        .value_kind:     by_value
      - .offset:         48
        .size:           8
        .value_kind:     by_value
      - .address_space:  global
        .offset:         56
        .size:           8
        .value_kind:     global_buffer
      - .offset:         64
        .size:           8
        .value_kind:     by_value
      - .offset:         72
        .size:           8
        .value_kind:     by_value
      - .address_space:  global
        .offset:         80
        .size:           8
        .value_kind:     global_buffer
      - .offset:         88
        .size:           8
        .value_kind:     by_value
      - .offset:         96
        .size:           8
        .value_kind:     by_value
      - .offset:         104
        .size:           4
        .value_kind:     by_value
    .group_segment_fixed_size: 8192
    .kernarg_segment_align: 8
    .kernarg_segment_size: 108
    .language:       OpenCL C
    .language_version:
      - 2
      - 0
    .max_flat_workgroup_size: 1024
    .name:           _ZL23rocblas_trmm_lTx_kernelILi32ELb0EffKffEv13rocblas_fill_17rocblas_diagonal_iiT2_lPT3_llS5_llPT4_lli
    .private_segment_fixed_size: 0
    .sgpr_count:     30
    .sgpr_spill_count: 0
    .symbol:         _ZL23rocblas_trmm_lTx_kernelILi32ELb0EffKffEv13rocblas_fill_17rocblas_diagonal_iiT2_lPT3_llS5_llPT4_lli.kd
    .uniform_work_group_size: 1
    .uses_dynamic_stack: false
    .vgpr_count:     21
    .vgpr_spill_count: 0
    .wavefront_size: 32
    .workgroup_processor_mode: 1
  - .args:
      - .offset:         0
        .size:           4
        .value_kind:     by_value
      - .offset:         4
        .size:           4
        .value_kind:     by_value
      - .offset:         8
        .size:           4
        .value_kind:     by_value
      - .offset:         12
        .size:           4
        .value_kind:     by_value
      - .address_space:  global
        .offset:         16
        .size:           8
        .value_kind:     global_buffer
      - .offset:         24
        .size:           8
        .value_kind:     by_value
      - .address_space:  global
        .offset:         32
        .size:           8
        .value_kind:     global_buffer
      - .offset:         40
        .size:           8
        .value_kind:     by_value
      - .offset:         48
        .size:           8
        .value_kind:     by_value
      - .address_space:  global
        .offset:         56
        .size:           8
        .value_kind:     global_buffer
      - .offset:         64
        .size:           8
        .value_kind:     by_value
      - .offset:         72
        .size:           8
        .value_kind:     by_value
      - .address_space:  global
        .offset:         80
        .size:           8
        .value_kind:     global_buffer
      - .offset:         88
        .size:           8
        .value_kind:     by_value
      - .offset:         96
        .size:           8
        .value_kind:     by_value
      - .offset:         104
        .size:           4
        .value_kind:     by_value
    .group_segment_fixed_size: 8192
    .kernarg_segment_align: 8
    .kernarg_segment_size: 108
    .language:       OpenCL C
    .language_version:
      - 2
      - 0
    .max_flat_workgroup_size: 1024
    .name:           _ZL23rocblas_trmm_lTx_kernelILi32ELb1EfPKfS0_fEv13rocblas_fill_17rocblas_diagonal_iiT2_lPT3_llS6_llPT4_lli
    .private_segment_fixed_size: 0
    .sgpr_count:     26
    .sgpr_spill_count: 0
    .symbol:         _ZL23rocblas_trmm_lTx_kernelILi32ELb1EfPKfS0_fEv13rocblas_fill_17rocblas_diagonal_iiT2_lPT3_llS6_llPT4_lli.kd
    .uniform_work_group_size: 1
    .uses_dynamic_stack: false
    .vgpr_count:     21
    .vgpr_spill_count: 0
    .wavefront_size: 32
    .workgroup_processor_mode: 1
  - .args:
      - .offset:         0
        .size:           4
        .value_kind:     by_value
      - .offset:         4
        .size:           4
        .value_kind:     by_value
      - .offset:         8
        .size:           4
        .value_kind:     by_value
      - .offset:         12
        .size:           4
        .value_kind:     by_value
      - .offset:         16
        .size:           4
        .value_kind:     by_value
      - .offset:         24
        .size:           8
        .value_kind:     by_value
      - .address_space:  global
        .offset:         32
        .size:           8
        .value_kind:     global_buffer
      - .offset:         40
        .size:           8
        .value_kind:     by_value
      - .offset:         48
        .size:           8
        .value_kind:     by_value
      - .address_space:  global
        .offset:         56
        .size:           8
        .value_kind:     global_buffer
      - .offset:         64
        .size:           8
        .value_kind:     by_value
      - .offset:         72
        .size:           8
        .value_kind:     by_value
      - .address_space:  global
        .offset:         80
        .size:           8
        .value_kind:     global_buffer
      - .offset:         88
        .size:           8
        .value_kind:     by_value
      - .offset:         96
        .size:           8
        .value_kind:     by_value
      - .offset:         104
        .size:           4
        .value_kind:     by_value
    .group_segment_fixed_size: 8192
    .kernarg_segment_align: 8
    .kernarg_segment_size: 108
    .language:       OpenCL C
    .language_version:
      - 2
      - 0
    .max_flat_workgroup_size: 1024
    .name:           _ZL23rocblas_trmm_lTx_kernelILi32ELb1EffKffEv13rocblas_fill_17rocblas_diagonal_iiT2_lPT3_llS5_llPT4_lli
    .private_segment_fixed_size: 0
    .sgpr_count:     30
    .sgpr_spill_count: 0
    .symbol:         _ZL23rocblas_trmm_lTx_kernelILi32ELb1EffKffEv13rocblas_fill_17rocblas_diagonal_iiT2_lPT3_llS5_llPT4_lli.kd
    .uniform_work_group_size: 1
    .uses_dynamic_stack: false
    .vgpr_count:     21
    .vgpr_spill_count: 0
    .wavefront_size: 32
    .workgroup_processor_mode: 1
  - .args:
      - .offset:         0
        .size:           4
        .value_kind:     by_value
      - .offset:         4
        .size:           4
        .value_kind:     by_value
      - .offset:         8
        .size:           4
        .value_kind:     by_value
      - .offset:         12
        .size:           4
        .value_kind:     by_value
      - .address_space:  global
        .offset:         16
        .size:           8
        .value_kind:     global_buffer
      - .offset:         24
        .size:           8
        .value_kind:     by_value
      - .address_space:  global
        .offset:         32
        .size:           8
        .value_kind:     global_buffer
      - .offset:         40
        .size:           8
        .value_kind:     by_value
      - .offset:         48
        .size:           8
        .value_kind:     by_value
      - .address_space:  global
        .offset:         56
        .size:           8
        .value_kind:     global_buffer
      - .offset:         64
        .size:           8
        .value_kind:     by_value
      - .offset:         72
        .size:           8
        .value_kind:     by_value
      - .address_space:  global
        .offset:         80
        .size:           8
        .value_kind:     global_buffer
      - .offset:         88
        .size:           8
        .value_kind:     by_value
      - .offset:         96
        .size:           8
        .value_kind:     by_value
      - .offset:         104
        .size:           4
        .value_kind:     by_value
    .group_segment_fixed_size: 8192
    .kernarg_segment_align: 8
    .kernarg_segment_size: 108
    .language:       OpenCL C
    .language_version:
      - 2
      - 0
    .max_flat_workgroup_size: 1024
    .name:           _ZL23rocblas_trmm_rNx_kernelILi32EfPKfS0_fEv13rocblas_fill_17rocblas_diagonal_iiT1_lPT2_llS6_llPT3_lli
    .private_segment_fixed_size: 0
    .sgpr_count:     26
    .sgpr_spill_count: 0
    .symbol:         _ZL23rocblas_trmm_rNx_kernelILi32EfPKfS0_fEv13rocblas_fill_17rocblas_diagonal_iiT1_lPT2_llS6_llPT3_lli.kd
    .uniform_work_group_size: 1
    .uses_dynamic_stack: false
    .vgpr_count:     20
    .vgpr_spill_count: 0
    .wavefront_size: 32
    .workgroup_processor_mode: 1
  - .args:
      - .offset:         0
        .size:           4
        .value_kind:     by_value
      - .offset:         4
        .size:           4
        .value_kind:     by_value
      - .offset:         8
        .size:           4
        .value_kind:     by_value
      - .offset:         12
        .size:           4
        .value_kind:     by_value
      - .offset:         16
        .size:           4
        .value_kind:     by_value
      - .offset:         24
        .size:           8
        .value_kind:     by_value
      - .address_space:  global
        .offset:         32
        .size:           8
        .value_kind:     global_buffer
      - .offset:         40
        .size:           8
        .value_kind:     by_value
      - .offset:         48
        .size:           8
        .value_kind:     by_value
      - .address_space:  global
        .offset:         56
        .size:           8
        .value_kind:     global_buffer
      - .offset:         64
        .size:           8
        .value_kind:     by_value
      - .offset:         72
        .size:           8
        .value_kind:     by_value
      - .address_space:  global
        .offset:         80
        .size:           8
        .value_kind:     global_buffer
      - .offset:         88
        .size:           8
        .value_kind:     by_value
      - .offset:         96
        .size:           8
        .value_kind:     by_value
      - .offset:         104
        .size:           4
        .value_kind:     by_value
    .group_segment_fixed_size: 8192
    .kernarg_segment_align: 8
    .kernarg_segment_size: 108
    .language:       OpenCL C
    .language_version:
      - 2
      - 0
    .max_flat_workgroup_size: 1024
    .name:           _ZL23rocblas_trmm_rNx_kernelILi32EffKffEv13rocblas_fill_17rocblas_diagonal_iiT1_lPT2_llS5_llPT3_lli
    .private_segment_fixed_size: 0
    .sgpr_count:     30
    .sgpr_spill_count: 0
    .symbol:         _ZL23rocblas_trmm_rNx_kernelILi32EffKffEv13rocblas_fill_17rocblas_diagonal_iiT1_lPT2_llS5_llPT3_lli.kd
    .uniform_work_group_size: 1
    .uses_dynamic_stack: false
    .vgpr_count:     20
    .vgpr_spill_count: 0
    .wavefront_size: 32
    .workgroup_processor_mode: 1
  - .args:
      - .offset:         0
        .size:           4
        .value_kind:     by_value
      - .offset:         4
        .size:           4
        .value_kind:     by_value
      - .offset:         8
        .size:           4
        .value_kind:     by_value
      - .offset:         12
        .size:           4
        .value_kind:     by_value
      - .address_space:  global
        .offset:         16
        .size:           8
        .value_kind:     global_buffer
      - .offset:         24
        .size:           8
        .value_kind:     by_value
      - .address_space:  global
        .offset:         32
        .size:           8
        .value_kind:     global_buffer
      - .offset:         40
        .size:           8
        .value_kind:     by_value
      - .offset:         48
        .size:           8
        .value_kind:     by_value
      - .address_space:  global
        .offset:         56
        .size:           8
        .value_kind:     global_buffer
      - .offset:         64
        .size:           8
        .value_kind:     by_value
      - .offset:         72
        .size:           8
        .value_kind:     by_value
      - .address_space:  global
        .offset:         80
        .size:           8
        .value_kind:     global_buffer
      - .offset:         88
        .size:           8
        .value_kind:     by_value
      - .offset:         96
        .size:           8
        .value_kind:     by_value
      - .offset:         104
        .size:           4
        .value_kind:     by_value
    .group_segment_fixed_size: 8192
    .kernarg_segment_align: 8
    .kernarg_segment_size: 108
    .language:       OpenCL C
    .language_version:
      - 2
      - 0
    .max_flat_workgroup_size: 1024
    .name:           _ZL23rocblas_trmm_rTx_kernelILi32ELb0EfPKfS0_fEv13rocblas_fill_17rocblas_diagonal_iiT2_lPT3_llS6_llPT4_lli
    .private_segment_fixed_size: 0
    .sgpr_count:     26
    .sgpr_spill_count: 0
    .symbol:         _ZL23rocblas_trmm_rTx_kernelILi32ELb0EfPKfS0_fEv13rocblas_fill_17rocblas_diagonal_iiT2_lPT3_llS6_llPT4_lli.kd
    .uniform_work_group_size: 1
    .uses_dynamic_stack: false
    .vgpr_count:     19
    .vgpr_spill_count: 0
    .wavefront_size: 32
    .workgroup_processor_mode: 1
  - .args:
      - .offset:         0
        .size:           4
        .value_kind:     by_value
      - .offset:         4
        .size:           4
        .value_kind:     by_value
      - .offset:         8
        .size:           4
        .value_kind:     by_value
      - .offset:         12
        .size:           4
        .value_kind:     by_value
      - .offset:         16
        .size:           4
        .value_kind:     by_value
      - .offset:         24
        .size:           8
        .value_kind:     by_value
      - .address_space:  global
        .offset:         32
        .size:           8
        .value_kind:     global_buffer
      - .offset:         40
        .size:           8
        .value_kind:     by_value
      - .offset:         48
        .size:           8
        .value_kind:     by_value
      - .address_space:  global
        .offset:         56
        .size:           8
        .value_kind:     global_buffer
      - .offset:         64
        .size:           8
        .value_kind:     by_value
      - .offset:         72
        .size:           8
        .value_kind:     by_value
      - .address_space:  global
        .offset:         80
        .size:           8
        .value_kind:     global_buffer
      - .offset:         88
        .size:           8
        .value_kind:     by_value
      - .offset:         96
        .size:           8
        .value_kind:     by_value
      - .offset:         104
        .size:           4
        .value_kind:     by_value
    .group_segment_fixed_size: 8192
    .kernarg_segment_align: 8
    .kernarg_segment_size: 108
    .language:       OpenCL C
    .language_version:
      - 2
      - 0
    .max_flat_workgroup_size: 1024
    .name:           _ZL23rocblas_trmm_rTx_kernelILi32ELb0EffKffEv13rocblas_fill_17rocblas_diagonal_iiT2_lPT3_llS5_llPT4_lli
    .private_segment_fixed_size: 0
    .sgpr_count:     30
    .sgpr_spill_count: 0
    .symbol:         _ZL23rocblas_trmm_rTx_kernelILi32ELb0EffKffEv13rocblas_fill_17rocblas_diagonal_iiT2_lPT3_llS5_llPT4_lli.kd
    .uniform_work_group_size: 1
    .uses_dynamic_stack: false
    .vgpr_count:     19
    .vgpr_spill_count: 0
    .wavefront_size: 32
    .workgroup_processor_mode: 1
  - .args:
      - .offset:         0
        .size:           4
        .value_kind:     by_value
      - .offset:         4
        .size:           4
        .value_kind:     by_value
      - .offset:         8
        .size:           4
        .value_kind:     by_value
      - .offset:         12
        .size:           4
        .value_kind:     by_value
      - .address_space:  global
        .offset:         16
        .size:           8
        .value_kind:     global_buffer
      - .offset:         24
        .size:           8
        .value_kind:     by_value
      - .address_space:  global
        .offset:         32
        .size:           8
        .value_kind:     global_buffer
      - .offset:         40
        .size:           8
        .value_kind:     by_value
      - .offset:         48
        .size:           8
        .value_kind:     by_value
      - .address_space:  global
        .offset:         56
        .size:           8
        .value_kind:     global_buffer
      - .offset:         64
        .size:           8
        .value_kind:     by_value
      - .offset:         72
        .size:           8
        .value_kind:     by_value
      - .address_space:  global
        .offset:         80
        .size:           8
        .value_kind:     global_buffer
      - .offset:         88
        .size:           8
        .value_kind:     by_value
      - .offset:         96
        .size:           8
        .value_kind:     by_value
      - .offset:         104
        .size:           4
        .value_kind:     by_value
    .group_segment_fixed_size: 8192
    .kernarg_segment_align: 8
    .kernarg_segment_size: 108
    .language:       OpenCL C
    .language_version:
      - 2
      - 0
    .max_flat_workgroup_size: 1024
    .name:           _ZL23rocblas_trmm_rTx_kernelILi32ELb1EfPKfS0_fEv13rocblas_fill_17rocblas_diagonal_iiT2_lPT3_llS6_llPT4_lli
    .private_segment_fixed_size: 0
    .sgpr_count:     26
    .sgpr_spill_count: 0
    .symbol:         _ZL23rocblas_trmm_rTx_kernelILi32ELb1EfPKfS0_fEv13rocblas_fill_17rocblas_diagonal_iiT2_lPT3_llS6_llPT4_lli.kd
    .uniform_work_group_size: 1
    .uses_dynamic_stack: false
    .vgpr_count:     19
    .vgpr_spill_count: 0
    .wavefront_size: 32
    .workgroup_processor_mode: 1
  - .args:
      - .offset:         0
        .size:           4
        .value_kind:     by_value
      - .offset:         4
        .size:           4
        .value_kind:     by_value
      - .offset:         8
        .size:           4
        .value_kind:     by_value
      - .offset:         12
        .size:           4
        .value_kind:     by_value
      - .offset:         16
        .size:           4
        .value_kind:     by_value
      - .offset:         24
        .size:           8
        .value_kind:     by_value
      - .address_space:  global
        .offset:         32
        .size:           8
        .value_kind:     global_buffer
      - .offset:         40
        .size:           8
        .value_kind:     by_value
      - .offset:         48
        .size:           8
        .value_kind:     by_value
      - .address_space:  global
        .offset:         56
        .size:           8
        .value_kind:     global_buffer
      - .offset:         64
        .size:           8
        .value_kind:     by_value
      - .offset:         72
        .size:           8
        .value_kind:     by_value
      - .address_space:  global
        .offset:         80
        .size:           8
        .value_kind:     global_buffer
      - .offset:         88
        .size:           8
        .value_kind:     by_value
      - .offset:         96
        .size:           8
        .value_kind:     by_value
      - .offset:         104
        .size:           4
        .value_kind:     by_value
    .group_segment_fixed_size: 8192
    .kernarg_segment_align: 8
    .kernarg_segment_size: 108
    .language:       OpenCL C
    .language_version:
      - 2
      - 0
    .max_flat_workgroup_size: 1024
    .name:           _ZL23rocblas_trmm_rTx_kernelILi32ELb1EffKffEv13rocblas_fill_17rocblas_diagonal_iiT2_lPT3_llS5_llPT4_lli
    .private_segment_fixed_size: 0
    .sgpr_count:     30
    .sgpr_spill_count: 0
    .symbol:         _ZL23rocblas_trmm_rTx_kernelILi32ELb1EffKffEv13rocblas_fill_17rocblas_diagonal_iiT2_lPT3_llS5_llPT4_lli.kd
    .uniform_work_group_size: 1
    .uses_dynamic_stack: false
    .vgpr_count:     19
    .vgpr_spill_count: 0
    .wavefront_size: 32
    .workgroup_processor_mode: 1
  - .args:
      - .offset:         0
        .size:           4
        .value_kind:     by_value
      - .offset:         4
        .size:           4
        .value_kind:     by_value
      - .offset:         8
        .size:           4
        .value_kind:     by_value
      - .address_space:  global
        .offset:         16
        .size:           8
        .value_kind:     global_buffer
      - .offset:         24
        .size:           8
        .value_kind:     by_value
      - .address_space:  global
        .offset:         32
        .size:           8
        .value_kind:     global_buffer
      - .offset:         40
        .size:           8
        .value_kind:     by_value
      - .offset:         48
        .size:           8
        .value_kind:     by_value
      - .offset:         56
        .size:           8
        .value_kind:     by_value
      - .address_space:  global
        .offset:         64
        .size:           8
        .value_kind:     global_buffer
      - .offset:         72
        .size:           8
        .value_kind:     by_value
      - .offset:         80
        .size:           8
        .value_kind:     by_value
      - .offset:         88
        .size:           8
        .value_kind:     by_value
      - .address_space:  global
        .offset:         96
        .size:           8
        .value_kind:     global_buffer
      - .offset:         104
        .size:           8
        .value_kind:     by_value
      - .offset:         112
        .size:           8
        .value_kind:     by_value
      - .offset:         120
        .size:           8
        .value_kind:     by_value
      - .offset:         128
        .size:           4
        .value_kind:     by_value
      - .offset:         136
        .size:           4
        .value_kind:     hidden_block_count_x
      - .offset:         140
        .size:           4
        .value_kind:     hidden_block_count_y
      - .offset:         144
        .size:           4
        .value_kind:     hidden_block_count_z
      - .offset:         148
        .size:           2
        .value_kind:     hidden_group_size_x
      - .offset:         150
        .size:           2
        .value_kind:     hidden_group_size_y
      - .offset:         152
        .size:           2
        .value_kind:     hidden_group_size_z
      - .offset:         154
        .size:           2
        .value_kind:     hidden_remainder_x
      - .offset:         156
        .size:           2
        .value_kind:     hidden_remainder_y
      - .offset:         158
        .size:           2
        .value_kind:     hidden_remainder_z
      - .offset:         176
        .size:           8
        .value_kind:     hidden_global_offset_x
      - .offset:         184
        .size:           8
        .value_kind:     hidden_global_offset_y
      - .offset:         192
        .size:           8
        .value_kind:     hidden_global_offset_z
      - .offset:         200
        .size:           2
        .value_kind:     hidden_grid_dims
    .group_segment_fixed_size: 16384
    .kernarg_segment_align: 8
    .kernarg_segment_size: 392
    .language:       OpenCL C
    .language_version:
      - 2
      - 0
    .max_flat_workgroup_size: 1024
    .name:           _ZL30rocblas_trmm_outofplace_kernelIdLi32ELi2ELb1ELb0ELb0ELb0EPKdS0_dEv17rocblas_diagonal_iiT6_lPT7_lllS5_lllPT8_llli
    .private_segment_fixed_size: 0
    .sgpr_count:     50
    .sgpr_spill_count: 0
    .symbol:         _ZL30rocblas_trmm_outofplace_kernelIdLi32ELi2ELb1ELb0ELb0ELb0EPKdS0_dEv17rocblas_diagonal_iiT6_lPT7_lllS5_lllPT8_llli.kd
    .uniform_work_group_size: 1
    .uses_dynamic_stack: false
    .vgpr_count:     75
    .vgpr_spill_count: 0
    .wavefront_size: 32
    .workgroup_processor_mode: 1
  - .args:
      - .offset:         0
        .size:           4
        .value_kind:     by_value
      - .offset:         4
        .size:           4
        .value_kind:     by_value
      - .offset:         8
        .size:           4
        .value_kind:     by_value
      - .offset:         16
        .size:           8
        .value_kind:     by_value
      - .offset:         24
        .size:           8
        .value_kind:     by_value
      - .address_space:  global
        .offset:         32
        .size:           8
        .value_kind:     global_buffer
      - .offset:         40
        .size:           8
        .value_kind:     by_value
      - .offset:         48
        .size:           8
        .value_kind:     by_value
      - .offset:         56
        .size:           8
        .value_kind:     by_value
      - .address_space:  global
        .offset:         64
        .size:           8
        .value_kind:     global_buffer
      - .offset:         72
        .size:           8
        .value_kind:     by_value
      - .offset:         80
        .size:           8
        .value_kind:     by_value
      - .offset:         88
        .size:           8
        .value_kind:     by_value
      - .address_space:  global
        .offset:         96
        .size:           8
        .value_kind:     global_buffer
      - .offset:         104
        .size:           8
        .value_kind:     by_value
      - .offset:         112
        .size:           8
        .value_kind:     by_value
      - .offset:         120
        .size:           8
        .value_kind:     by_value
      - .offset:         128
        .size:           4
        .value_kind:     by_value
      - .offset:         136
        .size:           4
        .value_kind:     hidden_block_count_x
      - .offset:         140
        .size:           4
        .value_kind:     hidden_block_count_y
      - .offset:         144
        .size:           4
        .value_kind:     hidden_block_count_z
      - .offset:         148
        .size:           2
        .value_kind:     hidden_group_size_x
      - .offset:         150
        .size:           2
        .value_kind:     hidden_group_size_y
      - .offset:         152
        .size:           2
        .value_kind:     hidden_group_size_z
      - .offset:         154
        .size:           2
        .value_kind:     hidden_remainder_x
      - .offset:         156
        .size:           2
        .value_kind:     hidden_remainder_y
      - .offset:         158
        .size:           2
        .value_kind:     hidden_remainder_z
      - .offset:         176
        .size:           8
        .value_kind:     hidden_global_offset_x
      - .offset:         184
        .size:           8
        .value_kind:     hidden_global_offset_y
      - .offset:         192
        .size:           8
        .value_kind:     hidden_global_offset_z
      - .offset:         200
        .size:           2
        .value_kind:     hidden_grid_dims
    .group_segment_fixed_size: 16384
    .kernarg_segment_align: 8
    .kernarg_segment_size: 392
    .language:       OpenCL C
    .language_version:
      - 2
      - 0
    .max_flat_workgroup_size: 1024
    .name:           _ZL30rocblas_trmm_outofplace_kernelIdLi32ELi2ELb1ELb0ELb0ELb0EdKddEv17rocblas_diagonal_iiT6_lPT7_lllS4_lllPT8_llli
    .private_segment_fixed_size: 0
    .sgpr_count:     50
    .sgpr_spill_count: 0
    .symbol:         _ZL30rocblas_trmm_outofplace_kernelIdLi32ELi2ELb1ELb0ELb0ELb0EdKddEv17rocblas_diagonal_iiT6_lPT7_lllS4_lllPT8_llli.kd
    .uniform_work_group_size: 1
    .uses_dynamic_stack: false
    .vgpr_count:     75
    .vgpr_spill_count: 0
    .wavefront_size: 32
    .workgroup_processor_mode: 1
  - .args:
      - .offset:         0
        .size:           4
        .value_kind:     by_value
      - .offset:         4
        .size:           4
        .value_kind:     by_value
      - .offset:         8
        .size:           4
        .value_kind:     by_value
      - .address_space:  global
        .offset:         16
        .size:           8
        .value_kind:     global_buffer
      - .offset:         24
        .size:           8
        .value_kind:     by_value
      - .address_space:  global
        .offset:         32
        .size:           8
        .value_kind:     global_buffer
      - .offset:         40
        .size:           8
        .value_kind:     by_value
      - .offset:         48
        .size:           8
        .value_kind:     by_value
      - .offset:         56
        .size:           8
        .value_kind:     by_value
      - .address_space:  global
        .offset:         64
        .size:           8
        .value_kind:     global_buffer
      - .offset:         72
        .size:           8
        .value_kind:     by_value
      - .offset:         80
        .size:           8
        .value_kind:     by_value
      - .offset:         88
        .size:           8
        .value_kind:     by_value
      - .address_space:  global
        .offset:         96
        .size:           8
        .value_kind:     global_buffer
      - .offset:         104
        .size:           8
        .value_kind:     by_value
      - .offset:         112
        .size:           8
        .value_kind:     by_value
      - .offset:         120
        .size:           8
        .value_kind:     by_value
      - .offset:         128
        .size:           4
        .value_kind:     by_value
      - .offset:         136
        .size:           4
        .value_kind:     hidden_block_count_x
      - .offset:         140
        .size:           4
        .value_kind:     hidden_block_count_y
      - .offset:         144
        .size:           4
        .value_kind:     hidden_block_count_z
      - .offset:         148
        .size:           2
        .value_kind:     hidden_group_size_x
      - .offset:         150
        .size:           2
        .value_kind:     hidden_group_size_y
      - .offset:         152
        .size:           2
        .value_kind:     hidden_group_size_z
      - .offset:         154
        .size:           2
        .value_kind:     hidden_remainder_x
      - .offset:         156
        .size:           2
        .value_kind:     hidden_remainder_y
      - .offset:         158
        .size:           2
        .value_kind:     hidden_remainder_z
      - .offset:         176
        .size:           8
        .value_kind:     hidden_global_offset_x
      - .offset:         184
        .size:           8
        .value_kind:     hidden_global_offset_y
      - .offset:         192
        .size:           8
        .value_kind:     hidden_global_offset_z
      - .offset:         200
        .size:           2
        .value_kind:     hidden_grid_dims
    .group_segment_fixed_size: 16384
    .kernarg_segment_align: 8
    .kernarg_segment_size: 392
    .language:       OpenCL C
    .language_version:
      - 2
      - 0
    .max_flat_workgroup_size: 1024
    .name:           _ZL30rocblas_trmm_outofplace_kernelIdLi32ELi2ELb1ELb1ELb0ELb0EPKdS0_dEv17rocblas_diagonal_iiT6_lPT7_lllS5_lllPT8_llli
    .private_segment_fixed_size: 0
    .sgpr_count:     50
    .sgpr_spill_count: 0
    .symbol:         _ZL30rocblas_trmm_outofplace_kernelIdLi32ELi2ELb1ELb1ELb0ELb0EPKdS0_dEv17rocblas_diagonal_iiT6_lPT7_lllS5_lllPT8_llli.kd
    .uniform_work_group_size: 1
    .uses_dynamic_stack: false
    .vgpr_count:     74
    .vgpr_spill_count: 0
    .wavefront_size: 32
    .workgroup_processor_mode: 1
  - .args:
      - .offset:         0
        .size:           4
        .value_kind:     by_value
      - .offset:         4
        .size:           4
        .value_kind:     by_value
      - .offset:         8
        .size:           4
        .value_kind:     by_value
      - .offset:         16
        .size:           8
        .value_kind:     by_value
      - .offset:         24
        .size:           8
        .value_kind:     by_value
      - .address_space:  global
        .offset:         32
        .size:           8
        .value_kind:     global_buffer
      - .offset:         40
        .size:           8
        .value_kind:     by_value
      - .offset:         48
        .size:           8
        .value_kind:     by_value
      - .offset:         56
        .size:           8
        .value_kind:     by_value
      - .address_space:  global
        .offset:         64
        .size:           8
        .value_kind:     global_buffer
      - .offset:         72
        .size:           8
        .value_kind:     by_value
      - .offset:         80
        .size:           8
        .value_kind:     by_value
      - .offset:         88
        .size:           8
        .value_kind:     by_value
      - .address_space:  global
        .offset:         96
        .size:           8
        .value_kind:     global_buffer
      - .offset:         104
        .size:           8
        .value_kind:     by_value
      - .offset:         112
        .size:           8
        .value_kind:     by_value
      - .offset:         120
        .size:           8
        .value_kind:     by_value
      - .offset:         128
        .size:           4
        .value_kind:     by_value
      - .offset:         136
        .size:           4
        .value_kind:     hidden_block_count_x
      - .offset:         140
        .size:           4
        .value_kind:     hidden_block_count_y
      - .offset:         144
        .size:           4
        .value_kind:     hidden_block_count_z
      - .offset:         148
        .size:           2
        .value_kind:     hidden_group_size_x
      - .offset:         150
        .size:           2
        .value_kind:     hidden_group_size_y
      - .offset:         152
        .size:           2
        .value_kind:     hidden_group_size_z
      - .offset:         154
        .size:           2
        .value_kind:     hidden_remainder_x
      - .offset:         156
        .size:           2
        .value_kind:     hidden_remainder_y
      - .offset:         158
        .size:           2
        .value_kind:     hidden_remainder_z
      - .offset:         176
        .size:           8
        .value_kind:     hidden_global_offset_x
      - .offset:         184
        .size:           8
        .value_kind:     hidden_global_offset_y
      - .offset:         192
        .size:           8
        .value_kind:     hidden_global_offset_z
      - .offset:         200
        .size:           2
        .value_kind:     hidden_grid_dims
    .group_segment_fixed_size: 16384
    .kernarg_segment_align: 8
    .kernarg_segment_size: 392
    .language:       OpenCL C
    .language_version:
      - 2
      - 0
    .max_flat_workgroup_size: 1024
    .name:           _ZL30rocblas_trmm_outofplace_kernelIdLi32ELi2ELb1ELb1ELb0ELb0EdKddEv17rocblas_diagonal_iiT6_lPT7_lllS4_lllPT8_llli
    .private_segment_fixed_size: 0
    .sgpr_count:     50
    .sgpr_spill_count: 0
    .symbol:         _ZL30rocblas_trmm_outofplace_kernelIdLi32ELi2ELb1ELb1ELb0ELb0EdKddEv17rocblas_diagonal_iiT6_lPT7_lllS4_lllPT8_llli.kd
    .uniform_work_group_size: 1
    .uses_dynamic_stack: false
    .vgpr_count:     74
    .vgpr_spill_count: 0
    .wavefront_size: 32
    .workgroup_processor_mode: 1
  - .args:
      - .offset:         0
        .size:           4
        .value_kind:     by_value
      - .offset:         4
        .size:           4
        .value_kind:     by_value
      - .offset:         8
        .size:           4
        .value_kind:     by_value
      - .address_space:  global
        .offset:         16
        .size:           8
        .value_kind:     global_buffer
      - .offset:         24
        .size:           8
        .value_kind:     by_value
      - .address_space:  global
        .offset:         32
        .size:           8
        .value_kind:     global_buffer
      - .offset:         40
        .size:           8
        .value_kind:     by_value
      - .offset:         48
        .size:           8
        .value_kind:     by_value
      - .offset:         56
        .size:           8
        .value_kind:     by_value
      - .address_space:  global
        .offset:         64
        .size:           8
        .value_kind:     global_buffer
      - .offset:         72
        .size:           8
        .value_kind:     by_value
      - .offset:         80
        .size:           8
        .value_kind:     by_value
      - .offset:         88
        .size:           8
        .value_kind:     by_value
      - .address_space:  global
        .offset:         96
        .size:           8
        .value_kind:     global_buffer
      - .offset:         104
        .size:           8
        .value_kind:     by_value
      - .offset:         112
        .size:           8
        .value_kind:     by_value
      - .offset:         120
        .size:           8
        .value_kind:     by_value
      - .offset:         128
        .size:           4
        .value_kind:     by_value
      - .offset:         136
        .size:           4
        .value_kind:     hidden_block_count_x
      - .offset:         140
        .size:           4
        .value_kind:     hidden_block_count_y
      - .offset:         144
        .size:           4
        .value_kind:     hidden_block_count_z
      - .offset:         148
        .size:           2
        .value_kind:     hidden_group_size_x
      - .offset:         150
        .size:           2
        .value_kind:     hidden_group_size_y
      - .offset:         152
        .size:           2
        .value_kind:     hidden_group_size_z
      - .offset:         154
        .size:           2
        .value_kind:     hidden_remainder_x
      - .offset:         156
        .size:           2
        .value_kind:     hidden_remainder_y
      - .offset:         158
        .size:           2
        .value_kind:     hidden_remainder_z
      - .offset:         176
        .size:           8
        .value_kind:     hidden_global_offset_x
      - .offset:         184
        .size:           8
        .value_kind:     hidden_global_offset_y
      - .offset:         192
        .size:           8
        .value_kind:     hidden_global_offset_z
      - .offset:         200
        .size:           2
        .value_kind:     hidden_grid_dims
    .group_segment_fixed_size: 16384
    .kernarg_segment_align: 8
    .kernarg_segment_size: 392
    .language:       OpenCL C
    .language_version:
      - 2
      - 0
    .max_flat_workgroup_size: 1024
    .name:           _ZL30rocblas_trmm_outofplace_kernelIdLi32ELi2ELb1ELb0ELb1ELb0EPKdS0_dEv17rocblas_diagonal_iiT6_lPT7_lllS5_lllPT8_llli
    .private_segment_fixed_size: 0
    .sgpr_count:     48
    .sgpr_spill_count: 0
    .symbol:         _ZL30rocblas_trmm_outofplace_kernelIdLi32ELi2ELb1ELb0ELb1ELb0EPKdS0_dEv17rocblas_diagonal_iiT6_lPT7_lllS5_lllPT8_llli.kd
    .uniform_work_group_size: 1
    .uses_dynamic_stack: false
    .vgpr_count:     77
    .vgpr_spill_count: 0
    .wavefront_size: 32
    .workgroup_processor_mode: 1
  - .args:
      - .offset:         0
        .size:           4
        .value_kind:     by_value
      - .offset:         4
        .size:           4
        .value_kind:     by_value
      - .offset:         8
        .size:           4
        .value_kind:     by_value
      - .offset:         16
        .size:           8
        .value_kind:     by_value
      - .offset:         24
        .size:           8
        .value_kind:     by_value
      - .address_space:  global
        .offset:         32
        .size:           8
        .value_kind:     global_buffer
      - .offset:         40
        .size:           8
        .value_kind:     by_value
      - .offset:         48
        .size:           8
        .value_kind:     by_value
      - .offset:         56
        .size:           8
        .value_kind:     by_value
      - .address_space:  global
        .offset:         64
        .size:           8
        .value_kind:     global_buffer
      - .offset:         72
        .size:           8
        .value_kind:     by_value
      - .offset:         80
        .size:           8
        .value_kind:     by_value
      - .offset:         88
        .size:           8
        .value_kind:     by_value
      - .address_space:  global
        .offset:         96
        .size:           8
        .value_kind:     global_buffer
      - .offset:         104
        .size:           8
        .value_kind:     by_value
      - .offset:         112
        .size:           8
        .value_kind:     by_value
      - .offset:         120
        .size:           8
        .value_kind:     by_value
      - .offset:         128
        .size:           4
        .value_kind:     by_value
      - .offset:         136
        .size:           4
        .value_kind:     hidden_block_count_x
      - .offset:         140
        .size:           4
        .value_kind:     hidden_block_count_y
      - .offset:         144
        .size:           4
        .value_kind:     hidden_block_count_z
      - .offset:         148
        .size:           2
        .value_kind:     hidden_group_size_x
      - .offset:         150
        .size:           2
        .value_kind:     hidden_group_size_y
      - .offset:         152
        .size:           2
        .value_kind:     hidden_group_size_z
      - .offset:         154
        .size:           2
        .value_kind:     hidden_remainder_x
      - .offset:         156
        .size:           2
        .value_kind:     hidden_remainder_y
      - .offset:         158
        .size:           2
        .value_kind:     hidden_remainder_z
      - .offset:         176
        .size:           8
        .value_kind:     hidden_global_offset_x
      - .offset:         184
        .size:           8
        .value_kind:     hidden_global_offset_y
      - .offset:         192
        .size:           8
        .value_kind:     hidden_global_offset_z
      - .offset:         200
        .size:           2
        .value_kind:     hidden_grid_dims
    .group_segment_fixed_size: 16384
    .kernarg_segment_align: 8
    .kernarg_segment_size: 392
    .language:       OpenCL C
    .language_version:
      - 2
      - 0
    .max_flat_workgroup_size: 1024
    .name:           _ZL30rocblas_trmm_outofplace_kernelIdLi32ELi2ELb1ELb0ELb1ELb0EdKddEv17rocblas_diagonal_iiT6_lPT7_lllS4_lllPT8_llli
    .private_segment_fixed_size: 0
    .sgpr_count:     48
    .sgpr_spill_count: 0
    .symbol:         _ZL30rocblas_trmm_outofplace_kernelIdLi32ELi2ELb1ELb0ELb1ELb0EdKddEv17rocblas_diagonal_iiT6_lPT7_lllS4_lllPT8_llli.kd
    .uniform_work_group_size: 1
    .uses_dynamic_stack: false
    .vgpr_count:     77
    .vgpr_spill_count: 0
    .wavefront_size: 32
    .workgroup_processor_mode: 1
  - .args:
      - .offset:         0
        .size:           4
        .value_kind:     by_value
      - .offset:         4
        .size:           4
        .value_kind:     by_value
      - .offset:         8
        .size:           4
        .value_kind:     by_value
      - .address_space:  global
        .offset:         16
        .size:           8
        .value_kind:     global_buffer
      - .offset:         24
        .size:           8
        .value_kind:     by_value
      - .address_space:  global
        .offset:         32
        .size:           8
        .value_kind:     global_buffer
      - .offset:         40
        .size:           8
        .value_kind:     by_value
      - .offset:         48
        .size:           8
        .value_kind:     by_value
      - .offset:         56
        .size:           8
        .value_kind:     by_value
      - .address_space:  global
        .offset:         64
        .size:           8
        .value_kind:     global_buffer
      - .offset:         72
        .size:           8
        .value_kind:     by_value
      - .offset:         80
        .size:           8
        .value_kind:     by_value
      - .offset:         88
        .size:           8
        .value_kind:     by_value
      - .address_space:  global
        .offset:         96
        .size:           8
        .value_kind:     global_buffer
      - .offset:         104
        .size:           8
        .value_kind:     by_value
      - .offset:         112
        .size:           8
        .value_kind:     by_value
      - .offset:         120
        .size:           8
        .value_kind:     by_value
      - .offset:         128
        .size:           4
        .value_kind:     by_value
      - .offset:         136
        .size:           4
        .value_kind:     hidden_block_count_x
      - .offset:         140
        .size:           4
        .value_kind:     hidden_block_count_y
      - .offset:         144
        .size:           4
        .value_kind:     hidden_block_count_z
      - .offset:         148
        .size:           2
        .value_kind:     hidden_group_size_x
      - .offset:         150
        .size:           2
        .value_kind:     hidden_group_size_y
      - .offset:         152
        .size:           2
        .value_kind:     hidden_group_size_z
      - .offset:         154
        .size:           2
        .value_kind:     hidden_remainder_x
      - .offset:         156
        .size:           2
        .value_kind:     hidden_remainder_y
      - .offset:         158
        .size:           2
        .value_kind:     hidden_remainder_z
      - .offset:         176
        .size:           8
        .value_kind:     hidden_global_offset_x
      - .offset:         184
        .size:           8
        .value_kind:     hidden_global_offset_y
      - .offset:         192
        .size:           8
        .value_kind:     hidden_global_offset_z
      - .offset:         200
        .size:           2
        .value_kind:     hidden_grid_dims
    .group_segment_fixed_size: 16384
    .kernarg_segment_align: 8
    .kernarg_segment_size: 392
    .language:       OpenCL C
    .language_version:
      - 2
      - 0
    .max_flat_workgroup_size: 1024
    .name:           _ZL30rocblas_trmm_outofplace_kernelIdLi32ELi2ELb1ELb1ELb1ELb0EPKdS0_dEv17rocblas_diagonal_iiT6_lPT7_lllS5_lllPT8_llli
    .private_segment_fixed_size: 0
    .sgpr_count:     48
    .sgpr_spill_count: 0
    .symbol:         _ZL30rocblas_trmm_outofplace_kernelIdLi32ELi2ELb1ELb1ELb1ELb0EPKdS0_dEv17rocblas_diagonal_iiT6_lPT7_lllS5_lllPT8_llli.kd
    .uniform_work_group_size: 1
    .uses_dynamic_stack: false
    .vgpr_count:     76
    .vgpr_spill_count: 0
    .wavefront_size: 32
    .workgroup_processor_mode: 1
  - .args:
      - .offset:         0
        .size:           4
        .value_kind:     by_value
      - .offset:         4
        .size:           4
        .value_kind:     by_value
      - .offset:         8
        .size:           4
        .value_kind:     by_value
      - .offset:         16
        .size:           8
        .value_kind:     by_value
      - .offset:         24
        .size:           8
        .value_kind:     by_value
      - .address_space:  global
        .offset:         32
        .size:           8
        .value_kind:     global_buffer
      - .offset:         40
        .size:           8
        .value_kind:     by_value
      - .offset:         48
        .size:           8
        .value_kind:     by_value
      - .offset:         56
        .size:           8
        .value_kind:     by_value
      - .address_space:  global
        .offset:         64
        .size:           8
        .value_kind:     global_buffer
      - .offset:         72
        .size:           8
        .value_kind:     by_value
      - .offset:         80
        .size:           8
        .value_kind:     by_value
      - .offset:         88
        .size:           8
        .value_kind:     by_value
      - .address_space:  global
        .offset:         96
        .size:           8
        .value_kind:     global_buffer
      - .offset:         104
        .size:           8
        .value_kind:     by_value
      - .offset:         112
        .size:           8
        .value_kind:     by_value
      - .offset:         120
        .size:           8
        .value_kind:     by_value
      - .offset:         128
        .size:           4
        .value_kind:     by_value
      - .offset:         136
        .size:           4
        .value_kind:     hidden_block_count_x
      - .offset:         140
        .size:           4
        .value_kind:     hidden_block_count_y
      - .offset:         144
        .size:           4
        .value_kind:     hidden_block_count_z
      - .offset:         148
        .size:           2
        .value_kind:     hidden_group_size_x
      - .offset:         150
        .size:           2
        .value_kind:     hidden_group_size_y
      - .offset:         152
        .size:           2
        .value_kind:     hidden_group_size_z
      - .offset:         154
        .size:           2
        .value_kind:     hidden_remainder_x
      - .offset:         156
        .size:           2
        .value_kind:     hidden_remainder_y
      - .offset:         158
        .size:           2
        .value_kind:     hidden_remainder_z
      - .offset:         176
        .size:           8
        .value_kind:     hidden_global_offset_x
      - .offset:         184
        .size:           8
        .value_kind:     hidden_global_offset_y
      - .offset:         192
        .size:           8
        .value_kind:     hidden_global_offset_z
      - .offset:         200
        .size:           2
        .value_kind:     hidden_grid_dims
    .group_segment_fixed_size: 16384
    .kernarg_segment_align: 8
    .kernarg_segment_size: 392
    .language:       OpenCL C
    .language_version:
      - 2
      - 0
    .max_flat_workgroup_size: 1024
    .name:           _ZL30rocblas_trmm_outofplace_kernelIdLi32ELi2ELb1ELb1ELb1ELb0EdKddEv17rocblas_diagonal_iiT6_lPT7_lllS4_lllPT8_llli
    .private_segment_fixed_size: 0
    .sgpr_count:     48
    .sgpr_spill_count: 0
    .symbol:         _ZL30rocblas_trmm_outofplace_kernelIdLi32ELi2ELb1ELb1ELb1ELb0EdKddEv17rocblas_diagonal_iiT6_lPT7_lllS4_lllPT8_llli.kd
    .uniform_work_group_size: 1
    .uses_dynamic_stack: false
    .vgpr_count:     76
    .vgpr_spill_count: 0
    .wavefront_size: 32
    .workgroup_processor_mode: 1
  - .args:
      - .offset:         0
        .size:           4
        .value_kind:     by_value
      - .offset:         4
        .size:           4
        .value_kind:     by_value
      - .offset:         8
        .size:           4
        .value_kind:     by_value
      - .address_space:  global
        .offset:         16
        .size:           8
        .value_kind:     global_buffer
      - .offset:         24
        .size:           8
        .value_kind:     by_value
      - .address_space:  global
        .offset:         32
        .size:           8
        .value_kind:     global_buffer
      - .offset:         40
        .size:           8
        .value_kind:     by_value
      - .offset:         48
        .size:           8
        .value_kind:     by_value
      - .offset:         56
        .size:           8
        .value_kind:     by_value
      - .address_space:  global
        .offset:         64
        .size:           8
        .value_kind:     global_buffer
      - .offset:         72
        .size:           8
        .value_kind:     by_value
      - .offset:         80
        .size:           8
        .value_kind:     by_value
      - .offset:         88
        .size:           8
        .value_kind:     by_value
      - .address_space:  global
        .offset:         96
        .size:           8
        .value_kind:     global_buffer
      - .offset:         104
        .size:           8
        .value_kind:     by_value
      - .offset:         112
        .size:           8
        .value_kind:     by_value
      - .offset:         120
        .size:           8
        .value_kind:     by_value
      - .offset:         128
        .size:           4
        .value_kind:     by_value
      - .offset:         136
        .size:           4
        .value_kind:     hidden_block_count_x
      - .offset:         140
        .size:           4
        .value_kind:     hidden_block_count_y
      - .offset:         144
        .size:           4
        .value_kind:     hidden_block_count_z
      - .offset:         148
        .size:           2
        .value_kind:     hidden_group_size_x
      - .offset:         150
        .size:           2
        .value_kind:     hidden_group_size_y
      - .offset:         152
        .size:           2
        .value_kind:     hidden_group_size_z
      - .offset:         154
        .size:           2
        .value_kind:     hidden_remainder_x
      - .offset:         156
        .size:           2
        .value_kind:     hidden_remainder_y
      - .offset:         158
        .size:           2
        .value_kind:     hidden_remainder_z
      - .offset:         176
        .size:           8
        .value_kind:     hidden_global_offset_x
      - .offset:         184
        .size:           8
        .value_kind:     hidden_global_offset_y
      - .offset:         192
        .size:           8
        .value_kind:     hidden_global_offset_z
      - .offset:         200
        .size:           2
        .value_kind:     hidden_grid_dims
    .group_segment_fixed_size: 16384
    .kernarg_segment_align: 8
    .kernarg_segment_size: 392
    .language:       OpenCL C
    .language_version:
      - 2
      - 0
    .max_flat_workgroup_size: 1024
    .name:           _ZL30rocblas_trmm_outofplace_kernelIdLi32ELi2ELb1ELb0ELb1ELb1EPKdS0_dEv17rocblas_diagonal_iiT6_lPT7_lllS5_lllPT8_llli
    .private_segment_fixed_size: 0
    .sgpr_count:     48
    .sgpr_spill_count: 0
    .symbol:         _ZL30rocblas_trmm_outofplace_kernelIdLi32ELi2ELb1ELb0ELb1ELb1EPKdS0_dEv17rocblas_diagonal_iiT6_lPT7_lllS5_lllPT8_llli.kd
    .uniform_work_group_size: 1
    .uses_dynamic_stack: false
    .vgpr_count:     77
    .vgpr_spill_count: 0
    .wavefront_size: 32
    .workgroup_processor_mode: 1
  - .args:
      - .offset:         0
        .size:           4
        .value_kind:     by_value
      - .offset:         4
        .size:           4
        .value_kind:     by_value
      - .offset:         8
        .size:           4
        .value_kind:     by_value
      - .offset:         16
        .size:           8
        .value_kind:     by_value
      - .offset:         24
        .size:           8
        .value_kind:     by_value
      - .address_space:  global
        .offset:         32
        .size:           8
        .value_kind:     global_buffer
      - .offset:         40
        .size:           8
        .value_kind:     by_value
      - .offset:         48
        .size:           8
        .value_kind:     by_value
      - .offset:         56
        .size:           8
        .value_kind:     by_value
      - .address_space:  global
        .offset:         64
        .size:           8
        .value_kind:     global_buffer
      - .offset:         72
        .size:           8
        .value_kind:     by_value
      - .offset:         80
        .size:           8
        .value_kind:     by_value
      - .offset:         88
        .size:           8
        .value_kind:     by_value
      - .address_space:  global
        .offset:         96
        .size:           8
        .value_kind:     global_buffer
      - .offset:         104
        .size:           8
        .value_kind:     by_value
      - .offset:         112
        .size:           8
        .value_kind:     by_value
      - .offset:         120
        .size:           8
        .value_kind:     by_value
      - .offset:         128
        .size:           4
        .value_kind:     by_value
      - .offset:         136
        .size:           4
        .value_kind:     hidden_block_count_x
      - .offset:         140
        .size:           4
        .value_kind:     hidden_block_count_y
      - .offset:         144
        .size:           4
        .value_kind:     hidden_block_count_z
      - .offset:         148
        .size:           2
        .value_kind:     hidden_group_size_x
      - .offset:         150
        .size:           2
        .value_kind:     hidden_group_size_y
      - .offset:         152
        .size:           2
        .value_kind:     hidden_group_size_z
      - .offset:         154
        .size:           2
        .value_kind:     hidden_remainder_x
      - .offset:         156
        .size:           2
        .value_kind:     hidden_remainder_y
      - .offset:         158
        .size:           2
        .value_kind:     hidden_remainder_z
      - .offset:         176
        .size:           8
        .value_kind:     hidden_global_offset_x
      - .offset:         184
        .size:           8
        .value_kind:     hidden_global_offset_y
      - .offset:         192
        .size:           8
        .value_kind:     hidden_global_offset_z
      - .offset:         200
        .size:           2
        .value_kind:     hidden_grid_dims
    .group_segment_fixed_size: 16384
    .kernarg_segment_align: 8
    .kernarg_segment_size: 392
    .language:       OpenCL C
    .language_version:
      - 2
      - 0
    .max_flat_workgroup_size: 1024
    .name:           _ZL30rocblas_trmm_outofplace_kernelIdLi32ELi2ELb1ELb0ELb1ELb1EdKddEv17rocblas_diagonal_iiT6_lPT7_lllS4_lllPT8_llli
    .private_segment_fixed_size: 0
    .sgpr_count:     48
    .sgpr_spill_count: 0
    .symbol:         _ZL30rocblas_trmm_outofplace_kernelIdLi32ELi2ELb1ELb0ELb1ELb1EdKddEv17rocblas_diagonal_iiT6_lPT7_lllS4_lllPT8_llli.kd
    .uniform_work_group_size: 1
    .uses_dynamic_stack: false
    .vgpr_count:     77
    .vgpr_spill_count: 0
    .wavefront_size: 32
    .workgroup_processor_mode: 1
  - .args:
      - .offset:         0
        .size:           4
        .value_kind:     by_value
      - .offset:         4
        .size:           4
        .value_kind:     by_value
      - .offset:         8
        .size:           4
        .value_kind:     by_value
      - .address_space:  global
        .offset:         16
        .size:           8
        .value_kind:     global_buffer
      - .offset:         24
        .size:           8
        .value_kind:     by_value
      - .address_space:  global
        .offset:         32
        .size:           8
        .value_kind:     global_buffer
      - .offset:         40
        .size:           8
        .value_kind:     by_value
      - .offset:         48
        .size:           8
        .value_kind:     by_value
      - .offset:         56
        .size:           8
        .value_kind:     by_value
      - .address_space:  global
        .offset:         64
        .size:           8
        .value_kind:     global_buffer
      - .offset:         72
        .size:           8
        .value_kind:     by_value
      - .offset:         80
        .size:           8
        .value_kind:     by_value
      - .offset:         88
        .size:           8
        .value_kind:     by_value
      - .address_space:  global
        .offset:         96
        .size:           8
        .value_kind:     global_buffer
      - .offset:         104
        .size:           8
        .value_kind:     by_value
      - .offset:         112
        .size:           8
        .value_kind:     by_value
      - .offset:         120
        .size:           8
        .value_kind:     by_value
      - .offset:         128
        .size:           4
        .value_kind:     by_value
      - .offset:         136
        .size:           4
        .value_kind:     hidden_block_count_x
      - .offset:         140
        .size:           4
        .value_kind:     hidden_block_count_y
      - .offset:         144
        .size:           4
        .value_kind:     hidden_block_count_z
      - .offset:         148
        .size:           2
        .value_kind:     hidden_group_size_x
      - .offset:         150
        .size:           2
        .value_kind:     hidden_group_size_y
      - .offset:         152
        .size:           2
        .value_kind:     hidden_group_size_z
      - .offset:         154
        .size:           2
        .value_kind:     hidden_remainder_x
      - .offset:         156
        .size:           2
        .value_kind:     hidden_remainder_y
      - .offset:         158
        .size:           2
        .value_kind:     hidden_remainder_z
      - .offset:         176
        .size:           8
        .value_kind:     hidden_global_offset_x
      - .offset:         184
        .size:           8
        .value_kind:     hidden_global_offset_y
      - .offset:         192
        .size:           8
        .value_kind:     hidden_global_offset_z
      - .offset:         200
        .size:           2
        .value_kind:     hidden_grid_dims
    .group_segment_fixed_size: 16384
    .kernarg_segment_align: 8
    .kernarg_segment_size: 392
    .language:       OpenCL C
    .language_version:
      - 2
      - 0
    .max_flat_workgroup_size: 1024
    .name:           _ZL30rocblas_trmm_outofplace_kernelIdLi32ELi2ELb1ELb1ELb1ELb1EPKdS0_dEv17rocblas_diagonal_iiT6_lPT7_lllS5_lllPT8_llli
    .private_segment_fixed_size: 0
    .sgpr_count:     48
    .sgpr_spill_count: 0
    .symbol:         _ZL30rocblas_trmm_outofplace_kernelIdLi32ELi2ELb1ELb1ELb1ELb1EPKdS0_dEv17rocblas_diagonal_iiT6_lPT7_lllS5_lllPT8_llli.kd
    .uniform_work_group_size: 1
    .uses_dynamic_stack: false
    .vgpr_count:     76
    .vgpr_spill_count: 0
    .wavefront_size: 32
    .workgroup_processor_mode: 1
  - .args:
      - .offset:         0
        .size:           4
        .value_kind:     by_value
      - .offset:         4
        .size:           4
        .value_kind:     by_value
      - .offset:         8
        .size:           4
        .value_kind:     by_value
      - .offset:         16
        .size:           8
        .value_kind:     by_value
      - .offset:         24
        .size:           8
        .value_kind:     by_value
      - .address_space:  global
        .offset:         32
        .size:           8
        .value_kind:     global_buffer
      - .offset:         40
        .size:           8
        .value_kind:     by_value
      - .offset:         48
        .size:           8
        .value_kind:     by_value
      - .offset:         56
        .size:           8
        .value_kind:     by_value
      - .address_space:  global
        .offset:         64
        .size:           8
        .value_kind:     global_buffer
      - .offset:         72
        .size:           8
        .value_kind:     by_value
      - .offset:         80
        .size:           8
        .value_kind:     by_value
      - .offset:         88
        .size:           8
        .value_kind:     by_value
      - .address_space:  global
        .offset:         96
        .size:           8
        .value_kind:     global_buffer
      - .offset:         104
        .size:           8
        .value_kind:     by_value
      - .offset:         112
        .size:           8
        .value_kind:     by_value
      - .offset:         120
        .size:           8
        .value_kind:     by_value
      - .offset:         128
        .size:           4
        .value_kind:     by_value
      - .offset:         136
        .size:           4
        .value_kind:     hidden_block_count_x
      - .offset:         140
        .size:           4
        .value_kind:     hidden_block_count_y
      - .offset:         144
        .size:           4
        .value_kind:     hidden_block_count_z
      - .offset:         148
        .size:           2
        .value_kind:     hidden_group_size_x
      - .offset:         150
        .size:           2
        .value_kind:     hidden_group_size_y
      - .offset:         152
        .size:           2
        .value_kind:     hidden_group_size_z
      - .offset:         154
        .size:           2
        .value_kind:     hidden_remainder_x
      - .offset:         156
        .size:           2
        .value_kind:     hidden_remainder_y
      - .offset:         158
        .size:           2
        .value_kind:     hidden_remainder_z
      - .offset:         176
        .size:           8
        .value_kind:     hidden_global_offset_x
      - .offset:         184
        .size:           8
        .value_kind:     hidden_global_offset_y
      - .offset:         192
        .size:           8
        .value_kind:     hidden_global_offset_z
      - .offset:         200
        .size:           2
        .value_kind:     hidden_grid_dims
    .group_segment_fixed_size: 16384
    .kernarg_segment_align: 8
    .kernarg_segment_size: 392
    .language:       OpenCL C
    .language_version:
      - 2
      - 0
    .max_flat_workgroup_size: 1024
    .name:           _ZL30rocblas_trmm_outofplace_kernelIdLi32ELi2ELb1ELb1ELb1ELb1EdKddEv17rocblas_diagonal_iiT6_lPT7_lllS4_lllPT8_llli
    .private_segment_fixed_size: 0
    .sgpr_count:     48
    .sgpr_spill_count: 0
    .symbol:         _ZL30rocblas_trmm_outofplace_kernelIdLi32ELi2ELb1ELb1ELb1ELb1EdKddEv17rocblas_diagonal_iiT6_lPT7_lllS4_lllPT8_llli.kd
    .uniform_work_group_size: 1
    .uses_dynamic_stack: false
    .vgpr_count:     76
    .vgpr_spill_count: 0
    .wavefront_size: 32
    .workgroup_processor_mode: 1
  - .args:
      - .offset:         0
        .size:           4
        .value_kind:     by_value
      - .offset:         4
        .size:           4
        .value_kind:     by_value
      - .offset:         8
        .size:           4
        .value_kind:     by_value
      - .address_space:  global
        .offset:         16
        .size:           8
        .value_kind:     global_buffer
      - .offset:         24
        .size:           8
        .value_kind:     by_value
      - .address_space:  global
        .offset:         32
        .size:           8
        .value_kind:     global_buffer
      - .offset:         40
        .size:           8
        .value_kind:     by_value
      - .offset:         48
        .size:           8
        .value_kind:     by_value
      - .offset:         56
        .size:           8
        .value_kind:     by_value
      - .address_space:  global
        .offset:         64
        .size:           8
        .value_kind:     global_buffer
      - .offset:         72
        .size:           8
        .value_kind:     by_value
      - .offset:         80
        .size:           8
        .value_kind:     by_value
      - .offset:         88
        .size:           8
        .value_kind:     by_value
      - .address_space:  global
        .offset:         96
        .size:           8
        .value_kind:     global_buffer
      - .offset:         104
        .size:           8
        .value_kind:     by_value
      - .offset:         112
        .size:           8
        .value_kind:     by_value
      - .offset:         120
        .size:           8
        .value_kind:     by_value
      - .offset:         128
        .size:           4
        .value_kind:     by_value
      - .offset:         136
        .size:           4
        .value_kind:     hidden_block_count_x
      - .offset:         140
        .size:           4
        .value_kind:     hidden_block_count_y
      - .offset:         144
        .size:           4
        .value_kind:     hidden_block_count_z
      - .offset:         148
        .size:           2
        .value_kind:     hidden_group_size_x
      - .offset:         150
        .size:           2
        .value_kind:     hidden_group_size_y
      - .offset:         152
        .size:           2
        .value_kind:     hidden_group_size_z
      - .offset:         154
        .size:           2
        .value_kind:     hidden_remainder_x
      - .offset:         156
        .size:           2
        .value_kind:     hidden_remainder_y
      - .offset:         158
        .size:           2
        .value_kind:     hidden_remainder_z
      - .offset:         176
        .size:           8
        .value_kind:     hidden_global_offset_x
      - .offset:         184
        .size:           8
        .value_kind:     hidden_global_offset_y
      - .offset:         192
        .size:           8
        .value_kind:     hidden_global_offset_z
      - .offset:         200
        .size:           2
        .value_kind:     hidden_grid_dims
    .group_segment_fixed_size: 16384
    .kernarg_segment_align: 8
    .kernarg_segment_size: 392
    .language:       OpenCL C
    .language_version:
      - 2
      - 0
    .max_flat_workgroup_size: 1024
    .name:           _ZL30rocblas_trmm_outofplace_kernelIdLi32ELi2ELb0ELb0ELb0ELb0EPKdS0_dEv17rocblas_diagonal_iiT6_lPT7_lllS5_lllPT8_llli
    .private_segment_fixed_size: 0
    .sgpr_count:     49
    .sgpr_spill_count: 0
    .symbol:         _ZL30rocblas_trmm_outofplace_kernelIdLi32ELi2ELb0ELb0ELb0ELb0EPKdS0_dEv17rocblas_diagonal_iiT6_lPT7_lllS5_lllPT8_llli.kd
    .uniform_work_group_size: 1
    .uses_dynamic_stack: false
    .vgpr_count:     74
    .vgpr_spill_count: 0
    .wavefront_size: 32
    .workgroup_processor_mode: 1
  - .args:
      - .offset:         0
        .size:           4
        .value_kind:     by_value
      - .offset:         4
        .size:           4
        .value_kind:     by_value
      - .offset:         8
        .size:           4
        .value_kind:     by_value
      - .offset:         16
        .size:           8
        .value_kind:     by_value
      - .offset:         24
        .size:           8
        .value_kind:     by_value
      - .address_space:  global
        .offset:         32
        .size:           8
        .value_kind:     global_buffer
      - .offset:         40
        .size:           8
        .value_kind:     by_value
      - .offset:         48
        .size:           8
        .value_kind:     by_value
      - .offset:         56
        .size:           8
        .value_kind:     by_value
      - .address_space:  global
        .offset:         64
        .size:           8
        .value_kind:     global_buffer
      - .offset:         72
        .size:           8
        .value_kind:     by_value
      - .offset:         80
        .size:           8
        .value_kind:     by_value
      - .offset:         88
        .size:           8
        .value_kind:     by_value
      - .address_space:  global
        .offset:         96
        .size:           8
        .value_kind:     global_buffer
      - .offset:         104
        .size:           8
        .value_kind:     by_value
      - .offset:         112
        .size:           8
        .value_kind:     by_value
      - .offset:         120
        .size:           8
        .value_kind:     by_value
      - .offset:         128
        .size:           4
        .value_kind:     by_value
      - .offset:         136
        .size:           4
        .value_kind:     hidden_block_count_x
      - .offset:         140
        .size:           4
        .value_kind:     hidden_block_count_y
      - .offset:         144
        .size:           4
        .value_kind:     hidden_block_count_z
      - .offset:         148
        .size:           2
        .value_kind:     hidden_group_size_x
      - .offset:         150
        .size:           2
        .value_kind:     hidden_group_size_y
      - .offset:         152
        .size:           2
        .value_kind:     hidden_group_size_z
      - .offset:         154
        .size:           2
        .value_kind:     hidden_remainder_x
      - .offset:         156
        .size:           2
        .value_kind:     hidden_remainder_y
      - .offset:         158
        .size:           2
        .value_kind:     hidden_remainder_z
      - .offset:         176
        .size:           8
        .value_kind:     hidden_global_offset_x
      - .offset:         184
        .size:           8
        .value_kind:     hidden_global_offset_y
      - .offset:         192
        .size:           8
        .value_kind:     hidden_global_offset_z
      - .offset:         200
        .size:           2
        .value_kind:     hidden_grid_dims
    .group_segment_fixed_size: 16384
    .kernarg_segment_align: 8
    .kernarg_segment_size: 392
    .language:       OpenCL C
    .language_version:
      - 2
      - 0
    .max_flat_workgroup_size: 1024
    .name:           _ZL30rocblas_trmm_outofplace_kernelIdLi32ELi2ELb0ELb0ELb0ELb0EdKddEv17rocblas_diagonal_iiT6_lPT7_lllS4_lllPT8_llli
    .private_segment_fixed_size: 0
    .sgpr_count:     49
    .sgpr_spill_count: 0
    .symbol:         _ZL30rocblas_trmm_outofplace_kernelIdLi32ELi2ELb0ELb0ELb0ELb0EdKddEv17rocblas_diagonal_iiT6_lPT7_lllS4_lllPT8_llli.kd
    .uniform_work_group_size: 1
    .uses_dynamic_stack: false
    .vgpr_count:     74
    .vgpr_spill_count: 0
    .wavefront_size: 32
    .workgroup_processor_mode: 1
  - .args:
      - .offset:         0
        .size:           4
        .value_kind:     by_value
      - .offset:         4
        .size:           4
        .value_kind:     by_value
      - .offset:         8
        .size:           4
        .value_kind:     by_value
      - .address_space:  global
        .offset:         16
        .size:           8
        .value_kind:     global_buffer
      - .offset:         24
        .size:           8
        .value_kind:     by_value
      - .address_space:  global
        .offset:         32
        .size:           8
        .value_kind:     global_buffer
      - .offset:         40
        .size:           8
        .value_kind:     by_value
      - .offset:         48
        .size:           8
        .value_kind:     by_value
      - .offset:         56
        .size:           8
        .value_kind:     by_value
      - .address_space:  global
        .offset:         64
        .size:           8
        .value_kind:     global_buffer
      - .offset:         72
        .size:           8
        .value_kind:     by_value
      - .offset:         80
        .size:           8
        .value_kind:     by_value
      - .offset:         88
        .size:           8
        .value_kind:     by_value
      - .address_space:  global
        .offset:         96
        .size:           8
        .value_kind:     global_buffer
      - .offset:         104
        .size:           8
        .value_kind:     by_value
      - .offset:         112
        .size:           8
        .value_kind:     by_value
      - .offset:         120
        .size:           8
        .value_kind:     by_value
      - .offset:         128
        .size:           4
        .value_kind:     by_value
      - .offset:         136
        .size:           4
        .value_kind:     hidden_block_count_x
      - .offset:         140
        .size:           4
        .value_kind:     hidden_block_count_y
      - .offset:         144
        .size:           4
        .value_kind:     hidden_block_count_z
      - .offset:         148
        .size:           2
        .value_kind:     hidden_group_size_x
      - .offset:         150
        .size:           2
        .value_kind:     hidden_group_size_y
      - .offset:         152
        .size:           2
        .value_kind:     hidden_group_size_z
      - .offset:         154
        .size:           2
        .value_kind:     hidden_remainder_x
      - .offset:         156
        .size:           2
        .value_kind:     hidden_remainder_y
      - .offset:         158
        .size:           2
        .value_kind:     hidden_remainder_z
      - .offset:         176
        .size:           8
        .value_kind:     hidden_global_offset_x
      - .offset:         184
        .size:           8
        .value_kind:     hidden_global_offset_y
      - .offset:         192
        .size:           8
        .value_kind:     hidden_global_offset_z
      - .offset:         200
        .size:           2
        .value_kind:     hidden_grid_dims
    .group_segment_fixed_size: 16384
    .kernarg_segment_align: 8
    .kernarg_segment_size: 392
    .language:       OpenCL C
    .language_version:
      - 2
      - 0
    .max_flat_workgroup_size: 1024
    .name:           _ZL30rocblas_trmm_outofplace_kernelIdLi32ELi2ELb0ELb1ELb0ELb0EPKdS0_dEv17rocblas_diagonal_iiT6_lPT7_lllS5_lllPT8_llli
    .private_segment_fixed_size: 0
    .sgpr_count:     46
    .sgpr_spill_count: 0
    .symbol:         _ZL30rocblas_trmm_outofplace_kernelIdLi32ELi2ELb0ELb1ELb0ELb0EPKdS0_dEv17rocblas_diagonal_iiT6_lPT7_lllS5_lllPT8_llli.kd
    .uniform_work_group_size: 1
    .uses_dynamic_stack: false
    .vgpr_count:     74
    .vgpr_spill_count: 0
    .wavefront_size: 32
    .workgroup_processor_mode: 1
  - .args:
      - .offset:         0
        .size:           4
        .value_kind:     by_value
      - .offset:         4
        .size:           4
        .value_kind:     by_value
      - .offset:         8
        .size:           4
        .value_kind:     by_value
      - .offset:         16
        .size:           8
        .value_kind:     by_value
      - .offset:         24
        .size:           8
        .value_kind:     by_value
      - .address_space:  global
        .offset:         32
        .size:           8
        .value_kind:     global_buffer
      - .offset:         40
        .size:           8
        .value_kind:     by_value
      - .offset:         48
        .size:           8
        .value_kind:     by_value
      - .offset:         56
        .size:           8
        .value_kind:     by_value
      - .address_space:  global
        .offset:         64
        .size:           8
        .value_kind:     global_buffer
      - .offset:         72
        .size:           8
        .value_kind:     by_value
      - .offset:         80
        .size:           8
        .value_kind:     by_value
      - .offset:         88
        .size:           8
        .value_kind:     by_value
      - .address_space:  global
        .offset:         96
        .size:           8
        .value_kind:     global_buffer
      - .offset:         104
        .size:           8
        .value_kind:     by_value
      - .offset:         112
        .size:           8
        .value_kind:     by_value
      - .offset:         120
        .size:           8
        .value_kind:     by_value
      - .offset:         128
        .size:           4
        .value_kind:     by_value
      - .offset:         136
        .size:           4
        .value_kind:     hidden_block_count_x
      - .offset:         140
        .size:           4
        .value_kind:     hidden_block_count_y
      - .offset:         144
        .size:           4
        .value_kind:     hidden_block_count_z
      - .offset:         148
        .size:           2
        .value_kind:     hidden_group_size_x
      - .offset:         150
        .size:           2
        .value_kind:     hidden_group_size_y
      - .offset:         152
        .size:           2
        .value_kind:     hidden_group_size_z
      - .offset:         154
        .size:           2
        .value_kind:     hidden_remainder_x
      - .offset:         156
        .size:           2
        .value_kind:     hidden_remainder_y
      - .offset:         158
        .size:           2
        .value_kind:     hidden_remainder_z
      - .offset:         176
        .size:           8
        .value_kind:     hidden_global_offset_x
      - .offset:         184
        .size:           8
        .value_kind:     hidden_global_offset_y
      - .offset:         192
        .size:           8
        .value_kind:     hidden_global_offset_z
      - .offset:         200
        .size:           2
        .value_kind:     hidden_grid_dims
    .group_segment_fixed_size: 16384
    .kernarg_segment_align: 8
    .kernarg_segment_size: 392
    .language:       OpenCL C
    .language_version:
      - 2
      - 0
    .max_flat_workgroup_size: 1024
    .name:           _ZL30rocblas_trmm_outofplace_kernelIdLi32ELi2ELb0ELb1ELb0ELb0EdKddEv17rocblas_diagonal_iiT6_lPT7_lllS4_lllPT8_llli
    .private_segment_fixed_size: 0
    .sgpr_count:     46
    .sgpr_spill_count: 0
    .symbol:         _ZL30rocblas_trmm_outofplace_kernelIdLi32ELi2ELb0ELb1ELb0ELb0EdKddEv17rocblas_diagonal_iiT6_lPT7_lllS4_lllPT8_llli.kd
    .uniform_work_group_size: 1
    .uses_dynamic_stack: false
    .vgpr_count:     74
    .vgpr_spill_count: 0
    .wavefront_size: 32
    .workgroup_processor_mode: 1
  - .args:
      - .offset:         0
        .size:           4
        .value_kind:     by_value
      - .offset:         4
        .size:           4
        .value_kind:     by_value
      - .offset:         8
        .size:           4
        .value_kind:     by_value
      - .address_space:  global
        .offset:         16
        .size:           8
        .value_kind:     global_buffer
      - .offset:         24
        .size:           8
        .value_kind:     by_value
      - .address_space:  global
        .offset:         32
        .size:           8
        .value_kind:     global_buffer
      - .offset:         40
        .size:           8
        .value_kind:     by_value
      - .offset:         48
        .size:           8
        .value_kind:     by_value
      - .offset:         56
        .size:           8
        .value_kind:     by_value
      - .address_space:  global
        .offset:         64
        .size:           8
        .value_kind:     global_buffer
      - .offset:         72
        .size:           8
        .value_kind:     by_value
      - .offset:         80
        .size:           8
        .value_kind:     by_value
      - .offset:         88
        .size:           8
        .value_kind:     by_value
      - .address_space:  global
        .offset:         96
        .size:           8
        .value_kind:     global_buffer
      - .offset:         104
        .size:           8
        .value_kind:     by_value
      - .offset:         112
        .size:           8
        .value_kind:     by_value
      - .offset:         120
        .size:           8
        .value_kind:     by_value
      - .offset:         128
        .size:           4
        .value_kind:     by_value
      - .offset:         136
        .size:           4
        .value_kind:     hidden_block_count_x
      - .offset:         140
        .size:           4
        .value_kind:     hidden_block_count_y
      - .offset:         144
        .size:           4
        .value_kind:     hidden_block_count_z
      - .offset:         148
        .size:           2
        .value_kind:     hidden_group_size_x
      - .offset:         150
        .size:           2
        .value_kind:     hidden_group_size_y
      - .offset:         152
        .size:           2
        .value_kind:     hidden_group_size_z
      - .offset:         154
        .size:           2
        .value_kind:     hidden_remainder_x
      - .offset:         156
        .size:           2
        .value_kind:     hidden_remainder_y
      - .offset:         158
        .size:           2
        .value_kind:     hidden_remainder_z
      - .offset:         176
        .size:           8
        .value_kind:     hidden_global_offset_x
      - .offset:         184
        .size:           8
        .value_kind:     hidden_global_offset_y
      - .offset:         192
        .size:           8
        .value_kind:     hidden_global_offset_z
      - .offset:         200
        .size:           2
        .value_kind:     hidden_grid_dims
    .group_segment_fixed_size: 16384
    .kernarg_segment_align: 8
    .kernarg_segment_size: 392
    .language:       OpenCL C
    .language_version:
      - 2
      - 0
    .max_flat_workgroup_size: 1024
    .name:           _ZL30rocblas_trmm_outofplace_kernelIdLi32ELi2ELb0ELb0ELb1ELb0EPKdS0_dEv17rocblas_diagonal_iiT6_lPT7_lllS5_lllPT8_llli
    .private_segment_fixed_size: 0
    .sgpr_count:     46
    .sgpr_spill_count: 0
    .symbol:         _ZL30rocblas_trmm_outofplace_kernelIdLi32ELi2ELb0ELb0ELb1ELb0EPKdS0_dEv17rocblas_diagonal_iiT6_lPT7_lllS5_lllPT8_llli.kd
    .uniform_work_group_size: 1
    .uses_dynamic_stack: false
    .vgpr_count:     79
    .vgpr_spill_count: 0
    .wavefront_size: 32
    .workgroup_processor_mode: 1
  - .args:
      - .offset:         0
        .size:           4
        .value_kind:     by_value
      - .offset:         4
        .size:           4
        .value_kind:     by_value
      - .offset:         8
        .size:           4
        .value_kind:     by_value
      - .offset:         16
        .size:           8
        .value_kind:     by_value
      - .offset:         24
        .size:           8
        .value_kind:     by_value
      - .address_space:  global
        .offset:         32
        .size:           8
        .value_kind:     global_buffer
      - .offset:         40
        .size:           8
        .value_kind:     by_value
      - .offset:         48
        .size:           8
        .value_kind:     by_value
      - .offset:         56
        .size:           8
        .value_kind:     by_value
      - .address_space:  global
        .offset:         64
        .size:           8
        .value_kind:     global_buffer
      - .offset:         72
        .size:           8
        .value_kind:     by_value
      - .offset:         80
        .size:           8
        .value_kind:     by_value
      - .offset:         88
        .size:           8
        .value_kind:     by_value
      - .address_space:  global
        .offset:         96
        .size:           8
        .value_kind:     global_buffer
      - .offset:         104
        .size:           8
        .value_kind:     by_value
      - .offset:         112
        .size:           8
        .value_kind:     by_value
      - .offset:         120
        .size:           8
        .value_kind:     by_value
      - .offset:         128
        .size:           4
        .value_kind:     by_value
      - .offset:         136
        .size:           4
        .value_kind:     hidden_block_count_x
      - .offset:         140
        .size:           4
        .value_kind:     hidden_block_count_y
      - .offset:         144
        .size:           4
        .value_kind:     hidden_block_count_z
      - .offset:         148
        .size:           2
        .value_kind:     hidden_group_size_x
      - .offset:         150
        .size:           2
        .value_kind:     hidden_group_size_y
      - .offset:         152
        .size:           2
        .value_kind:     hidden_group_size_z
      - .offset:         154
        .size:           2
        .value_kind:     hidden_remainder_x
      - .offset:         156
        .size:           2
        .value_kind:     hidden_remainder_y
      - .offset:         158
        .size:           2
        .value_kind:     hidden_remainder_z
      - .offset:         176
        .size:           8
        .value_kind:     hidden_global_offset_x
      - .offset:         184
        .size:           8
        .value_kind:     hidden_global_offset_y
      - .offset:         192
        .size:           8
        .value_kind:     hidden_global_offset_z
      - .offset:         200
        .size:           2
        .value_kind:     hidden_grid_dims
    .group_segment_fixed_size: 16384
    .kernarg_segment_align: 8
    .kernarg_segment_size: 392
    .language:       OpenCL C
    .language_version:
      - 2
      - 0
    .max_flat_workgroup_size: 1024
    .name:           _ZL30rocblas_trmm_outofplace_kernelIdLi32ELi2ELb0ELb0ELb1ELb0EdKddEv17rocblas_diagonal_iiT6_lPT7_lllS4_lllPT8_llli
    .private_segment_fixed_size: 0
    .sgpr_count:     48
    .sgpr_spill_count: 0
    .symbol:         _ZL30rocblas_trmm_outofplace_kernelIdLi32ELi2ELb0ELb0ELb1ELb0EdKddEv17rocblas_diagonal_iiT6_lPT7_lllS4_lllPT8_llli.kd
    .uniform_work_group_size: 1
    .uses_dynamic_stack: false
    .vgpr_count:     79
    .vgpr_spill_count: 0
    .wavefront_size: 32
    .workgroup_processor_mode: 1
  - .args:
      - .offset:         0
        .size:           4
        .value_kind:     by_value
      - .offset:         4
        .size:           4
        .value_kind:     by_value
      - .offset:         8
        .size:           4
        .value_kind:     by_value
      - .address_space:  global
        .offset:         16
        .size:           8
        .value_kind:     global_buffer
      - .offset:         24
        .size:           8
        .value_kind:     by_value
      - .address_space:  global
        .offset:         32
        .size:           8
        .value_kind:     global_buffer
      - .offset:         40
        .size:           8
        .value_kind:     by_value
      - .offset:         48
        .size:           8
        .value_kind:     by_value
      - .offset:         56
        .size:           8
        .value_kind:     by_value
      - .address_space:  global
        .offset:         64
        .size:           8
        .value_kind:     global_buffer
      - .offset:         72
        .size:           8
        .value_kind:     by_value
      - .offset:         80
        .size:           8
        .value_kind:     by_value
      - .offset:         88
        .size:           8
        .value_kind:     by_value
      - .address_space:  global
        .offset:         96
        .size:           8
        .value_kind:     global_buffer
      - .offset:         104
        .size:           8
        .value_kind:     by_value
      - .offset:         112
        .size:           8
        .value_kind:     by_value
      - .offset:         120
        .size:           8
        .value_kind:     by_value
      - .offset:         128
        .size:           4
        .value_kind:     by_value
      - .offset:         136
        .size:           4
        .value_kind:     hidden_block_count_x
      - .offset:         140
        .size:           4
        .value_kind:     hidden_block_count_y
      - .offset:         144
        .size:           4
        .value_kind:     hidden_block_count_z
      - .offset:         148
        .size:           2
        .value_kind:     hidden_group_size_x
      - .offset:         150
        .size:           2
        .value_kind:     hidden_group_size_y
      - .offset:         152
        .size:           2
        .value_kind:     hidden_group_size_z
      - .offset:         154
        .size:           2
        .value_kind:     hidden_remainder_x
      - .offset:         156
        .size:           2
        .value_kind:     hidden_remainder_y
      - .offset:         158
        .size:           2
        .value_kind:     hidden_remainder_z
      - .offset:         176
        .size:           8
        .value_kind:     hidden_global_offset_x
      - .offset:         184
        .size:           8
        .value_kind:     hidden_global_offset_y
      - .offset:         192
        .size:           8
        .value_kind:     hidden_global_offset_z
      - .offset:         200
        .size:           2
        .value_kind:     hidden_grid_dims
    .group_segment_fixed_size: 16384
    .kernarg_segment_align: 8
    .kernarg_segment_size: 392
    .language:       OpenCL C
    .language_version:
      - 2
      - 0
    .max_flat_workgroup_size: 1024
    .name:           _ZL30rocblas_trmm_outofplace_kernelIdLi32ELi2ELb0ELb1ELb1ELb0EPKdS0_dEv17rocblas_diagonal_iiT6_lPT7_lllS5_lllPT8_llli
    .private_segment_fixed_size: 0
    .sgpr_count:     51
    .sgpr_spill_count: 0
    .symbol:         _ZL30rocblas_trmm_outofplace_kernelIdLi32ELi2ELb0ELb1ELb1ELb0EPKdS0_dEv17rocblas_diagonal_iiT6_lPT7_lllS5_lllPT8_llli.kd
    .uniform_work_group_size: 1
    .uses_dynamic_stack: false
    .vgpr_count:     74
    .vgpr_spill_count: 0
    .wavefront_size: 32
    .workgroup_processor_mode: 1
  - .args:
      - .offset:         0
        .size:           4
        .value_kind:     by_value
      - .offset:         4
        .size:           4
        .value_kind:     by_value
      - .offset:         8
        .size:           4
        .value_kind:     by_value
      - .offset:         16
        .size:           8
        .value_kind:     by_value
      - .offset:         24
        .size:           8
        .value_kind:     by_value
      - .address_space:  global
        .offset:         32
        .size:           8
        .value_kind:     global_buffer
      - .offset:         40
        .size:           8
        .value_kind:     by_value
      - .offset:         48
        .size:           8
        .value_kind:     by_value
      - .offset:         56
        .size:           8
        .value_kind:     by_value
      - .address_space:  global
        .offset:         64
        .size:           8
        .value_kind:     global_buffer
      - .offset:         72
        .size:           8
        .value_kind:     by_value
      - .offset:         80
        .size:           8
        .value_kind:     by_value
      - .offset:         88
        .size:           8
        .value_kind:     by_value
      - .address_space:  global
        .offset:         96
        .size:           8
        .value_kind:     global_buffer
      - .offset:         104
        .size:           8
        .value_kind:     by_value
      - .offset:         112
        .size:           8
        .value_kind:     by_value
      - .offset:         120
        .size:           8
        .value_kind:     by_value
      - .offset:         128
        .size:           4
        .value_kind:     by_value
      - .offset:         136
        .size:           4
        .value_kind:     hidden_block_count_x
      - .offset:         140
        .size:           4
        .value_kind:     hidden_block_count_y
      - .offset:         144
        .size:           4
        .value_kind:     hidden_block_count_z
      - .offset:         148
        .size:           2
        .value_kind:     hidden_group_size_x
      - .offset:         150
        .size:           2
        .value_kind:     hidden_group_size_y
      - .offset:         152
        .size:           2
        .value_kind:     hidden_group_size_z
      - .offset:         154
        .size:           2
        .value_kind:     hidden_remainder_x
      - .offset:         156
        .size:           2
        .value_kind:     hidden_remainder_y
      - .offset:         158
        .size:           2
        .value_kind:     hidden_remainder_z
      - .offset:         176
        .size:           8
        .value_kind:     hidden_global_offset_x
      - .offset:         184
        .size:           8
        .value_kind:     hidden_global_offset_y
      - .offset:         192
        .size:           8
        .value_kind:     hidden_global_offset_z
      - .offset:         200
        .size:           2
        .value_kind:     hidden_grid_dims
    .group_segment_fixed_size: 16384
    .kernarg_segment_align: 8
    .kernarg_segment_size: 392
    .language:       OpenCL C
    .language_version:
      - 2
      - 0
    .max_flat_workgroup_size: 1024
    .name:           _ZL30rocblas_trmm_outofplace_kernelIdLi32ELi2ELb0ELb1ELb1ELb0EdKddEv17rocblas_diagonal_iiT6_lPT7_lllS4_lllPT8_llli
    .private_segment_fixed_size: 0
    .sgpr_count:     51
    .sgpr_spill_count: 0
    .symbol:         _ZL30rocblas_trmm_outofplace_kernelIdLi32ELi2ELb0ELb1ELb1ELb0EdKddEv17rocblas_diagonal_iiT6_lPT7_lllS4_lllPT8_llli.kd
    .uniform_work_group_size: 1
    .uses_dynamic_stack: false
    .vgpr_count:     74
    .vgpr_spill_count: 0
    .wavefront_size: 32
    .workgroup_processor_mode: 1
  - .args:
      - .offset:         0
        .size:           4
        .value_kind:     by_value
      - .offset:         4
        .size:           4
        .value_kind:     by_value
      - .offset:         8
        .size:           4
        .value_kind:     by_value
      - .address_space:  global
        .offset:         16
        .size:           8
        .value_kind:     global_buffer
      - .offset:         24
        .size:           8
        .value_kind:     by_value
      - .address_space:  global
        .offset:         32
        .size:           8
        .value_kind:     global_buffer
      - .offset:         40
        .size:           8
        .value_kind:     by_value
      - .offset:         48
        .size:           8
        .value_kind:     by_value
      - .offset:         56
        .size:           8
        .value_kind:     by_value
      - .address_space:  global
        .offset:         64
        .size:           8
        .value_kind:     global_buffer
      - .offset:         72
        .size:           8
        .value_kind:     by_value
      - .offset:         80
        .size:           8
        .value_kind:     by_value
      - .offset:         88
        .size:           8
        .value_kind:     by_value
      - .address_space:  global
        .offset:         96
        .size:           8
        .value_kind:     global_buffer
      - .offset:         104
        .size:           8
        .value_kind:     by_value
      - .offset:         112
        .size:           8
        .value_kind:     by_value
      - .offset:         120
        .size:           8
        .value_kind:     by_value
      - .offset:         128
        .size:           4
        .value_kind:     by_value
      - .offset:         136
        .size:           4
        .value_kind:     hidden_block_count_x
      - .offset:         140
        .size:           4
        .value_kind:     hidden_block_count_y
      - .offset:         144
        .size:           4
        .value_kind:     hidden_block_count_z
      - .offset:         148
        .size:           2
        .value_kind:     hidden_group_size_x
      - .offset:         150
        .size:           2
        .value_kind:     hidden_group_size_y
      - .offset:         152
        .size:           2
        .value_kind:     hidden_group_size_z
      - .offset:         154
        .size:           2
        .value_kind:     hidden_remainder_x
      - .offset:         156
        .size:           2
        .value_kind:     hidden_remainder_y
      - .offset:         158
        .size:           2
        .value_kind:     hidden_remainder_z
      - .offset:         176
        .size:           8
        .value_kind:     hidden_global_offset_x
      - .offset:         184
        .size:           8
        .value_kind:     hidden_global_offset_y
      - .offset:         192
        .size:           8
        .value_kind:     hidden_global_offset_z
      - .offset:         200
        .size:           2
        .value_kind:     hidden_grid_dims
    .group_segment_fixed_size: 16384
    .kernarg_segment_align: 8
    .kernarg_segment_size: 392
    .language:       OpenCL C
    .language_version:
      - 2
      - 0
    .max_flat_workgroup_size: 1024
    .name:           _ZL30rocblas_trmm_outofplace_kernelIdLi32ELi2ELb0ELb0ELb1ELb1EPKdS0_dEv17rocblas_diagonal_iiT6_lPT7_lllS5_lllPT8_llli
    .private_segment_fixed_size: 0
    .sgpr_count:     46
    .sgpr_spill_count: 0
    .symbol:         _ZL30rocblas_trmm_outofplace_kernelIdLi32ELi2ELb0ELb0ELb1ELb1EPKdS0_dEv17rocblas_diagonal_iiT6_lPT7_lllS5_lllPT8_llli.kd
    .uniform_work_group_size: 1
    .uses_dynamic_stack: false
    .vgpr_count:     79
    .vgpr_spill_count: 0
    .wavefront_size: 32
    .workgroup_processor_mode: 1
  - .args:
      - .offset:         0
        .size:           4
        .value_kind:     by_value
      - .offset:         4
        .size:           4
        .value_kind:     by_value
      - .offset:         8
        .size:           4
        .value_kind:     by_value
      - .offset:         16
        .size:           8
        .value_kind:     by_value
      - .offset:         24
        .size:           8
        .value_kind:     by_value
      - .address_space:  global
        .offset:         32
        .size:           8
        .value_kind:     global_buffer
      - .offset:         40
        .size:           8
        .value_kind:     by_value
      - .offset:         48
        .size:           8
        .value_kind:     by_value
      - .offset:         56
        .size:           8
        .value_kind:     by_value
      - .address_space:  global
        .offset:         64
        .size:           8
        .value_kind:     global_buffer
      - .offset:         72
        .size:           8
        .value_kind:     by_value
      - .offset:         80
        .size:           8
        .value_kind:     by_value
      - .offset:         88
        .size:           8
        .value_kind:     by_value
      - .address_space:  global
        .offset:         96
        .size:           8
        .value_kind:     global_buffer
      - .offset:         104
        .size:           8
        .value_kind:     by_value
      - .offset:         112
        .size:           8
        .value_kind:     by_value
      - .offset:         120
        .size:           8
        .value_kind:     by_value
      - .offset:         128
        .size:           4
        .value_kind:     by_value
      - .offset:         136
        .size:           4
        .value_kind:     hidden_block_count_x
      - .offset:         140
        .size:           4
        .value_kind:     hidden_block_count_y
      - .offset:         144
        .size:           4
        .value_kind:     hidden_block_count_z
      - .offset:         148
        .size:           2
        .value_kind:     hidden_group_size_x
      - .offset:         150
        .size:           2
        .value_kind:     hidden_group_size_y
      - .offset:         152
        .size:           2
        .value_kind:     hidden_group_size_z
      - .offset:         154
        .size:           2
        .value_kind:     hidden_remainder_x
      - .offset:         156
        .size:           2
        .value_kind:     hidden_remainder_y
      - .offset:         158
        .size:           2
        .value_kind:     hidden_remainder_z
      - .offset:         176
        .size:           8
        .value_kind:     hidden_global_offset_x
      - .offset:         184
        .size:           8
        .value_kind:     hidden_global_offset_y
      - .offset:         192
        .size:           8
        .value_kind:     hidden_global_offset_z
      - .offset:         200
        .size:           2
        .value_kind:     hidden_grid_dims
    .group_segment_fixed_size: 16384
    .kernarg_segment_align: 8
    .kernarg_segment_size: 392
    .language:       OpenCL C
    .language_version:
      - 2
      - 0
    .max_flat_workgroup_size: 1024
    .name:           _ZL30rocblas_trmm_outofplace_kernelIdLi32ELi2ELb0ELb0ELb1ELb1EdKddEv17rocblas_diagonal_iiT6_lPT7_lllS4_lllPT8_llli
    .private_segment_fixed_size: 0
    .sgpr_count:     48
    .sgpr_spill_count: 0
    .symbol:         _ZL30rocblas_trmm_outofplace_kernelIdLi32ELi2ELb0ELb0ELb1ELb1EdKddEv17rocblas_diagonal_iiT6_lPT7_lllS4_lllPT8_llli.kd
    .uniform_work_group_size: 1
    .uses_dynamic_stack: false
    .vgpr_count:     79
    .vgpr_spill_count: 0
    .wavefront_size: 32
    .workgroup_processor_mode: 1
  - .args:
      - .offset:         0
        .size:           4
        .value_kind:     by_value
      - .offset:         4
        .size:           4
        .value_kind:     by_value
      - .offset:         8
        .size:           4
        .value_kind:     by_value
      - .address_space:  global
        .offset:         16
        .size:           8
        .value_kind:     global_buffer
      - .offset:         24
        .size:           8
        .value_kind:     by_value
      - .address_space:  global
        .offset:         32
        .size:           8
        .value_kind:     global_buffer
      - .offset:         40
        .size:           8
        .value_kind:     by_value
      - .offset:         48
        .size:           8
        .value_kind:     by_value
      - .offset:         56
        .size:           8
        .value_kind:     by_value
      - .address_space:  global
        .offset:         64
        .size:           8
        .value_kind:     global_buffer
      - .offset:         72
        .size:           8
        .value_kind:     by_value
      - .offset:         80
        .size:           8
        .value_kind:     by_value
      - .offset:         88
        .size:           8
        .value_kind:     by_value
      - .address_space:  global
        .offset:         96
        .size:           8
        .value_kind:     global_buffer
      - .offset:         104
        .size:           8
        .value_kind:     by_value
      - .offset:         112
        .size:           8
        .value_kind:     by_value
      - .offset:         120
        .size:           8
        .value_kind:     by_value
      - .offset:         128
        .size:           4
        .value_kind:     by_value
      - .offset:         136
        .size:           4
        .value_kind:     hidden_block_count_x
      - .offset:         140
        .size:           4
        .value_kind:     hidden_block_count_y
      - .offset:         144
        .size:           4
        .value_kind:     hidden_block_count_z
      - .offset:         148
        .size:           2
        .value_kind:     hidden_group_size_x
      - .offset:         150
        .size:           2
        .value_kind:     hidden_group_size_y
      - .offset:         152
        .size:           2
        .value_kind:     hidden_group_size_z
      - .offset:         154
        .size:           2
        .value_kind:     hidden_remainder_x
      - .offset:         156
        .size:           2
        .value_kind:     hidden_remainder_y
      - .offset:         158
        .size:           2
        .value_kind:     hidden_remainder_z
      - .offset:         176
        .size:           8
        .value_kind:     hidden_global_offset_x
      - .offset:         184
        .size:           8
        .value_kind:     hidden_global_offset_y
      - .offset:         192
        .size:           8
        .value_kind:     hidden_global_offset_z
      - .offset:         200
        .size:           2
        .value_kind:     hidden_grid_dims
    .group_segment_fixed_size: 16384
    .kernarg_segment_align: 8
    .kernarg_segment_size: 392
    .language:       OpenCL C
    .language_version:
      - 2
      - 0
    .max_flat_workgroup_size: 1024
    .name:           _ZL30rocblas_trmm_outofplace_kernelIdLi32ELi2ELb0ELb1ELb1ELb1EPKdS0_dEv17rocblas_diagonal_iiT6_lPT7_lllS5_lllPT8_llli
    .private_segment_fixed_size: 0
    .sgpr_count:     51
    .sgpr_spill_count: 0
    .symbol:         _ZL30rocblas_trmm_outofplace_kernelIdLi32ELi2ELb0ELb1ELb1ELb1EPKdS0_dEv17rocblas_diagonal_iiT6_lPT7_lllS5_lllPT8_llli.kd
    .uniform_work_group_size: 1
    .uses_dynamic_stack: false
    .vgpr_count:     74
    .vgpr_spill_count: 0
    .wavefront_size: 32
    .workgroup_processor_mode: 1
  - .args:
      - .offset:         0
        .size:           4
        .value_kind:     by_value
      - .offset:         4
        .size:           4
        .value_kind:     by_value
      - .offset:         8
        .size:           4
        .value_kind:     by_value
      - .offset:         16
        .size:           8
        .value_kind:     by_value
      - .offset:         24
        .size:           8
        .value_kind:     by_value
      - .address_space:  global
        .offset:         32
        .size:           8
        .value_kind:     global_buffer
      - .offset:         40
        .size:           8
        .value_kind:     by_value
      - .offset:         48
        .size:           8
        .value_kind:     by_value
      - .offset:         56
        .size:           8
        .value_kind:     by_value
      - .address_space:  global
        .offset:         64
        .size:           8
        .value_kind:     global_buffer
      - .offset:         72
        .size:           8
        .value_kind:     by_value
      - .offset:         80
        .size:           8
        .value_kind:     by_value
      - .offset:         88
        .size:           8
        .value_kind:     by_value
      - .address_space:  global
        .offset:         96
        .size:           8
        .value_kind:     global_buffer
      - .offset:         104
        .size:           8
        .value_kind:     by_value
      - .offset:         112
        .size:           8
        .value_kind:     by_value
      - .offset:         120
        .size:           8
        .value_kind:     by_value
      - .offset:         128
        .size:           4
        .value_kind:     by_value
      - .offset:         136
        .size:           4
        .value_kind:     hidden_block_count_x
      - .offset:         140
        .size:           4
        .value_kind:     hidden_block_count_y
      - .offset:         144
        .size:           4
        .value_kind:     hidden_block_count_z
      - .offset:         148
        .size:           2
        .value_kind:     hidden_group_size_x
      - .offset:         150
        .size:           2
        .value_kind:     hidden_group_size_y
      - .offset:         152
        .size:           2
        .value_kind:     hidden_group_size_z
      - .offset:         154
        .size:           2
        .value_kind:     hidden_remainder_x
      - .offset:         156
        .size:           2
        .value_kind:     hidden_remainder_y
      - .offset:         158
        .size:           2
        .value_kind:     hidden_remainder_z
      - .offset:         176
        .size:           8
        .value_kind:     hidden_global_offset_x
      - .offset:         184
        .size:           8
        .value_kind:     hidden_global_offset_y
      - .offset:         192
        .size:           8
        .value_kind:     hidden_global_offset_z
      - .offset:         200
        .size:           2
        .value_kind:     hidden_grid_dims
    .group_segment_fixed_size: 16384
    .kernarg_segment_align: 8
    .kernarg_segment_size: 392
    .language:       OpenCL C
    .language_version:
      - 2
      - 0
    .max_flat_workgroup_size: 1024
    .name:           _ZL30rocblas_trmm_outofplace_kernelIdLi32ELi2ELb0ELb1ELb1ELb1EdKddEv17rocblas_diagonal_iiT6_lPT7_lllS4_lllPT8_llli
    .private_segment_fixed_size: 0
    .sgpr_count:     51
    .sgpr_spill_count: 0
    .symbol:         _ZL30rocblas_trmm_outofplace_kernelIdLi32ELi2ELb0ELb1ELb1ELb1EdKddEv17rocblas_diagonal_iiT6_lPT7_lllS4_lllPT8_llli.kd
    .uniform_work_group_size: 1
    .uses_dynamic_stack: false
    .vgpr_count:     74
    .vgpr_spill_count: 0
    .wavefront_size: 32
    .workgroup_processor_mode: 1
  - .args:
      - .offset:         0
        .size:           4
        .value_kind:     by_value
      - .offset:         4
        .size:           4
        .value_kind:     by_value
      - .offset:         8
        .size:           4
        .value_kind:     by_value
      - .offset:         12
        .size:           4
        .value_kind:     by_value
      - .address_space:  global
        .offset:         16
        .size:           8
        .value_kind:     global_buffer
      - .offset:         24
        .size:           8
        .value_kind:     by_value
      - .address_space:  global
        .offset:         32
        .size:           8
        .value_kind:     global_buffer
      - .offset:         40
        .size:           8
        .value_kind:     by_value
      - .offset:         48
        .size:           8
        .value_kind:     by_value
      - .address_space:  global
        .offset:         56
        .size:           8
        .value_kind:     global_buffer
      - .offset:         64
        .size:           8
        .value_kind:     by_value
      - .offset:         72
        .size:           8
        .value_kind:     by_value
      - .address_space:  global
        .offset:         80
        .size:           8
        .value_kind:     global_buffer
      - .offset:         88
        .size:           8
        .value_kind:     by_value
      - .offset:         96
        .size:           8
        .value_kind:     by_value
      - .offset:         104
        .size:           4
        .value_kind:     by_value
    .group_segment_fixed_size: 16384
    .kernarg_segment_align: 8
    .kernarg_segment_size: 108
    .language:       OpenCL C
    .language_version:
      - 2
      - 0
    .max_flat_workgroup_size: 1024
    .name:           _ZL23rocblas_trmm_lNx_kernelILi32EdPKdS0_dEv13rocblas_fill_17rocblas_diagonal_iiT1_lPT2_llS6_llPT3_lli
    .private_segment_fixed_size: 0
    .sgpr_count:     28
    .sgpr_spill_count: 0
    .symbol:         _ZL23rocblas_trmm_lNx_kernelILi32EdPKdS0_dEv13rocblas_fill_17rocblas_diagonal_iiT1_lPT2_llS6_llPT3_lli.kd
    .uniform_work_group_size: 1
    .uses_dynamic_stack: false
    .vgpr_count:     18
    .vgpr_spill_count: 0
    .wavefront_size: 32
    .workgroup_processor_mode: 1
  - .args:
      - .offset:         0
        .size:           4
        .value_kind:     by_value
      - .offset:         4
        .size:           4
        .value_kind:     by_value
      - .offset:         8
        .size:           4
        .value_kind:     by_value
      - .offset:         12
        .size:           4
        .value_kind:     by_value
      - .offset:         16
        .size:           8
        .value_kind:     by_value
      - .offset:         24
        .size:           8
        .value_kind:     by_value
      - .address_space:  global
        .offset:         32
        .size:           8
        .value_kind:     global_buffer
      - .offset:         40
        .size:           8
        .value_kind:     by_value
      - .offset:         48
        .size:           8
        .value_kind:     by_value
      - .address_space:  global
        .offset:         56
        .size:           8
        .value_kind:     global_buffer
      - .offset:         64
        .size:           8
        .value_kind:     by_value
      - .offset:         72
        .size:           8
        .value_kind:     by_value
      - .address_space:  global
        .offset:         80
        .size:           8
        .value_kind:     global_buffer
      - .offset:         88
        .size:           8
        .value_kind:     by_value
      - .offset:         96
        .size:           8
        .value_kind:     by_value
      - .offset:         104
        .size:           4
        .value_kind:     by_value
    .group_segment_fixed_size: 16384
    .kernarg_segment_align: 8
    .kernarg_segment_size: 108
    .language:       OpenCL C
    .language_version:
      - 2
      - 0
    .max_flat_workgroup_size: 1024
    .name:           _ZL23rocblas_trmm_lNx_kernelILi32EddKddEv13rocblas_fill_17rocblas_diagonal_iiT1_lPT2_llS5_llPT3_lli
    .private_segment_fixed_size: 0
    .sgpr_count:     32
    .sgpr_spill_count: 0
    .symbol:         _ZL23rocblas_trmm_lNx_kernelILi32EddKddEv13rocblas_fill_17rocblas_diagonal_iiT1_lPT2_llS5_llPT3_lli.kd
    .uniform_work_group_size: 1
    .uses_dynamic_stack: false
    .vgpr_count:     18
    .vgpr_spill_count: 0
    .wavefront_size: 32
    .workgroup_processor_mode: 1
  - .args:
      - .offset:         0
        .size:           4
        .value_kind:     by_value
      - .offset:         4
        .size:           4
        .value_kind:     by_value
      - .offset:         8
        .size:           4
        .value_kind:     by_value
      - .offset:         12
        .size:           4
        .value_kind:     by_value
      - .address_space:  global
        .offset:         16
        .size:           8
        .value_kind:     global_buffer
      - .offset:         24
        .size:           8
        .value_kind:     by_value
      - .address_space:  global
        .offset:         32
        .size:           8
        .value_kind:     global_buffer
      - .offset:         40
        .size:           8
        .value_kind:     by_value
      - .offset:         48
        .size:           8
        .value_kind:     by_value
      - .address_space:  global
        .offset:         56
        .size:           8
        .value_kind:     global_buffer
      - .offset:         64
        .size:           8
        .value_kind:     by_value
      - .offset:         72
        .size:           8
        .value_kind:     by_value
      - .address_space:  global
        .offset:         80
        .size:           8
        .value_kind:     global_buffer
      - .offset:         88
        .size:           8
        .value_kind:     by_value
      - .offset:         96
        .size:           8
        .value_kind:     by_value
      - .offset:         104
        .size:           4
        .value_kind:     by_value
    .group_segment_fixed_size: 16384
    .kernarg_segment_align: 8
    .kernarg_segment_size: 108
    .language:       OpenCL C
    .language_version:
      - 2
      - 0
    .max_flat_workgroup_size: 1024
    .name:           _ZL23rocblas_trmm_lTx_kernelILi32ELb0EdPKdS0_dEv13rocblas_fill_17rocblas_diagonal_iiT2_lPT3_llS6_llPT4_lli
    .private_segment_fixed_size: 0
    .sgpr_count:     26
    .sgpr_spill_count: 0
    .symbol:         _ZL23rocblas_trmm_lTx_kernelILi32ELb0EdPKdS0_dEv13rocblas_fill_17rocblas_diagonal_iiT2_lPT3_llS6_llPT4_lli.kd
    .uniform_work_group_size: 1
    .uses_dynamic_stack: false
    .vgpr_count:     18
    .vgpr_spill_count: 0
    .wavefront_size: 32
    .workgroup_processor_mode: 1
  - .args:
      - .offset:         0
        .size:           4
        .value_kind:     by_value
      - .offset:         4
        .size:           4
        .value_kind:     by_value
      - .offset:         8
        .size:           4
        .value_kind:     by_value
      - .offset:         12
        .size:           4
        .value_kind:     by_value
      - .offset:         16
        .size:           8
        .value_kind:     by_value
      - .offset:         24
        .size:           8
        .value_kind:     by_value
      - .address_space:  global
        .offset:         32
        .size:           8
        .value_kind:     global_buffer
      - .offset:         40
        .size:           8
        .value_kind:     by_value
      - .offset:         48
        .size:           8
        .value_kind:     by_value
      - .address_space:  global
        .offset:         56
        .size:           8
        .value_kind:     global_buffer
      - .offset:         64
        .size:           8
        .value_kind:     by_value
      - .offset:         72
        .size:           8
        .value_kind:     by_value
      - .address_space:  global
        .offset:         80
        .size:           8
        .value_kind:     global_buffer
      - .offset:         88
        .size:           8
        .value_kind:     by_value
      - .offset:         96
        .size:           8
        .value_kind:     by_value
      - .offset:         104
        .size:           4
        .value_kind:     by_value
    .group_segment_fixed_size: 16384
    .kernarg_segment_align: 8
    .kernarg_segment_size: 108
    .language:       OpenCL C
    .language_version:
      - 2
      - 0
    .max_flat_workgroup_size: 1024
    .name:           _ZL23rocblas_trmm_lTx_kernelILi32ELb0EddKddEv13rocblas_fill_17rocblas_diagonal_iiT2_lPT3_llS5_llPT4_lli
    .private_segment_fixed_size: 0
    .sgpr_count:     30
    .sgpr_spill_count: 0
    .symbol:         _ZL23rocblas_trmm_lTx_kernelILi32ELb0EddKddEv13rocblas_fill_17rocblas_diagonal_iiT2_lPT3_llS5_llPT4_lli.kd
    .uniform_work_group_size: 1
    .uses_dynamic_stack: false
    .vgpr_count:     18
    .vgpr_spill_count: 0
    .wavefront_size: 32
    .workgroup_processor_mode: 1
  - .args:
      - .offset:         0
        .size:           4
        .value_kind:     by_value
      - .offset:         4
        .size:           4
        .value_kind:     by_value
      - .offset:         8
        .size:           4
        .value_kind:     by_value
      - .offset:         12
        .size:           4
        .value_kind:     by_value
      - .address_space:  global
        .offset:         16
        .size:           8
        .value_kind:     global_buffer
      - .offset:         24
        .size:           8
        .value_kind:     by_value
      - .address_space:  global
        .offset:         32
        .size:           8
        .value_kind:     global_buffer
      - .offset:         40
        .size:           8
        .value_kind:     by_value
      - .offset:         48
        .size:           8
        .value_kind:     by_value
      - .address_space:  global
        .offset:         56
        .size:           8
        .value_kind:     global_buffer
      - .offset:         64
        .size:           8
        .value_kind:     by_value
      - .offset:         72
        .size:           8
        .value_kind:     by_value
      - .address_space:  global
        .offset:         80
        .size:           8
        .value_kind:     global_buffer
      - .offset:         88
        .size:           8
        .value_kind:     by_value
      - .offset:         96
        .size:           8
        .value_kind:     by_value
      - .offset:         104
        .size:           4
        .value_kind:     by_value
    .group_segment_fixed_size: 16384
    .kernarg_segment_align: 8
    .kernarg_segment_size: 108
    .language:       OpenCL C
    .language_version:
      - 2
      - 0
    .max_flat_workgroup_size: 1024
    .name:           _ZL23rocblas_trmm_lTx_kernelILi32ELb1EdPKdS0_dEv13rocblas_fill_17rocblas_diagonal_iiT2_lPT3_llS6_llPT4_lli
    .private_segment_fixed_size: 0
    .sgpr_count:     26
    .sgpr_spill_count: 0
    .symbol:         _ZL23rocblas_trmm_lTx_kernelILi32ELb1EdPKdS0_dEv13rocblas_fill_17rocblas_diagonal_iiT2_lPT3_llS6_llPT4_lli.kd
    .uniform_work_group_size: 1
    .uses_dynamic_stack: false
    .vgpr_count:     18
    .vgpr_spill_count: 0
    .wavefront_size: 32
    .workgroup_processor_mode: 1
  - .args:
      - .offset:         0
        .size:           4
        .value_kind:     by_value
      - .offset:         4
        .size:           4
        .value_kind:     by_value
      - .offset:         8
        .size:           4
        .value_kind:     by_value
      - .offset:         12
        .size:           4
        .value_kind:     by_value
      - .offset:         16
        .size:           8
        .value_kind:     by_value
      - .offset:         24
        .size:           8
        .value_kind:     by_value
      - .address_space:  global
        .offset:         32
        .size:           8
        .value_kind:     global_buffer
      - .offset:         40
        .size:           8
        .value_kind:     by_value
      - .offset:         48
        .size:           8
        .value_kind:     by_value
      - .address_space:  global
        .offset:         56
        .size:           8
        .value_kind:     global_buffer
      - .offset:         64
        .size:           8
        .value_kind:     by_value
      - .offset:         72
        .size:           8
        .value_kind:     by_value
      - .address_space:  global
        .offset:         80
        .size:           8
        .value_kind:     global_buffer
      - .offset:         88
        .size:           8
        .value_kind:     by_value
      - .offset:         96
        .size:           8
        .value_kind:     by_value
      - .offset:         104
        .size:           4
        .value_kind:     by_value
    .group_segment_fixed_size: 16384
    .kernarg_segment_align: 8
    .kernarg_segment_size: 108
    .language:       OpenCL C
    .language_version:
      - 2
      - 0
    .max_flat_workgroup_size: 1024
    .name:           _ZL23rocblas_trmm_lTx_kernelILi32ELb1EddKddEv13rocblas_fill_17rocblas_diagonal_iiT2_lPT3_llS5_llPT4_lli
    .private_segment_fixed_size: 0
    .sgpr_count:     30
    .sgpr_spill_count: 0
    .symbol:         _ZL23rocblas_trmm_lTx_kernelILi32ELb1EddKddEv13rocblas_fill_17rocblas_diagonal_iiT2_lPT3_llS5_llPT4_lli.kd
    .uniform_work_group_size: 1
    .uses_dynamic_stack: false
    .vgpr_count:     18
    .vgpr_spill_count: 0
    .wavefront_size: 32
    .workgroup_processor_mode: 1
  - .args:
      - .offset:         0
        .size:           4
        .value_kind:     by_value
      - .offset:         4
        .size:           4
        .value_kind:     by_value
      - .offset:         8
        .size:           4
        .value_kind:     by_value
      - .offset:         12
        .size:           4
        .value_kind:     by_value
      - .address_space:  global
        .offset:         16
        .size:           8
        .value_kind:     global_buffer
      - .offset:         24
        .size:           8
        .value_kind:     by_value
      - .address_space:  global
        .offset:         32
        .size:           8
        .value_kind:     global_buffer
      - .offset:         40
        .size:           8
        .value_kind:     by_value
      - .offset:         48
        .size:           8
        .value_kind:     by_value
      - .address_space:  global
        .offset:         56
        .size:           8
        .value_kind:     global_buffer
      - .offset:         64
        .size:           8
        .value_kind:     by_value
      - .offset:         72
        .size:           8
        .value_kind:     by_value
      - .address_space:  global
        .offset:         80
        .size:           8
        .value_kind:     global_buffer
      - .offset:         88
        .size:           8
        .value_kind:     by_value
      - .offset:         96
        .size:           8
        .value_kind:     by_value
      - .offset:         104
        .size:           4
        .value_kind:     by_value
    .group_segment_fixed_size: 16384
    .kernarg_segment_align: 8
    .kernarg_segment_size: 108
    .language:       OpenCL C
    .language_version:
      - 2
      - 0
    .max_flat_workgroup_size: 1024
    .name:           _ZL23rocblas_trmm_rNx_kernelILi32EdPKdS0_dEv13rocblas_fill_17rocblas_diagonal_iiT1_lPT2_llS6_llPT3_lli
    .private_segment_fixed_size: 0
    .sgpr_count:     28
    .sgpr_spill_count: 0
    .symbol:         _ZL23rocblas_trmm_rNx_kernelILi32EdPKdS0_dEv13rocblas_fill_17rocblas_diagonal_iiT1_lPT2_llS6_llPT3_lli.kd
    .uniform_work_group_size: 1
    .uses_dynamic_stack: false
    .vgpr_count:     18
    .vgpr_spill_count: 0
    .wavefront_size: 32
    .workgroup_processor_mode: 1
  - .args:
      - .offset:         0
        .size:           4
        .value_kind:     by_value
      - .offset:         4
        .size:           4
        .value_kind:     by_value
      - .offset:         8
        .size:           4
        .value_kind:     by_value
      - .offset:         12
        .size:           4
        .value_kind:     by_value
      - .offset:         16
        .size:           8
        .value_kind:     by_value
      - .offset:         24
        .size:           8
        .value_kind:     by_value
      - .address_space:  global
        .offset:         32
        .size:           8
        .value_kind:     global_buffer
      - .offset:         40
        .size:           8
        .value_kind:     by_value
      - .offset:         48
        .size:           8
        .value_kind:     by_value
      - .address_space:  global
        .offset:         56
        .size:           8
        .value_kind:     global_buffer
      - .offset:         64
        .size:           8
        .value_kind:     by_value
      - .offset:         72
        .size:           8
        .value_kind:     by_value
      - .address_space:  global
        .offset:         80
        .size:           8
        .value_kind:     global_buffer
      - .offset:         88
        .size:           8
        .value_kind:     by_value
      - .offset:         96
        .size:           8
        .value_kind:     by_value
      - .offset:         104
        .size:           4
        .value_kind:     by_value
    .group_segment_fixed_size: 16384
    .kernarg_segment_align: 8
    .kernarg_segment_size: 108
    .language:       OpenCL C
    .language_version:
      - 2
      - 0
    .max_flat_workgroup_size: 1024
    .name:           _ZL23rocblas_trmm_rNx_kernelILi32EddKddEv13rocblas_fill_17rocblas_diagonal_iiT1_lPT2_llS5_llPT3_lli
    .private_segment_fixed_size: 0
    .sgpr_count:     32
    .sgpr_spill_count: 0
    .symbol:         _ZL23rocblas_trmm_rNx_kernelILi32EddKddEv13rocblas_fill_17rocblas_diagonal_iiT1_lPT2_llS5_llPT3_lli.kd
    .uniform_work_group_size: 1
    .uses_dynamic_stack: false
    .vgpr_count:     18
    .vgpr_spill_count: 0
    .wavefront_size: 32
    .workgroup_processor_mode: 1
  - .args:
      - .offset:         0
        .size:           4
        .value_kind:     by_value
      - .offset:         4
        .size:           4
        .value_kind:     by_value
      - .offset:         8
        .size:           4
        .value_kind:     by_value
      - .offset:         12
        .size:           4
        .value_kind:     by_value
      - .address_space:  global
        .offset:         16
        .size:           8
        .value_kind:     global_buffer
      - .offset:         24
        .size:           8
        .value_kind:     by_value
      - .address_space:  global
        .offset:         32
        .size:           8
        .value_kind:     global_buffer
      - .offset:         40
        .size:           8
        .value_kind:     by_value
      - .offset:         48
        .size:           8
        .value_kind:     by_value
      - .address_space:  global
        .offset:         56
        .size:           8
        .value_kind:     global_buffer
      - .offset:         64
        .size:           8
        .value_kind:     by_value
      - .offset:         72
        .size:           8
        .value_kind:     by_value
      - .address_space:  global
        .offset:         80
        .size:           8
        .value_kind:     global_buffer
      - .offset:         88
        .size:           8
        .value_kind:     by_value
      - .offset:         96
        .size:           8
        .value_kind:     by_value
      - .offset:         104
        .size:           4
        .value_kind:     by_value
    .group_segment_fixed_size: 16384
    .kernarg_segment_align: 8
    .kernarg_segment_size: 108
    .language:       OpenCL C
    .language_version:
      - 2
      - 0
    .max_flat_workgroup_size: 1024
    .name:           _ZL23rocblas_trmm_rTx_kernelILi32ELb0EdPKdS0_dEv13rocblas_fill_17rocblas_diagonal_iiT2_lPT3_llS6_llPT4_lli
    .private_segment_fixed_size: 0
    .sgpr_count:     28
    .sgpr_spill_count: 0
    .symbol:         _ZL23rocblas_trmm_rTx_kernelILi32ELb0EdPKdS0_dEv13rocblas_fill_17rocblas_diagonal_iiT2_lPT3_llS6_llPT4_lli.kd
    .uniform_work_group_size: 1
    .uses_dynamic_stack: false
    .vgpr_count:     15
    .vgpr_spill_count: 0
    .wavefront_size: 32
    .workgroup_processor_mode: 1
  - .args:
      - .offset:         0
        .size:           4
        .value_kind:     by_value
      - .offset:         4
        .size:           4
        .value_kind:     by_value
      - .offset:         8
        .size:           4
        .value_kind:     by_value
      - .offset:         12
        .size:           4
        .value_kind:     by_value
      - .offset:         16
        .size:           8
        .value_kind:     by_value
      - .offset:         24
        .size:           8
        .value_kind:     by_value
      - .address_space:  global
        .offset:         32
        .size:           8
        .value_kind:     global_buffer
      - .offset:         40
        .size:           8
        .value_kind:     by_value
      - .offset:         48
        .size:           8
        .value_kind:     by_value
      - .address_space:  global
        .offset:         56
        .size:           8
        .value_kind:     global_buffer
      - .offset:         64
        .size:           8
        .value_kind:     by_value
      - .offset:         72
        .size:           8
        .value_kind:     by_value
      - .address_space:  global
        .offset:         80
        .size:           8
        .value_kind:     global_buffer
      - .offset:         88
        .size:           8
        .value_kind:     by_value
      - .offset:         96
        .size:           8
        .value_kind:     by_value
      - .offset:         104
        .size:           4
        .value_kind:     by_value
    .group_segment_fixed_size: 16384
    .kernarg_segment_align: 8
    .kernarg_segment_size: 108
    .language:       OpenCL C
    .language_version:
      - 2
      - 0
    .max_flat_workgroup_size: 1024
    .name:           _ZL23rocblas_trmm_rTx_kernelILi32ELb0EddKddEv13rocblas_fill_17rocblas_diagonal_iiT2_lPT3_llS5_llPT4_lli
    .private_segment_fixed_size: 0
    .sgpr_count:     32
    .sgpr_spill_count: 0
    .symbol:         _ZL23rocblas_trmm_rTx_kernelILi32ELb0EddKddEv13rocblas_fill_17rocblas_diagonal_iiT2_lPT3_llS5_llPT4_lli.kd
    .uniform_work_group_size: 1
    .uses_dynamic_stack: false
    .vgpr_count:     15
    .vgpr_spill_count: 0
    .wavefront_size: 32
    .workgroup_processor_mode: 1
  - .args:
      - .offset:         0
        .size:           4
        .value_kind:     by_value
      - .offset:         4
        .size:           4
        .value_kind:     by_value
      - .offset:         8
        .size:           4
        .value_kind:     by_value
      - .offset:         12
        .size:           4
        .value_kind:     by_value
      - .address_space:  global
        .offset:         16
        .size:           8
        .value_kind:     global_buffer
      - .offset:         24
        .size:           8
        .value_kind:     by_value
      - .address_space:  global
        .offset:         32
        .size:           8
        .value_kind:     global_buffer
      - .offset:         40
        .size:           8
        .value_kind:     by_value
      - .offset:         48
        .size:           8
        .value_kind:     by_value
      - .address_space:  global
        .offset:         56
        .size:           8
        .value_kind:     global_buffer
      - .offset:         64
        .size:           8
        .value_kind:     by_value
      - .offset:         72
        .size:           8
        .value_kind:     by_value
      - .address_space:  global
        .offset:         80
        .size:           8
        .value_kind:     global_buffer
      - .offset:         88
        .size:           8
        .value_kind:     by_value
      - .offset:         96
        .size:           8
        .value_kind:     by_value
      - .offset:         104
        .size:           4
        .value_kind:     by_value
    .group_segment_fixed_size: 16384
    .kernarg_segment_align: 8
    .kernarg_segment_size: 108
    .language:       OpenCL C
    .language_version:
      - 2
      - 0
    .max_flat_workgroup_size: 1024
    .name:           _ZL23rocblas_trmm_rTx_kernelILi32ELb1EdPKdS0_dEv13rocblas_fill_17rocblas_diagonal_iiT2_lPT3_llS6_llPT4_lli
    .private_segment_fixed_size: 0
    .sgpr_count:     28
    .sgpr_spill_count: 0
    .symbol:         _ZL23rocblas_trmm_rTx_kernelILi32ELb1EdPKdS0_dEv13rocblas_fill_17rocblas_diagonal_iiT2_lPT3_llS6_llPT4_lli.kd
    .uniform_work_group_size: 1
    .uses_dynamic_stack: false
    .vgpr_count:     15
    .vgpr_spill_count: 0
    .wavefront_size: 32
    .workgroup_processor_mode: 1
  - .args:
      - .offset:         0
        .size:           4
        .value_kind:     by_value
      - .offset:         4
        .size:           4
        .value_kind:     by_value
      - .offset:         8
        .size:           4
        .value_kind:     by_value
      - .offset:         12
        .size:           4
        .value_kind:     by_value
      - .offset:         16
        .size:           8
        .value_kind:     by_value
      - .offset:         24
        .size:           8
        .value_kind:     by_value
      - .address_space:  global
        .offset:         32
        .size:           8
        .value_kind:     global_buffer
      - .offset:         40
        .size:           8
        .value_kind:     by_value
      - .offset:         48
        .size:           8
        .value_kind:     by_value
      - .address_space:  global
        .offset:         56
        .size:           8
        .value_kind:     global_buffer
      - .offset:         64
        .size:           8
        .value_kind:     by_value
      - .offset:         72
        .size:           8
        .value_kind:     by_value
      - .address_space:  global
        .offset:         80
        .size:           8
        .value_kind:     global_buffer
      - .offset:         88
        .size:           8
        .value_kind:     by_value
      - .offset:         96
        .size:           8
        .value_kind:     by_value
      - .offset:         104
        .size:           4
        .value_kind:     by_value
    .group_segment_fixed_size: 16384
    .kernarg_segment_align: 8
    .kernarg_segment_size: 108
    .language:       OpenCL C
    .language_version:
      - 2
      - 0
    .max_flat_workgroup_size: 1024
    .name:           _ZL23rocblas_trmm_rTx_kernelILi32ELb1EddKddEv13rocblas_fill_17rocblas_diagonal_iiT2_lPT3_llS5_llPT4_lli
    .private_segment_fixed_size: 0
    .sgpr_count:     32
    .sgpr_spill_count: 0
    .symbol:         _ZL23rocblas_trmm_rTx_kernelILi32ELb1EddKddEv13rocblas_fill_17rocblas_diagonal_iiT2_lPT3_llS5_llPT4_lli.kd
    .uniform_work_group_size: 1
    .uses_dynamic_stack: false
    .vgpr_count:     15
    .vgpr_spill_count: 0
    .wavefront_size: 32
    .workgroup_processor_mode: 1
  - .args:
      - .offset:         0
        .size:           4
        .value_kind:     by_value
      - .offset:         4
        .size:           4
        .value_kind:     by_value
      - .offset:         8
        .size:           4
        .value_kind:     by_value
      - .address_space:  global
        .offset:         16
        .size:           8
        .value_kind:     global_buffer
      - .offset:         24
        .size:           8
        .value_kind:     by_value
      - .address_space:  global
        .offset:         32
        .size:           8
        .value_kind:     global_buffer
      - .offset:         40
        .size:           8
        .value_kind:     by_value
      - .offset:         48
        .size:           8
        .value_kind:     by_value
      - .offset:         56
        .size:           8
        .value_kind:     by_value
      - .address_space:  global
        .offset:         64
        .size:           8
        .value_kind:     global_buffer
      - .offset:         72
        .size:           8
        .value_kind:     by_value
      - .offset:         80
        .size:           8
        .value_kind:     by_value
      - .offset:         88
        .size:           8
        .value_kind:     by_value
      - .address_space:  global
        .offset:         96
        .size:           8
        .value_kind:     global_buffer
      - .offset:         104
        .size:           8
        .value_kind:     by_value
      - .offset:         112
        .size:           8
        .value_kind:     by_value
      - .offset:         120
        .size:           8
        .value_kind:     by_value
      - .offset:         128
        .size:           4
        .value_kind:     by_value
      - .offset:         136
        .size:           4
        .value_kind:     hidden_block_count_x
      - .offset:         140
        .size:           4
        .value_kind:     hidden_block_count_y
      - .offset:         144
        .size:           4
        .value_kind:     hidden_block_count_z
      - .offset:         148
        .size:           2
        .value_kind:     hidden_group_size_x
      - .offset:         150
        .size:           2
        .value_kind:     hidden_group_size_y
      - .offset:         152
        .size:           2
        .value_kind:     hidden_group_size_z
      - .offset:         154
        .size:           2
        .value_kind:     hidden_remainder_x
      - .offset:         156
        .size:           2
        .value_kind:     hidden_remainder_y
      - .offset:         158
        .size:           2
        .value_kind:     hidden_remainder_z
      - .offset:         176
        .size:           8
        .value_kind:     hidden_global_offset_x
      - .offset:         184
        .size:           8
        .value_kind:     hidden_global_offset_y
      - .offset:         192
        .size:           8
        .value_kind:     hidden_global_offset_z
      - .offset:         200
        .size:           2
        .value_kind:     hidden_grid_dims
    .group_segment_fixed_size: 16384
    .kernarg_segment_align: 8
    .kernarg_segment_size: 392
    .language:       OpenCL C
    .language_version:
      - 2
      - 0
    .max_flat_workgroup_size: 1024
    .name:           _ZL30rocblas_trmm_outofplace_kernelI19rocblas_complex_numIfELi32ELi2ELb1ELb0ELb0ELb0EPKS1_S2_S1_Ev17rocblas_diagonal_iiT6_lPT7_lllS7_lllPT8_llli
    .private_segment_fixed_size: 0
    .sgpr_count:     50
    .sgpr_spill_count: 0
    .symbol:         _ZL30rocblas_trmm_outofplace_kernelI19rocblas_complex_numIfELi32ELi2ELb1ELb0ELb0ELb0EPKS1_S2_S1_Ev17rocblas_diagonal_iiT6_lPT7_lllS7_lllPT8_llli.kd
    .uniform_work_group_size: 1
    .uses_dynamic_stack: false
    .vgpr_count:     88
    .vgpr_spill_count: 0
    .wavefront_size: 32
    .workgroup_processor_mode: 1
  - .args:
      - .offset:         0
        .size:           4
        .value_kind:     by_value
      - .offset:         4
        .size:           4
        .value_kind:     by_value
      - .offset:         8
        .size:           4
        .value_kind:     by_value
      - .offset:         12
        .size:           8
        .value_kind:     by_value
      - .offset:         24
        .size:           8
        .value_kind:     by_value
      - .address_space:  global
        .offset:         32
        .size:           8
        .value_kind:     global_buffer
      - .offset:         40
        .size:           8
        .value_kind:     by_value
      - .offset:         48
        .size:           8
        .value_kind:     by_value
      - .offset:         56
        .size:           8
        .value_kind:     by_value
      - .address_space:  global
        .offset:         64
        .size:           8
        .value_kind:     global_buffer
      - .offset:         72
        .size:           8
        .value_kind:     by_value
      - .offset:         80
        .size:           8
        .value_kind:     by_value
      - .offset:         88
        .size:           8
        .value_kind:     by_value
      - .address_space:  global
        .offset:         96
        .size:           8
        .value_kind:     global_buffer
      - .offset:         104
        .size:           8
        .value_kind:     by_value
      - .offset:         112
        .size:           8
        .value_kind:     by_value
      - .offset:         120
        .size:           8
        .value_kind:     by_value
      - .offset:         128
        .size:           4
        .value_kind:     by_value
      - .offset:         136
        .size:           4
        .value_kind:     hidden_block_count_x
      - .offset:         140
        .size:           4
        .value_kind:     hidden_block_count_y
      - .offset:         144
        .size:           4
        .value_kind:     hidden_block_count_z
      - .offset:         148
        .size:           2
        .value_kind:     hidden_group_size_x
      - .offset:         150
        .size:           2
        .value_kind:     hidden_group_size_y
      - .offset:         152
        .size:           2
        .value_kind:     hidden_group_size_z
      - .offset:         154
        .size:           2
        .value_kind:     hidden_remainder_x
      - .offset:         156
        .size:           2
        .value_kind:     hidden_remainder_y
      - .offset:         158
        .size:           2
        .value_kind:     hidden_remainder_z
      - .offset:         176
        .size:           8
        .value_kind:     hidden_global_offset_x
      - .offset:         184
        .size:           8
        .value_kind:     hidden_global_offset_y
      - .offset:         192
        .size:           8
        .value_kind:     hidden_global_offset_z
      - .offset:         200
        .size:           2
        .value_kind:     hidden_grid_dims
    .group_segment_fixed_size: 16384
    .kernarg_segment_align: 8
    .kernarg_segment_size: 392
    .language:       OpenCL C
    .language_version:
      - 2
      - 0
    .max_flat_workgroup_size: 1024
    .name:           _ZL30rocblas_trmm_outofplace_kernelI19rocblas_complex_numIfELi32ELi2ELb1ELb0ELb0ELb0ES1_KS1_S1_Ev17rocblas_diagonal_iiT6_lPT7_lllS6_lllPT8_llli
    .private_segment_fixed_size: 0
    .sgpr_count:     50
    .sgpr_spill_count: 0
    .symbol:         _ZL30rocblas_trmm_outofplace_kernelI19rocblas_complex_numIfELi32ELi2ELb1ELb0ELb0ELb0ES1_KS1_S1_Ev17rocblas_diagonal_iiT6_lPT7_lllS6_lllPT8_llli.kd
    .uniform_work_group_size: 1
    .uses_dynamic_stack: false
    .vgpr_count:     88
    .vgpr_spill_count: 0
    .wavefront_size: 32
    .workgroup_processor_mode: 1
  - .args:
      - .offset:         0
        .size:           4
        .value_kind:     by_value
      - .offset:         4
        .size:           4
        .value_kind:     by_value
      - .offset:         8
        .size:           4
        .value_kind:     by_value
      - .address_space:  global
        .offset:         16
        .size:           8
        .value_kind:     global_buffer
      - .offset:         24
        .size:           8
        .value_kind:     by_value
      - .address_space:  global
        .offset:         32
        .size:           8
        .value_kind:     global_buffer
      - .offset:         40
        .size:           8
        .value_kind:     by_value
      - .offset:         48
        .size:           8
        .value_kind:     by_value
      - .offset:         56
        .size:           8
        .value_kind:     by_value
      - .address_space:  global
        .offset:         64
        .size:           8
        .value_kind:     global_buffer
      - .offset:         72
        .size:           8
        .value_kind:     by_value
      - .offset:         80
        .size:           8
        .value_kind:     by_value
      - .offset:         88
        .size:           8
        .value_kind:     by_value
      - .address_space:  global
        .offset:         96
        .size:           8
        .value_kind:     global_buffer
      - .offset:         104
        .size:           8
        .value_kind:     by_value
      - .offset:         112
        .size:           8
        .value_kind:     by_value
      - .offset:         120
        .size:           8
        .value_kind:     by_value
      - .offset:         128
        .size:           4
        .value_kind:     by_value
      - .offset:         136
        .size:           4
        .value_kind:     hidden_block_count_x
      - .offset:         140
        .size:           4
        .value_kind:     hidden_block_count_y
      - .offset:         144
        .size:           4
        .value_kind:     hidden_block_count_z
      - .offset:         148
        .size:           2
        .value_kind:     hidden_group_size_x
      - .offset:         150
        .size:           2
        .value_kind:     hidden_group_size_y
      - .offset:         152
        .size:           2
        .value_kind:     hidden_group_size_z
      - .offset:         154
        .size:           2
        .value_kind:     hidden_remainder_x
      - .offset:         156
        .size:           2
        .value_kind:     hidden_remainder_y
      - .offset:         158
        .size:           2
        .value_kind:     hidden_remainder_z
      - .offset:         176
        .size:           8
        .value_kind:     hidden_global_offset_x
      - .offset:         184
        .size:           8
        .value_kind:     hidden_global_offset_y
      - .offset:         192
        .size:           8
        .value_kind:     hidden_global_offset_z
      - .offset:         200
        .size:           2
        .value_kind:     hidden_grid_dims
    .group_segment_fixed_size: 16384
    .kernarg_segment_align: 8
    .kernarg_segment_size: 392
    .language:       OpenCL C
    .language_version:
      - 2
      - 0
    .max_flat_workgroup_size: 1024
    .name:           _ZL30rocblas_trmm_outofplace_kernelI19rocblas_complex_numIfELi32ELi2ELb1ELb1ELb0ELb0EPKS1_S2_S1_Ev17rocblas_diagonal_iiT6_lPT7_lllS7_lllPT8_llli
    .private_segment_fixed_size: 0
    .sgpr_count:     50
    .sgpr_spill_count: 0
    .symbol:         _ZL30rocblas_trmm_outofplace_kernelI19rocblas_complex_numIfELi32ELi2ELb1ELb1ELb0ELb0EPKS1_S2_S1_Ev17rocblas_diagonal_iiT6_lPT7_lllS7_lllPT8_llli.kd
    .uniform_work_group_size: 1
    .uses_dynamic_stack: false
    .vgpr_count:     87
    .vgpr_spill_count: 0
    .wavefront_size: 32
    .workgroup_processor_mode: 1
  - .args:
      - .offset:         0
        .size:           4
        .value_kind:     by_value
      - .offset:         4
        .size:           4
        .value_kind:     by_value
      - .offset:         8
        .size:           4
        .value_kind:     by_value
      - .offset:         12
        .size:           8
        .value_kind:     by_value
      - .offset:         24
        .size:           8
        .value_kind:     by_value
      - .address_space:  global
        .offset:         32
        .size:           8
        .value_kind:     global_buffer
      - .offset:         40
        .size:           8
        .value_kind:     by_value
      - .offset:         48
        .size:           8
        .value_kind:     by_value
      - .offset:         56
        .size:           8
        .value_kind:     by_value
      - .address_space:  global
        .offset:         64
        .size:           8
        .value_kind:     global_buffer
      - .offset:         72
        .size:           8
        .value_kind:     by_value
      - .offset:         80
        .size:           8
        .value_kind:     by_value
      - .offset:         88
        .size:           8
        .value_kind:     by_value
      - .address_space:  global
        .offset:         96
        .size:           8
        .value_kind:     global_buffer
      - .offset:         104
        .size:           8
        .value_kind:     by_value
      - .offset:         112
        .size:           8
        .value_kind:     by_value
      - .offset:         120
        .size:           8
        .value_kind:     by_value
      - .offset:         128
        .size:           4
        .value_kind:     by_value
      - .offset:         136
        .size:           4
        .value_kind:     hidden_block_count_x
      - .offset:         140
        .size:           4
        .value_kind:     hidden_block_count_y
      - .offset:         144
        .size:           4
        .value_kind:     hidden_block_count_z
      - .offset:         148
        .size:           2
        .value_kind:     hidden_group_size_x
      - .offset:         150
        .size:           2
        .value_kind:     hidden_group_size_y
      - .offset:         152
        .size:           2
        .value_kind:     hidden_group_size_z
      - .offset:         154
        .size:           2
        .value_kind:     hidden_remainder_x
      - .offset:         156
        .size:           2
        .value_kind:     hidden_remainder_y
      - .offset:         158
        .size:           2
        .value_kind:     hidden_remainder_z
      - .offset:         176
        .size:           8
        .value_kind:     hidden_global_offset_x
      - .offset:         184
        .size:           8
        .value_kind:     hidden_global_offset_y
      - .offset:         192
        .size:           8
        .value_kind:     hidden_global_offset_z
      - .offset:         200
        .size:           2
        .value_kind:     hidden_grid_dims
    .group_segment_fixed_size: 16384
    .kernarg_segment_align: 8
    .kernarg_segment_size: 392
    .language:       OpenCL C
    .language_version:
      - 2
      - 0
    .max_flat_workgroup_size: 1024
    .name:           _ZL30rocblas_trmm_outofplace_kernelI19rocblas_complex_numIfELi32ELi2ELb1ELb1ELb0ELb0ES1_KS1_S1_Ev17rocblas_diagonal_iiT6_lPT7_lllS6_lllPT8_llli
    .private_segment_fixed_size: 0
    .sgpr_count:     51
    .sgpr_spill_count: 0
    .symbol:         _ZL30rocblas_trmm_outofplace_kernelI19rocblas_complex_numIfELi32ELi2ELb1ELb1ELb0ELb0ES1_KS1_S1_Ev17rocblas_diagonal_iiT6_lPT7_lllS6_lllPT8_llli.kd
    .uniform_work_group_size: 1
    .uses_dynamic_stack: false
    .vgpr_count:     87
    .vgpr_spill_count: 0
    .wavefront_size: 32
    .workgroup_processor_mode: 1
  - .args:
      - .offset:         0
        .size:           4
        .value_kind:     by_value
      - .offset:         4
        .size:           4
        .value_kind:     by_value
      - .offset:         8
        .size:           4
        .value_kind:     by_value
      - .address_space:  global
        .offset:         16
        .size:           8
        .value_kind:     global_buffer
      - .offset:         24
        .size:           8
        .value_kind:     by_value
      - .address_space:  global
        .offset:         32
        .size:           8
        .value_kind:     global_buffer
      - .offset:         40
        .size:           8
        .value_kind:     by_value
      - .offset:         48
        .size:           8
        .value_kind:     by_value
      - .offset:         56
        .size:           8
        .value_kind:     by_value
      - .address_space:  global
        .offset:         64
        .size:           8
        .value_kind:     global_buffer
      - .offset:         72
        .size:           8
        .value_kind:     by_value
      - .offset:         80
        .size:           8
        .value_kind:     by_value
      - .offset:         88
        .size:           8
        .value_kind:     by_value
      - .address_space:  global
        .offset:         96
        .size:           8
        .value_kind:     global_buffer
      - .offset:         104
        .size:           8
        .value_kind:     by_value
      - .offset:         112
        .size:           8
        .value_kind:     by_value
      - .offset:         120
        .size:           8
        .value_kind:     by_value
      - .offset:         128
        .size:           4
        .value_kind:     by_value
      - .offset:         136
        .size:           4
        .value_kind:     hidden_block_count_x
      - .offset:         140
        .size:           4
        .value_kind:     hidden_block_count_y
      - .offset:         144
        .size:           4
        .value_kind:     hidden_block_count_z
      - .offset:         148
        .size:           2
        .value_kind:     hidden_group_size_x
      - .offset:         150
        .size:           2
        .value_kind:     hidden_group_size_y
      - .offset:         152
        .size:           2
        .value_kind:     hidden_group_size_z
      - .offset:         154
        .size:           2
        .value_kind:     hidden_remainder_x
      - .offset:         156
        .size:           2
        .value_kind:     hidden_remainder_y
      - .offset:         158
        .size:           2
        .value_kind:     hidden_remainder_z
      - .offset:         176
        .size:           8
        .value_kind:     hidden_global_offset_x
      - .offset:         184
        .size:           8
        .value_kind:     hidden_global_offset_y
      - .offset:         192
        .size:           8
        .value_kind:     hidden_global_offset_z
      - .offset:         200
        .size:           2
        .value_kind:     hidden_grid_dims
    .group_segment_fixed_size: 16384
    .kernarg_segment_align: 8
    .kernarg_segment_size: 392
    .language:       OpenCL C
    .language_version:
      - 2
      - 0
    .max_flat_workgroup_size: 1024
    .name:           _ZL30rocblas_trmm_outofplace_kernelI19rocblas_complex_numIfELi32ELi2ELb1ELb0ELb1ELb0EPKS1_S2_S1_Ev17rocblas_diagonal_iiT6_lPT7_lllS7_lllPT8_llli
    .private_segment_fixed_size: 0
    .sgpr_count:     48
    .sgpr_spill_count: 0
    .symbol:         _ZL30rocblas_trmm_outofplace_kernelI19rocblas_complex_numIfELi32ELi2ELb1ELb0ELb1ELb0EPKS1_S2_S1_Ev17rocblas_diagonal_iiT6_lPT7_lllS7_lllPT8_llli.kd
    .uniform_work_group_size: 1
    .uses_dynamic_stack: false
    .vgpr_count:     87
    .vgpr_spill_count: 0
    .wavefront_size: 32
    .workgroup_processor_mode: 1
  - .args:
      - .offset:         0
        .size:           4
        .value_kind:     by_value
      - .offset:         4
        .size:           4
        .value_kind:     by_value
      - .offset:         8
        .size:           4
        .value_kind:     by_value
      - .offset:         12
        .size:           8
        .value_kind:     by_value
      - .offset:         24
        .size:           8
        .value_kind:     by_value
      - .address_space:  global
        .offset:         32
        .size:           8
        .value_kind:     global_buffer
      - .offset:         40
        .size:           8
        .value_kind:     by_value
      - .offset:         48
        .size:           8
        .value_kind:     by_value
      - .offset:         56
        .size:           8
        .value_kind:     by_value
      - .address_space:  global
        .offset:         64
        .size:           8
        .value_kind:     global_buffer
      - .offset:         72
        .size:           8
        .value_kind:     by_value
      - .offset:         80
        .size:           8
        .value_kind:     by_value
      - .offset:         88
        .size:           8
        .value_kind:     by_value
      - .address_space:  global
        .offset:         96
        .size:           8
        .value_kind:     global_buffer
      - .offset:         104
        .size:           8
        .value_kind:     by_value
      - .offset:         112
        .size:           8
        .value_kind:     by_value
      - .offset:         120
        .size:           8
        .value_kind:     by_value
      - .offset:         128
        .size:           4
        .value_kind:     by_value
      - .offset:         136
        .size:           4
        .value_kind:     hidden_block_count_x
      - .offset:         140
        .size:           4
        .value_kind:     hidden_block_count_y
      - .offset:         144
        .size:           4
        .value_kind:     hidden_block_count_z
      - .offset:         148
        .size:           2
        .value_kind:     hidden_group_size_x
      - .offset:         150
        .size:           2
        .value_kind:     hidden_group_size_y
      - .offset:         152
        .size:           2
        .value_kind:     hidden_group_size_z
      - .offset:         154
        .size:           2
        .value_kind:     hidden_remainder_x
      - .offset:         156
        .size:           2
        .value_kind:     hidden_remainder_y
      - .offset:         158
        .size:           2
        .value_kind:     hidden_remainder_z
      - .offset:         176
        .size:           8
        .value_kind:     hidden_global_offset_x
      - .offset:         184
        .size:           8
        .value_kind:     hidden_global_offset_y
      - .offset:         192
        .size:           8
        .value_kind:     hidden_global_offset_z
      - .offset:         200
        .size:           2
        .value_kind:     hidden_grid_dims
    .group_segment_fixed_size: 16384
    .kernarg_segment_align: 8
    .kernarg_segment_size: 392
    .language:       OpenCL C
    .language_version:
      - 2
      - 0
    .max_flat_workgroup_size: 1024
    .name:           _ZL30rocblas_trmm_outofplace_kernelI19rocblas_complex_numIfELi32ELi2ELb1ELb0ELb1ELb0ES1_KS1_S1_Ev17rocblas_diagonal_iiT6_lPT7_lllS6_lllPT8_llli
    .private_segment_fixed_size: 0
    .sgpr_count:     48
    .sgpr_spill_count: 0
    .symbol:         _ZL30rocblas_trmm_outofplace_kernelI19rocblas_complex_numIfELi32ELi2ELb1ELb0ELb1ELb0ES1_KS1_S1_Ev17rocblas_diagonal_iiT6_lPT7_lllS6_lllPT8_llli.kd
    .uniform_work_group_size: 1
    .uses_dynamic_stack: false
    .vgpr_count:     87
    .vgpr_spill_count: 0
    .wavefront_size: 32
    .workgroup_processor_mode: 1
  - .args:
      - .offset:         0
        .size:           4
        .value_kind:     by_value
      - .offset:         4
        .size:           4
        .value_kind:     by_value
      - .offset:         8
        .size:           4
        .value_kind:     by_value
      - .address_space:  global
        .offset:         16
        .size:           8
        .value_kind:     global_buffer
      - .offset:         24
        .size:           8
        .value_kind:     by_value
      - .address_space:  global
        .offset:         32
        .size:           8
        .value_kind:     global_buffer
      - .offset:         40
        .size:           8
        .value_kind:     by_value
      - .offset:         48
        .size:           8
        .value_kind:     by_value
      - .offset:         56
        .size:           8
        .value_kind:     by_value
      - .address_space:  global
        .offset:         64
        .size:           8
        .value_kind:     global_buffer
      - .offset:         72
        .size:           8
        .value_kind:     by_value
      - .offset:         80
        .size:           8
        .value_kind:     by_value
      - .offset:         88
        .size:           8
        .value_kind:     by_value
      - .address_space:  global
        .offset:         96
        .size:           8
        .value_kind:     global_buffer
      - .offset:         104
        .size:           8
        .value_kind:     by_value
      - .offset:         112
        .size:           8
        .value_kind:     by_value
      - .offset:         120
        .size:           8
        .value_kind:     by_value
      - .offset:         128
        .size:           4
        .value_kind:     by_value
      - .offset:         136
        .size:           4
        .value_kind:     hidden_block_count_x
      - .offset:         140
        .size:           4
        .value_kind:     hidden_block_count_y
      - .offset:         144
        .size:           4
        .value_kind:     hidden_block_count_z
      - .offset:         148
        .size:           2
        .value_kind:     hidden_group_size_x
      - .offset:         150
        .size:           2
        .value_kind:     hidden_group_size_y
      - .offset:         152
        .size:           2
        .value_kind:     hidden_group_size_z
      - .offset:         154
        .size:           2
        .value_kind:     hidden_remainder_x
      - .offset:         156
        .size:           2
        .value_kind:     hidden_remainder_y
      - .offset:         158
        .size:           2
        .value_kind:     hidden_remainder_z
      - .offset:         176
        .size:           8
        .value_kind:     hidden_global_offset_x
      - .offset:         184
        .size:           8
        .value_kind:     hidden_global_offset_y
      - .offset:         192
        .size:           8
        .value_kind:     hidden_global_offset_z
      - .offset:         200
        .size:           2
        .value_kind:     hidden_grid_dims
    .group_segment_fixed_size: 16384
    .kernarg_segment_align: 8
    .kernarg_segment_size: 392
    .language:       OpenCL C
    .language_version:
      - 2
      - 0
    .max_flat_workgroup_size: 1024
    .name:           _ZL30rocblas_trmm_outofplace_kernelI19rocblas_complex_numIfELi32ELi2ELb1ELb1ELb1ELb0EPKS1_S2_S1_Ev17rocblas_diagonal_iiT6_lPT7_lllS7_lllPT8_llli
    .private_segment_fixed_size: 0
    .sgpr_count:     48
    .sgpr_spill_count: 0
    .symbol:         _ZL30rocblas_trmm_outofplace_kernelI19rocblas_complex_numIfELi32ELi2ELb1ELb1ELb1ELb0EPKS1_S2_S1_Ev17rocblas_diagonal_iiT6_lPT7_lllS7_lllPT8_llli.kd
    .uniform_work_group_size: 1
    .uses_dynamic_stack: false
    .vgpr_count:     86
    .vgpr_spill_count: 0
    .wavefront_size: 32
    .workgroup_processor_mode: 1
  - .args:
      - .offset:         0
        .size:           4
        .value_kind:     by_value
      - .offset:         4
        .size:           4
        .value_kind:     by_value
      - .offset:         8
        .size:           4
        .value_kind:     by_value
      - .offset:         12
        .size:           8
        .value_kind:     by_value
      - .offset:         24
        .size:           8
        .value_kind:     by_value
      - .address_space:  global
        .offset:         32
        .size:           8
        .value_kind:     global_buffer
      - .offset:         40
        .size:           8
        .value_kind:     by_value
      - .offset:         48
        .size:           8
        .value_kind:     by_value
      - .offset:         56
        .size:           8
        .value_kind:     by_value
      - .address_space:  global
        .offset:         64
        .size:           8
        .value_kind:     global_buffer
      - .offset:         72
        .size:           8
        .value_kind:     by_value
      - .offset:         80
        .size:           8
        .value_kind:     by_value
      - .offset:         88
        .size:           8
        .value_kind:     by_value
      - .address_space:  global
        .offset:         96
        .size:           8
        .value_kind:     global_buffer
      - .offset:         104
        .size:           8
        .value_kind:     by_value
      - .offset:         112
        .size:           8
        .value_kind:     by_value
      - .offset:         120
        .size:           8
        .value_kind:     by_value
      - .offset:         128
        .size:           4
        .value_kind:     by_value
      - .offset:         136
        .size:           4
        .value_kind:     hidden_block_count_x
      - .offset:         140
        .size:           4
        .value_kind:     hidden_block_count_y
      - .offset:         144
        .size:           4
        .value_kind:     hidden_block_count_z
      - .offset:         148
        .size:           2
        .value_kind:     hidden_group_size_x
      - .offset:         150
        .size:           2
        .value_kind:     hidden_group_size_y
      - .offset:         152
        .size:           2
        .value_kind:     hidden_group_size_z
      - .offset:         154
        .size:           2
        .value_kind:     hidden_remainder_x
      - .offset:         156
        .size:           2
        .value_kind:     hidden_remainder_y
      - .offset:         158
        .size:           2
        .value_kind:     hidden_remainder_z
      - .offset:         176
        .size:           8
        .value_kind:     hidden_global_offset_x
      - .offset:         184
        .size:           8
        .value_kind:     hidden_global_offset_y
      - .offset:         192
        .size:           8
        .value_kind:     hidden_global_offset_z
      - .offset:         200
        .size:           2
        .value_kind:     hidden_grid_dims
    .group_segment_fixed_size: 16384
    .kernarg_segment_align: 8
    .kernarg_segment_size: 392
    .language:       OpenCL C
    .language_version:
      - 2
      - 0
    .max_flat_workgroup_size: 1024
    .name:           _ZL30rocblas_trmm_outofplace_kernelI19rocblas_complex_numIfELi32ELi2ELb1ELb1ELb1ELb0ES1_KS1_S1_Ev17rocblas_diagonal_iiT6_lPT7_lllS6_lllPT8_llli
    .private_segment_fixed_size: 0
    .sgpr_count:     48
    .sgpr_spill_count: 0
    .symbol:         _ZL30rocblas_trmm_outofplace_kernelI19rocblas_complex_numIfELi32ELi2ELb1ELb1ELb1ELb0ES1_KS1_S1_Ev17rocblas_diagonal_iiT6_lPT7_lllS6_lllPT8_llli.kd
    .uniform_work_group_size: 1
    .uses_dynamic_stack: false
    .vgpr_count:     86
    .vgpr_spill_count: 0
    .wavefront_size: 32
    .workgroup_processor_mode: 1
  - .args:
      - .offset:         0
        .size:           4
        .value_kind:     by_value
      - .offset:         4
        .size:           4
        .value_kind:     by_value
      - .offset:         8
        .size:           4
        .value_kind:     by_value
      - .address_space:  global
        .offset:         16
        .size:           8
        .value_kind:     global_buffer
      - .offset:         24
        .size:           8
        .value_kind:     by_value
      - .address_space:  global
        .offset:         32
        .size:           8
        .value_kind:     global_buffer
      - .offset:         40
        .size:           8
        .value_kind:     by_value
      - .offset:         48
        .size:           8
        .value_kind:     by_value
      - .offset:         56
        .size:           8
        .value_kind:     by_value
      - .address_space:  global
        .offset:         64
        .size:           8
        .value_kind:     global_buffer
      - .offset:         72
        .size:           8
        .value_kind:     by_value
      - .offset:         80
        .size:           8
        .value_kind:     by_value
      - .offset:         88
        .size:           8
        .value_kind:     by_value
      - .address_space:  global
        .offset:         96
        .size:           8
        .value_kind:     global_buffer
      - .offset:         104
        .size:           8
        .value_kind:     by_value
      - .offset:         112
        .size:           8
        .value_kind:     by_value
      - .offset:         120
        .size:           8
        .value_kind:     by_value
      - .offset:         128
        .size:           4
        .value_kind:     by_value
      - .offset:         136
        .size:           4
        .value_kind:     hidden_block_count_x
      - .offset:         140
        .size:           4
        .value_kind:     hidden_block_count_y
      - .offset:         144
        .size:           4
        .value_kind:     hidden_block_count_z
      - .offset:         148
        .size:           2
        .value_kind:     hidden_group_size_x
      - .offset:         150
        .size:           2
        .value_kind:     hidden_group_size_y
      - .offset:         152
        .size:           2
        .value_kind:     hidden_group_size_z
      - .offset:         154
        .size:           2
        .value_kind:     hidden_remainder_x
      - .offset:         156
        .size:           2
        .value_kind:     hidden_remainder_y
      - .offset:         158
        .size:           2
        .value_kind:     hidden_remainder_z
      - .offset:         176
        .size:           8
        .value_kind:     hidden_global_offset_x
      - .offset:         184
        .size:           8
        .value_kind:     hidden_global_offset_y
      - .offset:         192
        .size:           8
        .value_kind:     hidden_global_offset_z
      - .offset:         200
        .size:           2
        .value_kind:     hidden_grid_dims
    .group_segment_fixed_size: 16384
    .kernarg_segment_align: 8
    .kernarg_segment_size: 392
    .language:       OpenCL C
    .language_version:
      - 2
      - 0
    .max_flat_workgroup_size: 1024
    .name:           _ZL30rocblas_trmm_outofplace_kernelI19rocblas_complex_numIfELi32ELi2ELb1ELb0ELb1ELb1EPKS1_S2_S1_Ev17rocblas_diagonal_iiT6_lPT7_lllS7_lllPT8_llli
    .private_segment_fixed_size: 0
    .sgpr_count:     48
    .sgpr_spill_count: 0
    .symbol:         _ZL30rocblas_trmm_outofplace_kernelI19rocblas_complex_numIfELi32ELi2ELb1ELb0ELb1ELb1EPKS1_S2_S1_Ev17rocblas_diagonal_iiT6_lPT7_lllS7_lllPT8_llli.kd
    .uniform_work_group_size: 1
    .uses_dynamic_stack: false
    .vgpr_count:     72
    .vgpr_spill_count: 0
    .wavefront_size: 32
    .workgroup_processor_mode: 1
  - .args:
      - .offset:         0
        .size:           4
        .value_kind:     by_value
      - .offset:         4
        .size:           4
        .value_kind:     by_value
      - .offset:         8
        .size:           4
        .value_kind:     by_value
      - .offset:         12
        .size:           8
        .value_kind:     by_value
      - .offset:         24
        .size:           8
        .value_kind:     by_value
      - .address_space:  global
        .offset:         32
        .size:           8
        .value_kind:     global_buffer
      - .offset:         40
        .size:           8
        .value_kind:     by_value
      - .offset:         48
        .size:           8
        .value_kind:     by_value
      - .offset:         56
        .size:           8
        .value_kind:     by_value
      - .address_space:  global
        .offset:         64
        .size:           8
        .value_kind:     global_buffer
      - .offset:         72
        .size:           8
        .value_kind:     by_value
      - .offset:         80
        .size:           8
        .value_kind:     by_value
      - .offset:         88
        .size:           8
        .value_kind:     by_value
      - .address_space:  global
        .offset:         96
        .size:           8
        .value_kind:     global_buffer
      - .offset:         104
        .size:           8
        .value_kind:     by_value
      - .offset:         112
        .size:           8
        .value_kind:     by_value
      - .offset:         120
        .size:           8
        .value_kind:     by_value
      - .offset:         128
        .size:           4
        .value_kind:     by_value
      - .offset:         136
        .size:           4
        .value_kind:     hidden_block_count_x
      - .offset:         140
        .size:           4
        .value_kind:     hidden_block_count_y
      - .offset:         144
        .size:           4
        .value_kind:     hidden_block_count_z
      - .offset:         148
        .size:           2
        .value_kind:     hidden_group_size_x
      - .offset:         150
        .size:           2
        .value_kind:     hidden_group_size_y
      - .offset:         152
        .size:           2
        .value_kind:     hidden_group_size_z
      - .offset:         154
        .size:           2
        .value_kind:     hidden_remainder_x
      - .offset:         156
        .size:           2
        .value_kind:     hidden_remainder_y
      - .offset:         158
        .size:           2
        .value_kind:     hidden_remainder_z
      - .offset:         176
        .size:           8
        .value_kind:     hidden_global_offset_x
      - .offset:         184
        .size:           8
        .value_kind:     hidden_global_offset_y
      - .offset:         192
        .size:           8
        .value_kind:     hidden_global_offset_z
      - .offset:         200
        .size:           2
        .value_kind:     hidden_grid_dims
    .group_segment_fixed_size: 16384
    .kernarg_segment_align: 8
    .kernarg_segment_size: 392
    .language:       OpenCL C
    .language_version:
      - 2
      - 0
    .max_flat_workgroup_size: 1024
    .name:           _ZL30rocblas_trmm_outofplace_kernelI19rocblas_complex_numIfELi32ELi2ELb1ELb0ELb1ELb1ES1_KS1_S1_Ev17rocblas_diagonal_iiT6_lPT7_lllS6_lllPT8_llli
    .private_segment_fixed_size: 0
    .sgpr_count:     48
    .sgpr_spill_count: 0
    .symbol:         _ZL30rocblas_trmm_outofplace_kernelI19rocblas_complex_numIfELi32ELi2ELb1ELb0ELb1ELb1ES1_KS1_S1_Ev17rocblas_diagonal_iiT6_lPT7_lllS6_lllPT8_llli.kd
    .uniform_work_group_size: 1
    .uses_dynamic_stack: false
    .vgpr_count:     72
    .vgpr_spill_count: 0
    .wavefront_size: 32
    .workgroup_processor_mode: 1
  - .args:
      - .offset:         0
        .size:           4
        .value_kind:     by_value
      - .offset:         4
        .size:           4
        .value_kind:     by_value
      - .offset:         8
        .size:           4
        .value_kind:     by_value
      - .address_space:  global
        .offset:         16
        .size:           8
        .value_kind:     global_buffer
      - .offset:         24
        .size:           8
        .value_kind:     by_value
      - .address_space:  global
        .offset:         32
        .size:           8
        .value_kind:     global_buffer
      - .offset:         40
        .size:           8
        .value_kind:     by_value
      - .offset:         48
        .size:           8
        .value_kind:     by_value
      - .offset:         56
        .size:           8
        .value_kind:     by_value
      - .address_space:  global
        .offset:         64
        .size:           8
        .value_kind:     global_buffer
      - .offset:         72
        .size:           8
        .value_kind:     by_value
      - .offset:         80
        .size:           8
        .value_kind:     by_value
      - .offset:         88
        .size:           8
        .value_kind:     by_value
      - .address_space:  global
        .offset:         96
        .size:           8
        .value_kind:     global_buffer
      - .offset:         104
        .size:           8
        .value_kind:     by_value
      - .offset:         112
        .size:           8
        .value_kind:     by_value
      - .offset:         120
        .size:           8
        .value_kind:     by_value
      - .offset:         128
        .size:           4
        .value_kind:     by_value
      - .offset:         136
        .size:           4
        .value_kind:     hidden_block_count_x
      - .offset:         140
        .size:           4
        .value_kind:     hidden_block_count_y
      - .offset:         144
        .size:           4
        .value_kind:     hidden_block_count_z
      - .offset:         148
        .size:           2
        .value_kind:     hidden_group_size_x
      - .offset:         150
        .size:           2
        .value_kind:     hidden_group_size_y
      - .offset:         152
        .size:           2
        .value_kind:     hidden_group_size_z
      - .offset:         154
        .size:           2
        .value_kind:     hidden_remainder_x
      - .offset:         156
        .size:           2
        .value_kind:     hidden_remainder_y
      - .offset:         158
        .size:           2
        .value_kind:     hidden_remainder_z
      - .offset:         176
        .size:           8
        .value_kind:     hidden_global_offset_x
      - .offset:         184
        .size:           8
        .value_kind:     hidden_global_offset_y
      - .offset:         192
        .size:           8
        .value_kind:     hidden_global_offset_z
      - .offset:         200
        .size:           2
        .value_kind:     hidden_grid_dims
    .group_segment_fixed_size: 16384
    .kernarg_segment_align: 8
    .kernarg_segment_size: 392
    .language:       OpenCL C
    .language_version:
      - 2
      - 0
    .max_flat_workgroup_size: 1024
    .name:           _ZL30rocblas_trmm_outofplace_kernelI19rocblas_complex_numIfELi32ELi2ELb1ELb1ELb1ELb1EPKS1_S2_S1_Ev17rocblas_diagonal_iiT6_lPT7_lllS7_lllPT8_llli
    .private_segment_fixed_size: 0
    .sgpr_count:     48
    .sgpr_spill_count: 0
    .symbol:         _ZL30rocblas_trmm_outofplace_kernelI19rocblas_complex_numIfELi32ELi2ELb1ELb1ELb1ELb1EPKS1_S2_S1_Ev17rocblas_diagonal_iiT6_lPT7_lllS7_lllPT8_llli.kd
    .uniform_work_group_size: 1
    .uses_dynamic_stack: false
    .vgpr_count:     71
    .vgpr_spill_count: 0
    .wavefront_size: 32
    .workgroup_processor_mode: 1
  - .args:
      - .offset:         0
        .size:           4
        .value_kind:     by_value
      - .offset:         4
        .size:           4
        .value_kind:     by_value
      - .offset:         8
        .size:           4
        .value_kind:     by_value
      - .offset:         12
        .size:           8
        .value_kind:     by_value
      - .offset:         24
        .size:           8
        .value_kind:     by_value
      - .address_space:  global
        .offset:         32
        .size:           8
        .value_kind:     global_buffer
      - .offset:         40
        .size:           8
        .value_kind:     by_value
      - .offset:         48
        .size:           8
        .value_kind:     by_value
      - .offset:         56
        .size:           8
        .value_kind:     by_value
      - .address_space:  global
        .offset:         64
        .size:           8
        .value_kind:     global_buffer
      - .offset:         72
        .size:           8
        .value_kind:     by_value
      - .offset:         80
        .size:           8
        .value_kind:     by_value
      - .offset:         88
        .size:           8
        .value_kind:     by_value
      - .address_space:  global
        .offset:         96
        .size:           8
        .value_kind:     global_buffer
      - .offset:         104
        .size:           8
        .value_kind:     by_value
      - .offset:         112
        .size:           8
        .value_kind:     by_value
      - .offset:         120
        .size:           8
        .value_kind:     by_value
      - .offset:         128
        .size:           4
        .value_kind:     by_value
      - .offset:         136
        .size:           4
        .value_kind:     hidden_block_count_x
      - .offset:         140
        .size:           4
        .value_kind:     hidden_block_count_y
      - .offset:         144
        .size:           4
        .value_kind:     hidden_block_count_z
      - .offset:         148
        .size:           2
        .value_kind:     hidden_group_size_x
      - .offset:         150
        .size:           2
        .value_kind:     hidden_group_size_y
      - .offset:         152
        .size:           2
        .value_kind:     hidden_group_size_z
      - .offset:         154
        .size:           2
        .value_kind:     hidden_remainder_x
      - .offset:         156
        .size:           2
        .value_kind:     hidden_remainder_y
      - .offset:         158
        .size:           2
        .value_kind:     hidden_remainder_z
      - .offset:         176
        .size:           8
        .value_kind:     hidden_global_offset_x
      - .offset:         184
        .size:           8
        .value_kind:     hidden_global_offset_y
      - .offset:         192
        .size:           8
        .value_kind:     hidden_global_offset_z
      - .offset:         200
        .size:           2
        .value_kind:     hidden_grid_dims
    .group_segment_fixed_size: 16384
    .kernarg_segment_align: 8
    .kernarg_segment_size: 392
    .language:       OpenCL C
    .language_version:
      - 2
      - 0
    .max_flat_workgroup_size: 1024
    .name:           _ZL30rocblas_trmm_outofplace_kernelI19rocblas_complex_numIfELi32ELi2ELb1ELb1ELb1ELb1ES1_KS1_S1_Ev17rocblas_diagonal_iiT6_lPT7_lllS6_lllPT8_llli
    .private_segment_fixed_size: 0
    .sgpr_count:     48
    .sgpr_spill_count: 0
    .symbol:         _ZL30rocblas_trmm_outofplace_kernelI19rocblas_complex_numIfELi32ELi2ELb1ELb1ELb1ELb1ES1_KS1_S1_Ev17rocblas_diagonal_iiT6_lPT7_lllS6_lllPT8_llli.kd
    .uniform_work_group_size: 1
    .uses_dynamic_stack: false
    .vgpr_count:     71
    .vgpr_spill_count: 0
    .wavefront_size: 32
    .workgroup_processor_mode: 1
  - .args:
      - .offset:         0
        .size:           4
        .value_kind:     by_value
      - .offset:         4
        .size:           4
        .value_kind:     by_value
      - .offset:         8
        .size:           4
        .value_kind:     by_value
      - .address_space:  global
        .offset:         16
        .size:           8
        .value_kind:     global_buffer
      - .offset:         24
        .size:           8
        .value_kind:     by_value
      - .address_space:  global
        .offset:         32
        .size:           8
        .value_kind:     global_buffer
      - .offset:         40
        .size:           8
        .value_kind:     by_value
      - .offset:         48
        .size:           8
        .value_kind:     by_value
      - .offset:         56
        .size:           8
        .value_kind:     by_value
      - .address_space:  global
        .offset:         64
        .size:           8
        .value_kind:     global_buffer
      - .offset:         72
        .size:           8
        .value_kind:     by_value
      - .offset:         80
        .size:           8
        .value_kind:     by_value
      - .offset:         88
        .size:           8
        .value_kind:     by_value
      - .address_space:  global
        .offset:         96
        .size:           8
        .value_kind:     global_buffer
      - .offset:         104
        .size:           8
        .value_kind:     by_value
      - .offset:         112
        .size:           8
        .value_kind:     by_value
      - .offset:         120
        .size:           8
        .value_kind:     by_value
      - .offset:         128
        .size:           4
        .value_kind:     by_value
      - .offset:         136
        .size:           4
        .value_kind:     hidden_block_count_x
      - .offset:         140
        .size:           4
        .value_kind:     hidden_block_count_y
      - .offset:         144
        .size:           4
        .value_kind:     hidden_block_count_z
      - .offset:         148
        .size:           2
        .value_kind:     hidden_group_size_x
      - .offset:         150
        .size:           2
        .value_kind:     hidden_group_size_y
      - .offset:         152
        .size:           2
        .value_kind:     hidden_group_size_z
      - .offset:         154
        .size:           2
        .value_kind:     hidden_remainder_x
      - .offset:         156
        .size:           2
        .value_kind:     hidden_remainder_y
      - .offset:         158
        .size:           2
        .value_kind:     hidden_remainder_z
      - .offset:         176
        .size:           8
        .value_kind:     hidden_global_offset_x
      - .offset:         184
        .size:           8
        .value_kind:     hidden_global_offset_y
      - .offset:         192
        .size:           8
        .value_kind:     hidden_global_offset_z
      - .offset:         200
        .size:           2
        .value_kind:     hidden_grid_dims
    .group_segment_fixed_size: 16384
    .kernarg_segment_align: 8
    .kernarg_segment_size: 392
    .language:       OpenCL C
    .language_version:
      - 2
      - 0
    .max_flat_workgroup_size: 1024
    .name:           _ZL30rocblas_trmm_outofplace_kernelI19rocblas_complex_numIfELi32ELi2ELb0ELb0ELb0ELb0EPKS1_S2_S1_Ev17rocblas_diagonal_iiT6_lPT7_lllS7_lllPT8_llli
    .private_segment_fixed_size: 0
    .sgpr_count:     50
    .sgpr_spill_count: 0
    .symbol:         _ZL30rocblas_trmm_outofplace_kernelI19rocblas_complex_numIfELi32ELi2ELb0ELb0ELb0ELb0EPKS1_S2_S1_Ev17rocblas_diagonal_iiT6_lPT7_lllS7_lllPT8_llli.kd
    .uniform_work_group_size: 1
    .uses_dynamic_stack: false
    .vgpr_count:     88
    .vgpr_spill_count: 0
    .wavefront_size: 32
    .workgroup_processor_mode: 1
  - .args:
      - .offset:         0
        .size:           4
        .value_kind:     by_value
      - .offset:         4
        .size:           4
        .value_kind:     by_value
      - .offset:         8
        .size:           4
        .value_kind:     by_value
      - .offset:         12
        .size:           8
        .value_kind:     by_value
      - .offset:         24
        .size:           8
        .value_kind:     by_value
      - .address_space:  global
        .offset:         32
        .size:           8
        .value_kind:     global_buffer
      - .offset:         40
        .size:           8
        .value_kind:     by_value
      - .offset:         48
        .size:           8
        .value_kind:     by_value
      - .offset:         56
        .size:           8
        .value_kind:     by_value
      - .address_space:  global
        .offset:         64
        .size:           8
        .value_kind:     global_buffer
      - .offset:         72
        .size:           8
        .value_kind:     by_value
      - .offset:         80
        .size:           8
        .value_kind:     by_value
      - .offset:         88
        .size:           8
        .value_kind:     by_value
      - .address_space:  global
        .offset:         96
        .size:           8
        .value_kind:     global_buffer
      - .offset:         104
        .size:           8
        .value_kind:     by_value
      - .offset:         112
        .size:           8
        .value_kind:     by_value
      - .offset:         120
        .size:           8
        .value_kind:     by_value
      - .offset:         128
        .size:           4
        .value_kind:     by_value
      - .offset:         136
        .size:           4
        .value_kind:     hidden_block_count_x
      - .offset:         140
        .size:           4
        .value_kind:     hidden_block_count_y
      - .offset:         144
        .size:           4
        .value_kind:     hidden_block_count_z
      - .offset:         148
        .size:           2
        .value_kind:     hidden_group_size_x
      - .offset:         150
        .size:           2
        .value_kind:     hidden_group_size_y
      - .offset:         152
        .size:           2
        .value_kind:     hidden_group_size_z
      - .offset:         154
        .size:           2
        .value_kind:     hidden_remainder_x
      - .offset:         156
        .size:           2
        .value_kind:     hidden_remainder_y
      - .offset:         158
        .size:           2
        .value_kind:     hidden_remainder_z
      - .offset:         176
        .size:           8
        .value_kind:     hidden_global_offset_x
      - .offset:         184
        .size:           8
        .value_kind:     hidden_global_offset_y
      - .offset:         192
        .size:           8
        .value_kind:     hidden_global_offset_z
      - .offset:         200
        .size:           2
        .value_kind:     hidden_grid_dims
    .group_segment_fixed_size: 16384
    .kernarg_segment_align: 8
    .kernarg_segment_size: 392
    .language:       OpenCL C
    .language_version:
      - 2
      - 0
    .max_flat_workgroup_size: 1024
    .name:           _ZL30rocblas_trmm_outofplace_kernelI19rocblas_complex_numIfELi32ELi2ELb0ELb0ELb0ELb0ES1_KS1_S1_Ev17rocblas_diagonal_iiT6_lPT7_lllS6_lllPT8_llli
    .private_segment_fixed_size: 0
    .sgpr_count:     51
    .sgpr_spill_count: 0
    .symbol:         _ZL30rocblas_trmm_outofplace_kernelI19rocblas_complex_numIfELi32ELi2ELb0ELb0ELb0ELb0ES1_KS1_S1_Ev17rocblas_diagonal_iiT6_lPT7_lllS6_lllPT8_llli.kd
    .uniform_work_group_size: 1
    .uses_dynamic_stack: false
    .vgpr_count:     88
    .vgpr_spill_count: 0
    .wavefront_size: 32
    .workgroup_processor_mode: 1
  - .args:
      - .offset:         0
        .size:           4
        .value_kind:     by_value
      - .offset:         4
        .size:           4
        .value_kind:     by_value
      - .offset:         8
        .size:           4
        .value_kind:     by_value
      - .address_space:  global
        .offset:         16
        .size:           8
        .value_kind:     global_buffer
      - .offset:         24
        .size:           8
        .value_kind:     by_value
      - .address_space:  global
        .offset:         32
        .size:           8
        .value_kind:     global_buffer
      - .offset:         40
        .size:           8
        .value_kind:     by_value
      - .offset:         48
        .size:           8
        .value_kind:     by_value
      - .offset:         56
        .size:           8
        .value_kind:     by_value
      - .address_space:  global
        .offset:         64
        .size:           8
        .value_kind:     global_buffer
      - .offset:         72
        .size:           8
        .value_kind:     by_value
      - .offset:         80
        .size:           8
        .value_kind:     by_value
      - .offset:         88
        .size:           8
        .value_kind:     by_value
      - .address_space:  global
        .offset:         96
        .size:           8
        .value_kind:     global_buffer
      - .offset:         104
        .size:           8
        .value_kind:     by_value
      - .offset:         112
        .size:           8
        .value_kind:     by_value
      - .offset:         120
        .size:           8
        .value_kind:     by_value
      - .offset:         128
        .size:           4
        .value_kind:     by_value
      - .offset:         136
        .size:           4
        .value_kind:     hidden_block_count_x
      - .offset:         140
        .size:           4
        .value_kind:     hidden_block_count_y
      - .offset:         144
        .size:           4
        .value_kind:     hidden_block_count_z
      - .offset:         148
        .size:           2
        .value_kind:     hidden_group_size_x
      - .offset:         150
        .size:           2
        .value_kind:     hidden_group_size_y
      - .offset:         152
        .size:           2
        .value_kind:     hidden_group_size_z
      - .offset:         154
        .size:           2
        .value_kind:     hidden_remainder_x
      - .offset:         156
        .size:           2
        .value_kind:     hidden_remainder_y
      - .offset:         158
        .size:           2
        .value_kind:     hidden_remainder_z
      - .offset:         176
        .size:           8
        .value_kind:     hidden_global_offset_x
      - .offset:         184
        .size:           8
        .value_kind:     hidden_global_offset_y
      - .offset:         192
        .size:           8
        .value_kind:     hidden_global_offset_z
      - .offset:         200
        .size:           2
        .value_kind:     hidden_grid_dims
    .group_segment_fixed_size: 16384
    .kernarg_segment_align: 8
    .kernarg_segment_size: 392
    .language:       OpenCL C
    .language_version:
      - 2
      - 0
    .max_flat_workgroup_size: 1024
    .name:           _ZL30rocblas_trmm_outofplace_kernelI19rocblas_complex_numIfELi32ELi2ELb0ELb1ELb0ELb0EPKS1_S2_S1_Ev17rocblas_diagonal_iiT6_lPT7_lllS7_lllPT8_llli
    .private_segment_fixed_size: 0
    .sgpr_count:     46
    .sgpr_spill_count: 0
    .symbol:         _ZL30rocblas_trmm_outofplace_kernelI19rocblas_complex_numIfELi32ELi2ELb0ELb1ELb0ELb0EPKS1_S2_S1_Ev17rocblas_diagonal_iiT6_lPT7_lllS7_lllPT8_llli.kd
    .uniform_work_group_size: 1
    .uses_dynamic_stack: false
    .vgpr_count:     87
    .vgpr_spill_count: 0
    .wavefront_size: 32
    .workgroup_processor_mode: 1
  - .args:
      - .offset:         0
        .size:           4
        .value_kind:     by_value
      - .offset:         4
        .size:           4
        .value_kind:     by_value
      - .offset:         8
        .size:           4
        .value_kind:     by_value
      - .offset:         12
        .size:           8
        .value_kind:     by_value
      - .offset:         24
        .size:           8
        .value_kind:     by_value
      - .address_space:  global
        .offset:         32
        .size:           8
        .value_kind:     global_buffer
      - .offset:         40
        .size:           8
        .value_kind:     by_value
      - .offset:         48
        .size:           8
        .value_kind:     by_value
      - .offset:         56
        .size:           8
        .value_kind:     by_value
      - .address_space:  global
        .offset:         64
        .size:           8
        .value_kind:     global_buffer
      - .offset:         72
        .size:           8
        .value_kind:     by_value
      - .offset:         80
        .size:           8
        .value_kind:     by_value
      - .offset:         88
        .size:           8
        .value_kind:     by_value
      - .address_space:  global
        .offset:         96
        .size:           8
        .value_kind:     global_buffer
      - .offset:         104
        .size:           8
        .value_kind:     by_value
      - .offset:         112
        .size:           8
        .value_kind:     by_value
      - .offset:         120
        .size:           8
        .value_kind:     by_value
      - .offset:         128
        .size:           4
        .value_kind:     by_value
      - .offset:         136
        .size:           4
        .value_kind:     hidden_block_count_x
      - .offset:         140
        .size:           4
        .value_kind:     hidden_block_count_y
      - .offset:         144
        .size:           4
        .value_kind:     hidden_block_count_z
      - .offset:         148
        .size:           2
        .value_kind:     hidden_group_size_x
      - .offset:         150
        .size:           2
        .value_kind:     hidden_group_size_y
      - .offset:         152
        .size:           2
        .value_kind:     hidden_group_size_z
      - .offset:         154
        .size:           2
        .value_kind:     hidden_remainder_x
      - .offset:         156
        .size:           2
        .value_kind:     hidden_remainder_y
      - .offset:         158
        .size:           2
        .value_kind:     hidden_remainder_z
      - .offset:         176
        .size:           8
        .value_kind:     hidden_global_offset_x
      - .offset:         184
        .size:           8
        .value_kind:     hidden_global_offset_y
      - .offset:         192
        .size:           8
        .value_kind:     hidden_global_offset_z
      - .offset:         200
        .size:           2
        .value_kind:     hidden_grid_dims
    .group_segment_fixed_size: 16384
    .kernarg_segment_align: 8
    .kernarg_segment_size: 392
    .language:       OpenCL C
    .language_version:
      - 2
      - 0
    .max_flat_workgroup_size: 1024
    .name:           _ZL30rocblas_trmm_outofplace_kernelI19rocblas_complex_numIfELi32ELi2ELb0ELb1ELb0ELb0ES1_KS1_S1_Ev17rocblas_diagonal_iiT6_lPT7_lllS6_lllPT8_llli
    .private_segment_fixed_size: 0
    .sgpr_count:     47
    .sgpr_spill_count: 0
    .symbol:         _ZL30rocblas_trmm_outofplace_kernelI19rocblas_complex_numIfELi32ELi2ELb0ELb1ELb0ELb0ES1_KS1_S1_Ev17rocblas_diagonal_iiT6_lPT7_lllS6_lllPT8_llli.kd
    .uniform_work_group_size: 1
    .uses_dynamic_stack: false
    .vgpr_count:     87
    .vgpr_spill_count: 0
    .wavefront_size: 32
    .workgroup_processor_mode: 1
  - .args:
      - .offset:         0
        .size:           4
        .value_kind:     by_value
      - .offset:         4
        .size:           4
        .value_kind:     by_value
      - .offset:         8
        .size:           4
        .value_kind:     by_value
      - .address_space:  global
        .offset:         16
        .size:           8
        .value_kind:     global_buffer
      - .offset:         24
        .size:           8
        .value_kind:     by_value
      - .address_space:  global
        .offset:         32
        .size:           8
        .value_kind:     global_buffer
      - .offset:         40
        .size:           8
        .value_kind:     by_value
      - .offset:         48
        .size:           8
        .value_kind:     by_value
      - .offset:         56
        .size:           8
        .value_kind:     by_value
      - .address_space:  global
        .offset:         64
        .size:           8
        .value_kind:     global_buffer
      - .offset:         72
        .size:           8
        .value_kind:     by_value
      - .offset:         80
        .size:           8
        .value_kind:     by_value
      - .offset:         88
        .size:           8
        .value_kind:     by_value
      - .address_space:  global
        .offset:         96
        .size:           8
        .value_kind:     global_buffer
      - .offset:         104
        .size:           8
        .value_kind:     by_value
      - .offset:         112
        .size:           8
        .value_kind:     by_value
      - .offset:         120
        .size:           8
        .value_kind:     by_value
      - .offset:         128
        .size:           4
        .value_kind:     by_value
      - .offset:         136
        .size:           4
        .value_kind:     hidden_block_count_x
      - .offset:         140
        .size:           4
        .value_kind:     hidden_block_count_y
      - .offset:         144
        .size:           4
        .value_kind:     hidden_block_count_z
      - .offset:         148
        .size:           2
        .value_kind:     hidden_group_size_x
      - .offset:         150
        .size:           2
        .value_kind:     hidden_group_size_y
      - .offset:         152
        .size:           2
        .value_kind:     hidden_group_size_z
      - .offset:         154
        .size:           2
        .value_kind:     hidden_remainder_x
      - .offset:         156
        .size:           2
        .value_kind:     hidden_remainder_y
      - .offset:         158
        .size:           2
        .value_kind:     hidden_remainder_z
      - .offset:         176
        .size:           8
        .value_kind:     hidden_global_offset_x
      - .offset:         184
        .size:           8
        .value_kind:     hidden_global_offset_y
      - .offset:         192
        .size:           8
        .value_kind:     hidden_global_offset_z
      - .offset:         200
        .size:           2
        .value_kind:     hidden_grid_dims
    .group_segment_fixed_size: 16384
    .kernarg_segment_align: 8
    .kernarg_segment_size: 392
    .language:       OpenCL C
    .language_version:
      - 2
      - 0
    .max_flat_workgroup_size: 1024
    .name:           _ZL30rocblas_trmm_outofplace_kernelI19rocblas_complex_numIfELi32ELi2ELb0ELb0ELb1ELb0EPKS1_S2_S1_Ev17rocblas_diagonal_iiT6_lPT7_lllS7_lllPT8_llli
    .private_segment_fixed_size: 0
    .sgpr_count:     46
    .sgpr_spill_count: 0
    .symbol:         _ZL30rocblas_trmm_outofplace_kernelI19rocblas_complex_numIfELi32ELi2ELb0ELb0ELb1ELb0EPKS1_S2_S1_Ev17rocblas_diagonal_iiT6_lPT7_lllS7_lllPT8_llli.kd
    .uniform_work_group_size: 1
    .uses_dynamic_stack: false
    .vgpr_count:     92
    .vgpr_spill_count: 0
    .wavefront_size: 32
    .workgroup_processor_mode: 1
  - .args:
      - .offset:         0
        .size:           4
        .value_kind:     by_value
      - .offset:         4
        .size:           4
        .value_kind:     by_value
      - .offset:         8
        .size:           4
        .value_kind:     by_value
      - .offset:         12
        .size:           8
        .value_kind:     by_value
      - .offset:         24
        .size:           8
        .value_kind:     by_value
      - .address_space:  global
        .offset:         32
        .size:           8
        .value_kind:     global_buffer
      - .offset:         40
        .size:           8
        .value_kind:     by_value
      - .offset:         48
        .size:           8
        .value_kind:     by_value
      - .offset:         56
        .size:           8
        .value_kind:     by_value
      - .address_space:  global
        .offset:         64
        .size:           8
        .value_kind:     global_buffer
      - .offset:         72
        .size:           8
        .value_kind:     by_value
      - .offset:         80
        .size:           8
        .value_kind:     by_value
      - .offset:         88
        .size:           8
        .value_kind:     by_value
      - .address_space:  global
        .offset:         96
        .size:           8
        .value_kind:     global_buffer
      - .offset:         104
        .size:           8
        .value_kind:     by_value
      - .offset:         112
        .size:           8
        .value_kind:     by_value
      - .offset:         120
        .size:           8
        .value_kind:     by_value
      - .offset:         128
        .size:           4
        .value_kind:     by_value
      - .offset:         136
        .size:           4
        .value_kind:     hidden_block_count_x
      - .offset:         140
        .size:           4
        .value_kind:     hidden_block_count_y
      - .offset:         144
        .size:           4
        .value_kind:     hidden_block_count_z
      - .offset:         148
        .size:           2
        .value_kind:     hidden_group_size_x
      - .offset:         150
        .size:           2
        .value_kind:     hidden_group_size_y
      - .offset:         152
        .size:           2
        .value_kind:     hidden_group_size_z
      - .offset:         154
        .size:           2
        .value_kind:     hidden_remainder_x
      - .offset:         156
        .size:           2
        .value_kind:     hidden_remainder_y
      - .offset:         158
        .size:           2
        .value_kind:     hidden_remainder_z
      - .offset:         176
        .size:           8
        .value_kind:     hidden_global_offset_x
      - .offset:         184
        .size:           8
        .value_kind:     hidden_global_offset_y
      - .offset:         192
        .size:           8
        .value_kind:     hidden_global_offset_z
      - .offset:         200
        .size:           2
        .value_kind:     hidden_grid_dims
    .group_segment_fixed_size: 16384
    .kernarg_segment_align: 8
    .kernarg_segment_size: 392
    .language:       OpenCL C
    .language_version:
      - 2
      - 0
    .max_flat_workgroup_size: 1024
    .name:           _ZL30rocblas_trmm_outofplace_kernelI19rocblas_complex_numIfELi32ELi2ELb0ELb0ELb1ELb0ES1_KS1_S1_Ev17rocblas_diagonal_iiT6_lPT7_lllS6_lllPT8_llli
    .private_segment_fixed_size: 0
    .sgpr_count:     48
    .sgpr_spill_count: 0
    .symbol:         _ZL30rocblas_trmm_outofplace_kernelI19rocblas_complex_numIfELi32ELi2ELb0ELb0ELb1ELb0ES1_KS1_S1_Ev17rocblas_diagonal_iiT6_lPT7_lllS6_lllPT8_llli.kd
    .uniform_work_group_size: 1
    .uses_dynamic_stack: false
    .vgpr_count:     92
    .vgpr_spill_count: 0
    .wavefront_size: 32
    .workgroup_processor_mode: 1
  - .args:
      - .offset:         0
        .size:           4
        .value_kind:     by_value
      - .offset:         4
        .size:           4
        .value_kind:     by_value
      - .offset:         8
        .size:           4
        .value_kind:     by_value
      - .address_space:  global
        .offset:         16
        .size:           8
        .value_kind:     global_buffer
      - .offset:         24
        .size:           8
        .value_kind:     by_value
      - .address_space:  global
        .offset:         32
        .size:           8
        .value_kind:     global_buffer
      - .offset:         40
        .size:           8
        .value_kind:     by_value
      - .offset:         48
        .size:           8
        .value_kind:     by_value
      - .offset:         56
        .size:           8
        .value_kind:     by_value
      - .address_space:  global
        .offset:         64
        .size:           8
        .value_kind:     global_buffer
      - .offset:         72
        .size:           8
        .value_kind:     by_value
      - .offset:         80
        .size:           8
        .value_kind:     by_value
      - .offset:         88
        .size:           8
        .value_kind:     by_value
      - .address_space:  global
        .offset:         96
        .size:           8
        .value_kind:     global_buffer
      - .offset:         104
        .size:           8
        .value_kind:     by_value
      - .offset:         112
        .size:           8
        .value_kind:     by_value
      - .offset:         120
        .size:           8
        .value_kind:     by_value
      - .offset:         128
        .size:           4
        .value_kind:     by_value
      - .offset:         136
        .size:           4
        .value_kind:     hidden_block_count_x
      - .offset:         140
        .size:           4
        .value_kind:     hidden_block_count_y
      - .offset:         144
        .size:           4
        .value_kind:     hidden_block_count_z
      - .offset:         148
        .size:           2
        .value_kind:     hidden_group_size_x
      - .offset:         150
        .size:           2
        .value_kind:     hidden_group_size_y
      - .offset:         152
        .size:           2
        .value_kind:     hidden_group_size_z
      - .offset:         154
        .size:           2
        .value_kind:     hidden_remainder_x
      - .offset:         156
        .size:           2
        .value_kind:     hidden_remainder_y
      - .offset:         158
        .size:           2
        .value_kind:     hidden_remainder_z
      - .offset:         176
        .size:           8
        .value_kind:     hidden_global_offset_x
      - .offset:         184
        .size:           8
        .value_kind:     hidden_global_offset_y
      - .offset:         192
        .size:           8
        .value_kind:     hidden_global_offset_z
      - .offset:         200
        .size:           2
        .value_kind:     hidden_grid_dims
    .group_segment_fixed_size: 16384
    .kernarg_segment_align: 8
    .kernarg_segment_size: 392
    .language:       OpenCL C
    .language_version:
      - 2
      - 0
    .max_flat_workgroup_size: 1024
    .name:           _ZL30rocblas_trmm_outofplace_kernelI19rocblas_complex_numIfELi32ELi2ELb0ELb1ELb1ELb0EPKS1_S2_S1_Ev17rocblas_diagonal_iiT6_lPT7_lllS7_lllPT8_llli
    .private_segment_fixed_size: 0
    .sgpr_count:     52
    .sgpr_spill_count: 0
    .symbol:         _ZL30rocblas_trmm_outofplace_kernelI19rocblas_complex_numIfELi32ELi2ELb0ELb1ELb1ELb0EPKS1_S2_S1_Ev17rocblas_diagonal_iiT6_lPT7_lllS7_lllPT8_llli.kd
    .uniform_work_group_size: 1
    .uses_dynamic_stack: false
    .vgpr_count:     88
    .vgpr_spill_count: 0
    .wavefront_size: 32
    .workgroup_processor_mode: 1
  - .args:
      - .offset:         0
        .size:           4
        .value_kind:     by_value
      - .offset:         4
        .size:           4
        .value_kind:     by_value
      - .offset:         8
        .size:           4
        .value_kind:     by_value
      - .offset:         12
        .size:           8
        .value_kind:     by_value
      - .offset:         24
        .size:           8
        .value_kind:     by_value
      - .address_space:  global
        .offset:         32
        .size:           8
        .value_kind:     global_buffer
      - .offset:         40
        .size:           8
        .value_kind:     by_value
      - .offset:         48
        .size:           8
        .value_kind:     by_value
      - .offset:         56
        .size:           8
        .value_kind:     by_value
      - .address_space:  global
        .offset:         64
        .size:           8
        .value_kind:     global_buffer
      - .offset:         72
        .size:           8
        .value_kind:     by_value
      - .offset:         80
        .size:           8
        .value_kind:     by_value
      - .offset:         88
        .size:           8
        .value_kind:     by_value
      - .address_space:  global
        .offset:         96
        .size:           8
        .value_kind:     global_buffer
      - .offset:         104
        .size:           8
        .value_kind:     by_value
      - .offset:         112
        .size:           8
        .value_kind:     by_value
      - .offset:         120
        .size:           8
        .value_kind:     by_value
      - .offset:         128
        .size:           4
        .value_kind:     by_value
      - .offset:         136
        .size:           4
        .value_kind:     hidden_block_count_x
      - .offset:         140
        .size:           4
        .value_kind:     hidden_block_count_y
      - .offset:         144
        .size:           4
        .value_kind:     hidden_block_count_z
      - .offset:         148
        .size:           2
        .value_kind:     hidden_group_size_x
      - .offset:         150
        .size:           2
        .value_kind:     hidden_group_size_y
      - .offset:         152
        .size:           2
        .value_kind:     hidden_group_size_z
      - .offset:         154
        .size:           2
        .value_kind:     hidden_remainder_x
      - .offset:         156
        .size:           2
        .value_kind:     hidden_remainder_y
      - .offset:         158
        .size:           2
        .value_kind:     hidden_remainder_z
      - .offset:         176
        .size:           8
        .value_kind:     hidden_global_offset_x
      - .offset:         184
        .size:           8
        .value_kind:     hidden_global_offset_y
      - .offset:         192
        .size:           8
        .value_kind:     hidden_global_offset_z
      - .offset:         200
        .size:           2
        .value_kind:     hidden_grid_dims
    .group_segment_fixed_size: 16384
    .kernarg_segment_align: 8
    .kernarg_segment_size: 392
    .language:       OpenCL C
    .language_version:
      - 2
      - 0
    .max_flat_workgroup_size: 1024
    .name:           _ZL30rocblas_trmm_outofplace_kernelI19rocblas_complex_numIfELi32ELi2ELb0ELb1ELb1ELb0ES1_KS1_S1_Ev17rocblas_diagonal_iiT6_lPT7_lllS6_lllPT8_llli
    .private_segment_fixed_size: 0
    .sgpr_count:     53
    .sgpr_spill_count: 0
    .symbol:         _ZL30rocblas_trmm_outofplace_kernelI19rocblas_complex_numIfELi32ELi2ELb0ELb1ELb1ELb0ES1_KS1_S1_Ev17rocblas_diagonal_iiT6_lPT7_lllS6_lllPT8_llli.kd
    .uniform_work_group_size: 1
    .uses_dynamic_stack: false
    .vgpr_count:     88
    .vgpr_spill_count: 0
    .wavefront_size: 32
    .workgroup_processor_mode: 1
  - .args:
      - .offset:         0
        .size:           4
        .value_kind:     by_value
      - .offset:         4
        .size:           4
        .value_kind:     by_value
      - .offset:         8
        .size:           4
        .value_kind:     by_value
      - .address_space:  global
        .offset:         16
        .size:           8
        .value_kind:     global_buffer
      - .offset:         24
        .size:           8
        .value_kind:     by_value
      - .address_space:  global
        .offset:         32
        .size:           8
        .value_kind:     global_buffer
      - .offset:         40
        .size:           8
        .value_kind:     by_value
      - .offset:         48
        .size:           8
        .value_kind:     by_value
      - .offset:         56
        .size:           8
        .value_kind:     by_value
      - .address_space:  global
        .offset:         64
        .size:           8
        .value_kind:     global_buffer
      - .offset:         72
        .size:           8
        .value_kind:     by_value
      - .offset:         80
        .size:           8
        .value_kind:     by_value
      - .offset:         88
        .size:           8
        .value_kind:     by_value
      - .address_space:  global
        .offset:         96
        .size:           8
        .value_kind:     global_buffer
      - .offset:         104
        .size:           8
        .value_kind:     by_value
      - .offset:         112
        .size:           8
        .value_kind:     by_value
      - .offset:         120
        .size:           8
        .value_kind:     by_value
      - .offset:         128
        .size:           4
        .value_kind:     by_value
      - .offset:         136
        .size:           4
        .value_kind:     hidden_block_count_x
      - .offset:         140
        .size:           4
        .value_kind:     hidden_block_count_y
      - .offset:         144
        .size:           4
        .value_kind:     hidden_block_count_z
      - .offset:         148
        .size:           2
        .value_kind:     hidden_group_size_x
      - .offset:         150
        .size:           2
        .value_kind:     hidden_group_size_y
      - .offset:         152
        .size:           2
        .value_kind:     hidden_group_size_z
      - .offset:         154
        .size:           2
        .value_kind:     hidden_remainder_x
      - .offset:         156
        .size:           2
        .value_kind:     hidden_remainder_y
      - .offset:         158
        .size:           2
        .value_kind:     hidden_remainder_z
      - .offset:         176
        .size:           8
        .value_kind:     hidden_global_offset_x
      - .offset:         184
        .size:           8
        .value_kind:     hidden_global_offset_y
      - .offset:         192
        .size:           8
        .value_kind:     hidden_global_offset_z
      - .offset:         200
        .size:           2
        .value_kind:     hidden_grid_dims
    .group_segment_fixed_size: 16384
    .kernarg_segment_align: 8
    .kernarg_segment_size: 392
    .language:       OpenCL C
    .language_version:
      - 2
      - 0
    .max_flat_workgroup_size: 1024
    .name:           _ZL30rocblas_trmm_outofplace_kernelI19rocblas_complex_numIfELi32ELi2ELb0ELb0ELb1ELb1EPKS1_S2_S1_Ev17rocblas_diagonal_iiT6_lPT7_lllS7_lllPT8_llli
    .private_segment_fixed_size: 0
    .sgpr_count:     46
    .sgpr_spill_count: 0
    .symbol:         _ZL30rocblas_trmm_outofplace_kernelI19rocblas_complex_numIfELi32ELi2ELb0ELb0ELb1ELb1EPKS1_S2_S1_Ev17rocblas_diagonal_iiT6_lPT7_lllS7_lllPT8_llli.kd
    .uniform_work_group_size: 1
    .uses_dynamic_stack: false
    .vgpr_count:     77
    .vgpr_spill_count: 0
    .wavefront_size: 32
    .workgroup_processor_mode: 1
  - .args:
      - .offset:         0
        .size:           4
        .value_kind:     by_value
      - .offset:         4
        .size:           4
        .value_kind:     by_value
      - .offset:         8
        .size:           4
        .value_kind:     by_value
      - .offset:         12
        .size:           8
        .value_kind:     by_value
      - .offset:         24
        .size:           8
        .value_kind:     by_value
      - .address_space:  global
        .offset:         32
        .size:           8
        .value_kind:     global_buffer
      - .offset:         40
        .size:           8
        .value_kind:     by_value
      - .offset:         48
        .size:           8
        .value_kind:     by_value
      - .offset:         56
        .size:           8
        .value_kind:     by_value
      - .address_space:  global
        .offset:         64
        .size:           8
        .value_kind:     global_buffer
      - .offset:         72
        .size:           8
        .value_kind:     by_value
      - .offset:         80
        .size:           8
        .value_kind:     by_value
      - .offset:         88
        .size:           8
        .value_kind:     by_value
      - .address_space:  global
        .offset:         96
        .size:           8
        .value_kind:     global_buffer
      - .offset:         104
        .size:           8
        .value_kind:     by_value
      - .offset:         112
        .size:           8
        .value_kind:     by_value
      - .offset:         120
        .size:           8
        .value_kind:     by_value
      - .offset:         128
        .size:           4
        .value_kind:     by_value
      - .offset:         136
        .size:           4
        .value_kind:     hidden_block_count_x
      - .offset:         140
        .size:           4
        .value_kind:     hidden_block_count_y
      - .offset:         144
        .size:           4
        .value_kind:     hidden_block_count_z
      - .offset:         148
        .size:           2
        .value_kind:     hidden_group_size_x
      - .offset:         150
        .size:           2
        .value_kind:     hidden_group_size_y
      - .offset:         152
        .size:           2
        .value_kind:     hidden_group_size_z
      - .offset:         154
        .size:           2
        .value_kind:     hidden_remainder_x
      - .offset:         156
        .size:           2
        .value_kind:     hidden_remainder_y
      - .offset:         158
        .size:           2
        .value_kind:     hidden_remainder_z
      - .offset:         176
        .size:           8
        .value_kind:     hidden_global_offset_x
      - .offset:         184
        .size:           8
        .value_kind:     hidden_global_offset_y
      - .offset:         192
        .size:           8
        .value_kind:     hidden_global_offset_z
      - .offset:         200
        .size:           2
        .value_kind:     hidden_grid_dims
    .group_segment_fixed_size: 16384
    .kernarg_segment_align: 8
    .kernarg_segment_size: 392
    .language:       OpenCL C
    .language_version:
      - 2
      - 0
    .max_flat_workgroup_size: 1024
    .name:           _ZL30rocblas_trmm_outofplace_kernelI19rocblas_complex_numIfELi32ELi2ELb0ELb0ELb1ELb1ES1_KS1_S1_Ev17rocblas_diagonal_iiT6_lPT7_lllS6_lllPT8_llli
    .private_segment_fixed_size: 0
    .sgpr_count:     48
    .sgpr_spill_count: 0
    .symbol:         _ZL30rocblas_trmm_outofplace_kernelI19rocblas_complex_numIfELi32ELi2ELb0ELb0ELb1ELb1ES1_KS1_S1_Ev17rocblas_diagonal_iiT6_lPT7_lllS6_lllPT8_llli.kd
    .uniform_work_group_size: 1
    .uses_dynamic_stack: false
    .vgpr_count:     77
    .vgpr_spill_count: 0
    .wavefront_size: 32
    .workgroup_processor_mode: 1
  - .args:
      - .offset:         0
        .size:           4
        .value_kind:     by_value
      - .offset:         4
        .size:           4
        .value_kind:     by_value
      - .offset:         8
        .size:           4
        .value_kind:     by_value
      - .address_space:  global
        .offset:         16
        .size:           8
        .value_kind:     global_buffer
      - .offset:         24
        .size:           8
        .value_kind:     by_value
      - .address_space:  global
        .offset:         32
        .size:           8
        .value_kind:     global_buffer
      - .offset:         40
        .size:           8
        .value_kind:     by_value
      - .offset:         48
        .size:           8
        .value_kind:     by_value
      - .offset:         56
        .size:           8
        .value_kind:     by_value
      - .address_space:  global
        .offset:         64
        .size:           8
        .value_kind:     global_buffer
      - .offset:         72
        .size:           8
        .value_kind:     by_value
      - .offset:         80
        .size:           8
        .value_kind:     by_value
      - .offset:         88
        .size:           8
        .value_kind:     by_value
      - .address_space:  global
        .offset:         96
        .size:           8
        .value_kind:     global_buffer
      - .offset:         104
        .size:           8
        .value_kind:     by_value
      - .offset:         112
        .size:           8
        .value_kind:     by_value
      - .offset:         120
        .size:           8
        .value_kind:     by_value
      - .offset:         128
        .size:           4
        .value_kind:     by_value
      - .offset:         136
        .size:           4
        .value_kind:     hidden_block_count_x
      - .offset:         140
        .size:           4
        .value_kind:     hidden_block_count_y
      - .offset:         144
        .size:           4
        .value_kind:     hidden_block_count_z
      - .offset:         148
        .size:           2
        .value_kind:     hidden_group_size_x
      - .offset:         150
        .size:           2
        .value_kind:     hidden_group_size_y
      - .offset:         152
        .size:           2
        .value_kind:     hidden_group_size_z
      - .offset:         154
        .size:           2
        .value_kind:     hidden_remainder_x
      - .offset:         156
        .size:           2
        .value_kind:     hidden_remainder_y
      - .offset:         158
        .size:           2
        .value_kind:     hidden_remainder_z
      - .offset:         176
        .size:           8
        .value_kind:     hidden_global_offset_x
      - .offset:         184
        .size:           8
        .value_kind:     hidden_global_offset_y
      - .offset:         192
        .size:           8
        .value_kind:     hidden_global_offset_z
      - .offset:         200
        .size:           2
        .value_kind:     hidden_grid_dims
    .group_segment_fixed_size: 16384
    .kernarg_segment_align: 8
    .kernarg_segment_size: 392
    .language:       OpenCL C
    .language_version:
      - 2
      - 0
    .max_flat_workgroup_size: 1024
    .name:           _ZL30rocblas_trmm_outofplace_kernelI19rocblas_complex_numIfELi32ELi2ELb0ELb1ELb1ELb1EPKS1_S2_S1_Ev17rocblas_diagonal_iiT6_lPT7_lllS7_lllPT8_llli
    .private_segment_fixed_size: 0
    .sgpr_count:     52
    .sgpr_spill_count: 0
    .symbol:         _ZL30rocblas_trmm_outofplace_kernelI19rocblas_complex_numIfELi32ELi2ELb0ELb1ELb1ELb1EPKS1_S2_S1_Ev17rocblas_diagonal_iiT6_lPT7_lllS7_lllPT8_llli.kd
    .uniform_work_group_size: 1
    .uses_dynamic_stack: false
    .vgpr_count:     73
    .vgpr_spill_count: 0
    .wavefront_size: 32
    .workgroup_processor_mode: 1
  - .args:
      - .offset:         0
        .size:           4
        .value_kind:     by_value
      - .offset:         4
        .size:           4
        .value_kind:     by_value
      - .offset:         8
        .size:           4
        .value_kind:     by_value
      - .offset:         12
        .size:           8
        .value_kind:     by_value
      - .offset:         24
        .size:           8
        .value_kind:     by_value
      - .address_space:  global
        .offset:         32
        .size:           8
        .value_kind:     global_buffer
      - .offset:         40
        .size:           8
        .value_kind:     by_value
      - .offset:         48
        .size:           8
        .value_kind:     by_value
      - .offset:         56
        .size:           8
        .value_kind:     by_value
      - .address_space:  global
        .offset:         64
        .size:           8
        .value_kind:     global_buffer
      - .offset:         72
        .size:           8
        .value_kind:     by_value
      - .offset:         80
        .size:           8
        .value_kind:     by_value
      - .offset:         88
        .size:           8
        .value_kind:     by_value
      - .address_space:  global
        .offset:         96
        .size:           8
        .value_kind:     global_buffer
      - .offset:         104
        .size:           8
        .value_kind:     by_value
      - .offset:         112
        .size:           8
        .value_kind:     by_value
      - .offset:         120
        .size:           8
        .value_kind:     by_value
      - .offset:         128
        .size:           4
        .value_kind:     by_value
      - .offset:         136
        .size:           4
        .value_kind:     hidden_block_count_x
      - .offset:         140
        .size:           4
        .value_kind:     hidden_block_count_y
      - .offset:         144
        .size:           4
        .value_kind:     hidden_block_count_z
      - .offset:         148
        .size:           2
        .value_kind:     hidden_group_size_x
      - .offset:         150
        .size:           2
        .value_kind:     hidden_group_size_y
      - .offset:         152
        .size:           2
        .value_kind:     hidden_group_size_z
      - .offset:         154
        .size:           2
        .value_kind:     hidden_remainder_x
      - .offset:         156
        .size:           2
        .value_kind:     hidden_remainder_y
      - .offset:         158
        .size:           2
        .value_kind:     hidden_remainder_z
      - .offset:         176
        .size:           8
        .value_kind:     hidden_global_offset_x
      - .offset:         184
        .size:           8
        .value_kind:     hidden_global_offset_y
      - .offset:         192
        .size:           8
        .value_kind:     hidden_global_offset_z
      - .offset:         200
        .size:           2
        .value_kind:     hidden_grid_dims
    .group_segment_fixed_size: 16384
    .kernarg_segment_align: 8
    .kernarg_segment_size: 392
    .language:       OpenCL C
    .language_version:
      - 2
      - 0
    .max_flat_workgroup_size: 1024
    .name:           _ZL30rocblas_trmm_outofplace_kernelI19rocblas_complex_numIfELi32ELi2ELb0ELb1ELb1ELb1ES1_KS1_S1_Ev17rocblas_diagonal_iiT6_lPT7_lllS6_lllPT8_llli
    .private_segment_fixed_size: 0
    .sgpr_count:     53
    .sgpr_spill_count: 0
    .symbol:         _ZL30rocblas_trmm_outofplace_kernelI19rocblas_complex_numIfELi32ELi2ELb0ELb1ELb1ELb1ES1_KS1_S1_Ev17rocblas_diagonal_iiT6_lPT7_lllS6_lllPT8_llli.kd
    .uniform_work_group_size: 1
    .uses_dynamic_stack: false
    .vgpr_count:     73
    .vgpr_spill_count: 0
    .wavefront_size: 32
    .workgroup_processor_mode: 1
  - .args:
      - .offset:         0
        .size:           4
        .value_kind:     by_value
      - .offset:         4
        .size:           4
        .value_kind:     by_value
      - .offset:         8
        .size:           4
        .value_kind:     by_value
      - .offset:         12
        .size:           4
        .value_kind:     by_value
      - .address_space:  global
        .offset:         16
        .size:           8
        .value_kind:     global_buffer
      - .offset:         24
        .size:           8
        .value_kind:     by_value
      - .address_space:  global
        .offset:         32
        .size:           8
        .value_kind:     global_buffer
      - .offset:         40
        .size:           8
        .value_kind:     by_value
      - .offset:         48
        .size:           8
        .value_kind:     by_value
      - .address_space:  global
        .offset:         56
        .size:           8
        .value_kind:     global_buffer
      - .offset:         64
        .size:           8
        .value_kind:     by_value
      - .offset:         72
        .size:           8
        .value_kind:     by_value
      - .address_space:  global
        .offset:         80
        .size:           8
        .value_kind:     global_buffer
      - .offset:         88
        .size:           8
        .value_kind:     by_value
      - .offset:         96
        .size:           8
        .value_kind:     by_value
      - .offset:         104
        .size:           4
        .value_kind:     by_value
    .group_segment_fixed_size: 4096
    .kernarg_segment_align: 8
    .kernarg_segment_size: 108
    .language:       OpenCL C
    .language_version:
      - 2
      - 0
    .max_flat_workgroup_size: 256
    .name:           _ZL23rocblas_trmm_lNx_kernelILi16E19rocblas_complex_numIfEPKS1_S2_S1_Ev13rocblas_fill_17rocblas_diagonal_iiT1_lPT2_llS8_llPT3_lli
    .private_segment_fixed_size: 0
    .sgpr_count:     28
    .sgpr_spill_count: 0
    .symbol:         _ZL23rocblas_trmm_lNx_kernelILi16E19rocblas_complex_numIfEPKS1_S2_S1_Ev13rocblas_fill_17rocblas_diagonal_iiT1_lPT2_llS8_llPT3_lli.kd
    .uniform_work_group_size: 1
    .uses_dynamic_stack: false
    .vgpr_count:     60
    .vgpr_spill_count: 0
    .wavefront_size: 32
    .workgroup_processor_mode: 1
  - .args:
      - .offset:         0
        .size:           4
        .value_kind:     by_value
      - .offset:         4
        .size:           4
        .value_kind:     by_value
      - .offset:         8
        .size:           4
        .value_kind:     by_value
      - .offset:         12
        .size:           4
        .value_kind:     by_value
      - .offset:         16
        .size:           8
        .value_kind:     by_value
      - .offset:         24
        .size:           8
        .value_kind:     by_value
      - .address_space:  global
        .offset:         32
        .size:           8
        .value_kind:     global_buffer
      - .offset:         40
        .size:           8
        .value_kind:     by_value
      - .offset:         48
        .size:           8
        .value_kind:     by_value
      - .address_space:  global
        .offset:         56
        .size:           8
        .value_kind:     global_buffer
      - .offset:         64
        .size:           8
        .value_kind:     by_value
      - .offset:         72
        .size:           8
        .value_kind:     by_value
      - .address_space:  global
        .offset:         80
        .size:           8
        .value_kind:     global_buffer
      - .offset:         88
        .size:           8
        .value_kind:     by_value
      - .offset:         96
        .size:           8
        .value_kind:     by_value
      - .offset:         104
        .size:           4
        .value_kind:     by_value
    .group_segment_fixed_size: 4096
    .kernarg_segment_align: 8
    .kernarg_segment_size: 108
    .language:       OpenCL C
    .language_version:
      - 2
      - 0
    .max_flat_workgroup_size: 256
    .name:           _ZL23rocblas_trmm_lNx_kernelILi16E19rocblas_complex_numIfES1_KS1_S1_Ev13rocblas_fill_17rocblas_diagonal_iiT1_lPT2_llS7_llPT3_lli
    .private_segment_fixed_size: 0
    .sgpr_count:     32
    .sgpr_spill_count: 0
    .symbol:         _ZL23rocblas_trmm_lNx_kernelILi16E19rocblas_complex_numIfES1_KS1_S1_Ev13rocblas_fill_17rocblas_diagonal_iiT1_lPT2_llS7_llPT3_lli.kd
    .uniform_work_group_size: 1
    .uses_dynamic_stack: false
    .vgpr_count:     60
    .vgpr_spill_count: 0
    .wavefront_size: 32
    .workgroup_processor_mode: 1
  - .args:
      - .offset:         0
        .size:           4
        .value_kind:     by_value
      - .offset:         4
        .size:           4
        .value_kind:     by_value
      - .offset:         8
        .size:           4
        .value_kind:     by_value
      - .offset:         12
        .size:           4
        .value_kind:     by_value
      - .address_space:  global
        .offset:         16
        .size:           8
        .value_kind:     global_buffer
      - .offset:         24
        .size:           8
        .value_kind:     by_value
      - .address_space:  global
        .offset:         32
        .size:           8
        .value_kind:     global_buffer
      - .offset:         40
        .size:           8
        .value_kind:     by_value
      - .offset:         48
        .size:           8
        .value_kind:     by_value
      - .address_space:  global
        .offset:         56
        .size:           8
        .value_kind:     global_buffer
      - .offset:         64
        .size:           8
        .value_kind:     by_value
      - .offset:         72
        .size:           8
        .value_kind:     by_value
      - .address_space:  global
        .offset:         80
        .size:           8
        .value_kind:     global_buffer
      - .offset:         88
        .size:           8
        .value_kind:     by_value
      - .offset:         96
        .size:           8
        .value_kind:     by_value
      - .offset:         104
        .size:           4
        .value_kind:     by_value
    .group_segment_fixed_size: 4096
    .kernarg_segment_align: 8
    .kernarg_segment_size: 108
    .language:       OpenCL C
    .language_version:
      - 2
      - 0
    .max_flat_workgroup_size: 256
    .name:           _ZL23rocblas_trmm_lTx_kernelILi16ELb0E19rocblas_complex_numIfEPKS1_S2_S1_Ev13rocblas_fill_17rocblas_diagonal_iiT2_lPT3_llS8_llPT4_lli
    .private_segment_fixed_size: 0
    .sgpr_count:     28
    .sgpr_spill_count: 0
    .symbol:         _ZL23rocblas_trmm_lTx_kernelILi16ELb0E19rocblas_complex_numIfEPKS1_S2_S1_Ev13rocblas_fill_17rocblas_diagonal_iiT2_lPT3_llS8_llPT4_lli.kd
    .uniform_work_group_size: 1
    .uses_dynamic_stack: false
    .vgpr_count:     60
    .vgpr_spill_count: 0
    .wavefront_size: 32
    .workgroup_processor_mode: 1
  - .args:
      - .offset:         0
        .size:           4
        .value_kind:     by_value
      - .offset:         4
        .size:           4
        .value_kind:     by_value
      - .offset:         8
        .size:           4
        .value_kind:     by_value
      - .offset:         12
        .size:           4
        .value_kind:     by_value
      - .offset:         16
        .size:           8
        .value_kind:     by_value
      - .offset:         24
        .size:           8
        .value_kind:     by_value
      - .address_space:  global
        .offset:         32
        .size:           8
        .value_kind:     global_buffer
      - .offset:         40
        .size:           8
        .value_kind:     by_value
      - .offset:         48
        .size:           8
        .value_kind:     by_value
      - .address_space:  global
        .offset:         56
        .size:           8
        .value_kind:     global_buffer
      - .offset:         64
        .size:           8
        .value_kind:     by_value
      - .offset:         72
        .size:           8
        .value_kind:     by_value
      - .address_space:  global
        .offset:         80
        .size:           8
        .value_kind:     global_buffer
      - .offset:         88
        .size:           8
        .value_kind:     by_value
      - .offset:         96
        .size:           8
        .value_kind:     by_value
      - .offset:         104
        .size:           4
        .value_kind:     by_value
    .group_segment_fixed_size: 4096
    .kernarg_segment_align: 8
    .kernarg_segment_size: 108
    .language:       OpenCL C
    .language_version:
      - 2
      - 0
    .max_flat_workgroup_size: 256
    .name:           _ZL23rocblas_trmm_lTx_kernelILi16ELb0E19rocblas_complex_numIfES1_KS1_S1_Ev13rocblas_fill_17rocblas_diagonal_iiT2_lPT3_llS7_llPT4_lli
    .private_segment_fixed_size: 0
    .sgpr_count:     30
    .sgpr_spill_count: 0
    .symbol:         _ZL23rocblas_trmm_lTx_kernelILi16ELb0E19rocblas_complex_numIfES1_KS1_S1_Ev13rocblas_fill_17rocblas_diagonal_iiT2_lPT3_llS7_llPT4_lli.kd
    .uniform_work_group_size: 1
    .uses_dynamic_stack: false
    .vgpr_count:     60
    .vgpr_spill_count: 0
    .wavefront_size: 32
    .workgroup_processor_mode: 1
  - .args:
      - .offset:         0
        .size:           4
        .value_kind:     by_value
      - .offset:         4
        .size:           4
        .value_kind:     by_value
      - .offset:         8
        .size:           4
        .value_kind:     by_value
      - .offset:         12
        .size:           4
        .value_kind:     by_value
      - .address_space:  global
        .offset:         16
        .size:           8
        .value_kind:     global_buffer
      - .offset:         24
        .size:           8
        .value_kind:     by_value
      - .address_space:  global
        .offset:         32
        .size:           8
        .value_kind:     global_buffer
      - .offset:         40
        .size:           8
        .value_kind:     by_value
      - .offset:         48
        .size:           8
        .value_kind:     by_value
      - .address_space:  global
        .offset:         56
        .size:           8
        .value_kind:     global_buffer
      - .offset:         64
        .size:           8
        .value_kind:     by_value
      - .offset:         72
        .size:           8
        .value_kind:     by_value
      - .address_space:  global
        .offset:         80
        .size:           8
        .value_kind:     global_buffer
      - .offset:         88
        .size:           8
        .value_kind:     by_value
      - .offset:         96
        .size:           8
        .value_kind:     by_value
      - .offset:         104
        .size:           4
        .value_kind:     by_value
    .group_segment_fixed_size: 4096
    .kernarg_segment_align: 8
    .kernarg_segment_size: 108
    .language:       OpenCL C
    .language_version:
      - 2
      - 0
    .max_flat_workgroup_size: 256
    .name:           _ZL23rocblas_trmm_lTx_kernelILi16ELb1E19rocblas_complex_numIfEPKS1_S2_S1_Ev13rocblas_fill_17rocblas_diagonal_iiT2_lPT3_llS8_llPT4_lli
    .private_segment_fixed_size: 0
    .sgpr_count:     28
    .sgpr_spill_count: 0
    .symbol:         _ZL23rocblas_trmm_lTx_kernelILi16ELb1E19rocblas_complex_numIfEPKS1_S2_S1_Ev13rocblas_fill_17rocblas_diagonal_iiT2_lPT3_llS8_llPT4_lli.kd
    .uniform_work_group_size: 1
    .uses_dynamic_stack: false
    .vgpr_count:     60
    .vgpr_spill_count: 0
    .wavefront_size: 32
    .workgroup_processor_mode: 1
  - .args:
      - .offset:         0
        .size:           4
        .value_kind:     by_value
      - .offset:         4
        .size:           4
        .value_kind:     by_value
      - .offset:         8
        .size:           4
        .value_kind:     by_value
      - .offset:         12
        .size:           4
        .value_kind:     by_value
      - .offset:         16
        .size:           8
        .value_kind:     by_value
      - .offset:         24
        .size:           8
        .value_kind:     by_value
      - .address_space:  global
        .offset:         32
        .size:           8
        .value_kind:     global_buffer
      - .offset:         40
        .size:           8
        .value_kind:     by_value
      - .offset:         48
        .size:           8
        .value_kind:     by_value
      - .address_space:  global
        .offset:         56
        .size:           8
        .value_kind:     global_buffer
      - .offset:         64
        .size:           8
        .value_kind:     by_value
      - .offset:         72
        .size:           8
        .value_kind:     by_value
      - .address_space:  global
        .offset:         80
        .size:           8
        .value_kind:     global_buffer
      - .offset:         88
        .size:           8
        .value_kind:     by_value
      - .offset:         96
        .size:           8
        .value_kind:     by_value
      - .offset:         104
        .size:           4
        .value_kind:     by_value
    .group_segment_fixed_size: 4096
    .kernarg_segment_align: 8
    .kernarg_segment_size: 108
    .language:       OpenCL C
    .language_version:
      - 2
      - 0
    .max_flat_workgroup_size: 256
    .name:           _ZL23rocblas_trmm_lTx_kernelILi16ELb1E19rocblas_complex_numIfES1_KS1_S1_Ev13rocblas_fill_17rocblas_diagonal_iiT2_lPT3_llS7_llPT4_lli
    .private_segment_fixed_size: 0
    .sgpr_count:     30
    .sgpr_spill_count: 0
    .symbol:         _ZL23rocblas_trmm_lTx_kernelILi16ELb1E19rocblas_complex_numIfES1_KS1_S1_Ev13rocblas_fill_17rocblas_diagonal_iiT2_lPT3_llS7_llPT4_lli.kd
    .uniform_work_group_size: 1
    .uses_dynamic_stack: false
    .vgpr_count:     60
    .vgpr_spill_count: 0
    .wavefront_size: 32
    .workgroup_processor_mode: 1
  - .args:
      - .offset:         0
        .size:           4
        .value_kind:     by_value
      - .offset:         4
        .size:           4
        .value_kind:     by_value
      - .offset:         8
        .size:           4
        .value_kind:     by_value
      - .offset:         12
        .size:           4
        .value_kind:     by_value
      - .address_space:  global
        .offset:         16
        .size:           8
        .value_kind:     global_buffer
      - .offset:         24
        .size:           8
        .value_kind:     by_value
      - .address_space:  global
        .offset:         32
        .size:           8
        .value_kind:     global_buffer
      - .offset:         40
        .size:           8
        .value_kind:     by_value
      - .offset:         48
        .size:           8
        .value_kind:     by_value
      - .address_space:  global
        .offset:         56
        .size:           8
        .value_kind:     global_buffer
      - .offset:         64
        .size:           8
        .value_kind:     by_value
      - .offset:         72
        .size:           8
        .value_kind:     by_value
      - .address_space:  global
        .offset:         80
        .size:           8
        .value_kind:     global_buffer
      - .offset:         88
        .size:           8
        .value_kind:     by_value
      - .offset:         96
        .size:           8
        .value_kind:     by_value
      - .offset:         104
        .size:           4
        .value_kind:     by_value
    .group_segment_fixed_size: 4096
    .kernarg_segment_align: 8
    .kernarg_segment_size: 108
    .language:       OpenCL C
    .language_version:
      - 2
      - 0
    .max_flat_workgroup_size: 256
    .name:           _ZL23rocblas_trmm_rNx_kernelILi16E19rocblas_complex_numIfEPKS1_S2_S1_Ev13rocblas_fill_17rocblas_diagonal_iiT1_lPT2_llS8_llPT3_lli
    .private_segment_fixed_size: 0
    .sgpr_count:     28
    .sgpr_spill_count: 0
    .symbol:         _ZL23rocblas_trmm_rNx_kernelILi16E19rocblas_complex_numIfEPKS1_S2_S1_Ev13rocblas_fill_17rocblas_diagonal_iiT1_lPT2_llS8_llPT3_lli.kd
    .uniform_work_group_size: 1
    .uses_dynamic_stack: false
    .vgpr_count:     60
    .vgpr_spill_count: 0
    .wavefront_size: 32
    .workgroup_processor_mode: 1
  - .args:
      - .offset:         0
        .size:           4
        .value_kind:     by_value
      - .offset:         4
        .size:           4
        .value_kind:     by_value
      - .offset:         8
        .size:           4
        .value_kind:     by_value
      - .offset:         12
        .size:           4
        .value_kind:     by_value
      - .offset:         16
        .size:           8
        .value_kind:     by_value
      - .offset:         24
        .size:           8
        .value_kind:     by_value
      - .address_space:  global
        .offset:         32
        .size:           8
        .value_kind:     global_buffer
      - .offset:         40
        .size:           8
        .value_kind:     by_value
      - .offset:         48
        .size:           8
        .value_kind:     by_value
      - .address_space:  global
        .offset:         56
        .size:           8
        .value_kind:     global_buffer
      - .offset:         64
        .size:           8
        .value_kind:     by_value
      - .offset:         72
        .size:           8
        .value_kind:     by_value
      - .address_space:  global
        .offset:         80
        .size:           8
        .value_kind:     global_buffer
      - .offset:         88
        .size:           8
        .value_kind:     by_value
      - .offset:         96
        .size:           8
        .value_kind:     by_value
      - .offset:         104
        .size:           4
        .value_kind:     by_value
    .group_segment_fixed_size: 4096
    .kernarg_segment_align: 8
    .kernarg_segment_size: 108
    .language:       OpenCL C
    .language_version:
      - 2
      - 0
    .max_flat_workgroup_size: 256
    .name:           _ZL23rocblas_trmm_rNx_kernelILi16E19rocblas_complex_numIfES1_KS1_S1_Ev13rocblas_fill_17rocblas_diagonal_iiT1_lPT2_llS7_llPT3_lli
    .private_segment_fixed_size: 0
    .sgpr_count:     32
    .sgpr_spill_count: 0
    .symbol:         _ZL23rocblas_trmm_rNx_kernelILi16E19rocblas_complex_numIfES1_KS1_S1_Ev13rocblas_fill_17rocblas_diagonal_iiT1_lPT2_llS7_llPT3_lli.kd
    .uniform_work_group_size: 1
    .uses_dynamic_stack: false
    .vgpr_count:     60
    .vgpr_spill_count: 0
    .wavefront_size: 32
    .workgroup_processor_mode: 1
  - .args:
      - .offset:         0
        .size:           4
        .value_kind:     by_value
      - .offset:         4
        .size:           4
        .value_kind:     by_value
      - .offset:         8
        .size:           4
        .value_kind:     by_value
      - .offset:         12
        .size:           4
        .value_kind:     by_value
      - .address_space:  global
        .offset:         16
        .size:           8
        .value_kind:     global_buffer
      - .offset:         24
        .size:           8
        .value_kind:     by_value
      - .address_space:  global
        .offset:         32
        .size:           8
        .value_kind:     global_buffer
      - .offset:         40
        .size:           8
        .value_kind:     by_value
      - .offset:         48
        .size:           8
        .value_kind:     by_value
      - .address_space:  global
        .offset:         56
        .size:           8
        .value_kind:     global_buffer
      - .offset:         64
        .size:           8
        .value_kind:     by_value
      - .offset:         72
        .size:           8
        .value_kind:     by_value
      - .address_space:  global
        .offset:         80
        .size:           8
        .value_kind:     global_buffer
      - .offset:         88
        .size:           8
        .value_kind:     by_value
      - .offset:         96
        .size:           8
        .value_kind:     by_value
      - .offset:         104
        .size:           4
        .value_kind:     by_value
    .group_segment_fixed_size: 4096
    .kernarg_segment_align: 8
    .kernarg_segment_size: 108
    .language:       OpenCL C
    .language_version:
      - 2
      - 0
    .max_flat_workgroup_size: 256
    .name:           _ZL23rocblas_trmm_rTx_kernelILi16ELb0E19rocblas_complex_numIfEPKS1_S2_S1_Ev13rocblas_fill_17rocblas_diagonal_iiT2_lPT3_llS8_llPT4_lli
    .private_segment_fixed_size: 0
    .sgpr_count:     28
    .sgpr_spill_count: 0
    .symbol:         _ZL23rocblas_trmm_rTx_kernelILi16ELb0E19rocblas_complex_numIfEPKS1_S2_S1_Ev13rocblas_fill_17rocblas_diagonal_iiT2_lPT3_llS8_llPT4_lli.kd
    .uniform_work_group_size: 1
    .uses_dynamic_stack: false
    .vgpr_count:     62
    .vgpr_spill_count: 0
    .wavefront_size: 32
    .workgroup_processor_mode: 1
  - .args:
      - .offset:         0
        .size:           4
        .value_kind:     by_value
      - .offset:         4
        .size:           4
        .value_kind:     by_value
      - .offset:         8
        .size:           4
        .value_kind:     by_value
      - .offset:         12
        .size:           4
        .value_kind:     by_value
      - .offset:         16
        .size:           8
        .value_kind:     by_value
      - .offset:         24
        .size:           8
        .value_kind:     by_value
      - .address_space:  global
        .offset:         32
        .size:           8
        .value_kind:     global_buffer
      - .offset:         40
        .size:           8
        .value_kind:     by_value
      - .offset:         48
        .size:           8
        .value_kind:     by_value
      - .address_space:  global
        .offset:         56
        .size:           8
        .value_kind:     global_buffer
      - .offset:         64
        .size:           8
        .value_kind:     by_value
      - .offset:         72
        .size:           8
        .value_kind:     by_value
      - .address_space:  global
        .offset:         80
        .size:           8
        .value_kind:     global_buffer
      - .offset:         88
        .size:           8
        .value_kind:     by_value
      - .offset:         96
        .size:           8
        .value_kind:     by_value
      - .offset:         104
        .size:           4
        .value_kind:     by_value
    .group_segment_fixed_size: 4096
    .kernarg_segment_align: 8
    .kernarg_segment_size: 108
    .language:       OpenCL C
    .language_version:
      - 2
      - 0
    .max_flat_workgroup_size: 256
    .name:           _ZL23rocblas_trmm_rTx_kernelILi16ELb0E19rocblas_complex_numIfES1_KS1_S1_Ev13rocblas_fill_17rocblas_diagonal_iiT2_lPT3_llS7_llPT4_lli
    .private_segment_fixed_size: 0
    .sgpr_count:     32
    .sgpr_spill_count: 0
    .symbol:         _ZL23rocblas_trmm_rTx_kernelILi16ELb0E19rocblas_complex_numIfES1_KS1_S1_Ev13rocblas_fill_17rocblas_diagonal_iiT2_lPT3_llS7_llPT4_lli.kd
    .uniform_work_group_size: 1
    .uses_dynamic_stack: false
    .vgpr_count:     62
    .vgpr_spill_count: 0
    .wavefront_size: 32
    .workgroup_processor_mode: 1
  - .args:
      - .offset:         0
        .size:           4
        .value_kind:     by_value
      - .offset:         4
        .size:           4
        .value_kind:     by_value
      - .offset:         8
        .size:           4
        .value_kind:     by_value
      - .offset:         12
        .size:           4
        .value_kind:     by_value
      - .address_space:  global
        .offset:         16
        .size:           8
        .value_kind:     global_buffer
      - .offset:         24
        .size:           8
        .value_kind:     by_value
      - .address_space:  global
        .offset:         32
        .size:           8
        .value_kind:     global_buffer
      - .offset:         40
        .size:           8
        .value_kind:     by_value
      - .offset:         48
        .size:           8
        .value_kind:     by_value
      - .address_space:  global
        .offset:         56
        .size:           8
        .value_kind:     global_buffer
      - .offset:         64
        .size:           8
        .value_kind:     by_value
      - .offset:         72
        .size:           8
        .value_kind:     by_value
      - .address_space:  global
        .offset:         80
        .size:           8
        .value_kind:     global_buffer
      - .offset:         88
        .size:           8
        .value_kind:     by_value
      - .offset:         96
        .size:           8
        .value_kind:     by_value
      - .offset:         104
        .size:           4
        .value_kind:     by_value
    .group_segment_fixed_size: 4096
    .kernarg_segment_align: 8
    .kernarg_segment_size: 108
    .language:       OpenCL C
    .language_version:
      - 2
      - 0
    .max_flat_workgroup_size: 256
    .name:           _ZL23rocblas_trmm_rTx_kernelILi16ELb1E19rocblas_complex_numIfEPKS1_S2_S1_Ev13rocblas_fill_17rocblas_diagonal_iiT2_lPT3_llS8_llPT4_lli
    .private_segment_fixed_size: 0
    .sgpr_count:     28
    .sgpr_spill_count: 0
    .symbol:         _ZL23rocblas_trmm_rTx_kernelILi16ELb1E19rocblas_complex_numIfEPKS1_S2_S1_Ev13rocblas_fill_17rocblas_diagonal_iiT2_lPT3_llS8_llPT4_lli.kd
    .uniform_work_group_size: 1
    .uses_dynamic_stack: false
    .vgpr_count:     62
    .vgpr_spill_count: 0
    .wavefront_size: 32
    .workgroup_processor_mode: 1
  - .args:
      - .offset:         0
        .size:           4
        .value_kind:     by_value
      - .offset:         4
        .size:           4
        .value_kind:     by_value
      - .offset:         8
        .size:           4
        .value_kind:     by_value
      - .offset:         12
        .size:           4
        .value_kind:     by_value
      - .offset:         16
        .size:           8
        .value_kind:     by_value
      - .offset:         24
        .size:           8
        .value_kind:     by_value
      - .address_space:  global
        .offset:         32
        .size:           8
        .value_kind:     global_buffer
      - .offset:         40
        .size:           8
        .value_kind:     by_value
      - .offset:         48
        .size:           8
        .value_kind:     by_value
      - .address_space:  global
        .offset:         56
        .size:           8
        .value_kind:     global_buffer
      - .offset:         64
        .size:           8
        .value_kind:     by_value
      - .offset:         72
        .size:           8
        .value_kind:     by_value
      - .address_space:  global
        .offset:         80
        .size:           8
        .value_kind:     global_buffer
      - .offset:         88
        .size:           8
        .value_kind:     by_value
      - .offset:         96
        .size:           8
        .value_kind:     by_value
      - .offset:         104
        .size:           4
        .value_kind:     by_value
    .group_segment_fixed_size: 4096
    .kernarg_segment_align: 8
    .kernarg_segment_size: 108
    .language:       OpenCL C
    .language_version:
      - 2
      - 0
    .max_flat_workgroup_size: 256
    .name:           _ZL23rocblas_trmm_rTx_kernelILi16ELb1E19rocblas_complex_numIfES1_KS1_S1_Ev13rocblas_fill_17rocblas_diagonal_iiT2_lPT3_llS7_llPT4_lli
    .private_segment_fixed_size: 0
    .sgpr_count:     32
    .sgpr_spill_count: 0
    .symbol:         _ZL23rocblas_trmm_rTx_kernelILi16ELb1E19rocblas_complex_numIfES1_KS1_S1_Ev13rocblas_fill_17rocblas_diagonal_iiT2_lPT3_llS7_llPT4_lli.kd
    .uniform_work_group_size: 1
    .uses_dynamic_stack: false
    .vgpr_count:     62
    .vgpr_spill_count: 0
    .wavefront_size: 32
    .workgroup_processor_mode: 1
  - .args:
      - .offset:         0
        .size:           4
        .value_kind:     by_value
      - .offset:         4
        .size:           4
        .value_kind:     by_value
      - .offset:         8
        .size:           4
        .value_kind:     by_value
      - .address_space:  global
        .offset:         16
        .size:           8
        .value_kind:     global_buffer
      - .offset:         24
        .size:           8
        .value_kind:     by_value
      - .address_space:  global
        .offset:         32
        .size:           8
        .value_kind:     global_buffer
      - .offset:         40
        .size:           8
        .value_kind:     by_value
      - .offset:         48
        .size:           8
        .value_kind:     by_value
      - .offset:         56
        .size:           8
        .value_kind:     by_value
      - .address_space:  global
        .offset:         64
        .size:           8
        .value_kind:     global_buffer
      - .offset:         72
        .size:           8
        .value_kind:     by_value
      - .offset:         80
        .size:           8
        .value_kind:     by_value
      - .offset:         88
        .size:           8
        .value_kind:     by_value
      - .address_space:  global
        .offset:         96
        .size:           8
        .value_kind:     global_buffer
      - .offset:         104
        .size:           8
        .value_kind:     by_value
      - .offset:         112
        .size:           8
        .value_kind:     by_value
      - .offset:         120
        .size:           8
        .value_kind:     by_value
      - .offset:         128
        .size:           4
        .value_kind:     by_value
      - .offset:         136
        .size:           4
        .value_kind:     hidden_block_count_x
      - .offset:         140
        .size:           4
        .value_kind:     hidden_block_count_y
      - .offset:         144
        .size:           4
        .value_kind:     hidden_block_count_z
      - .offset:         148
        .size:           2
        .value_kind:     hidden_group_size_x
      - .offset:         150
        .size:           2
        .value_kind:     hidden_group_size_y
      - .offset:         152
        .size:           2
        .value_kind:     hidden_group_size_z
      - .offset:         154
        .size:           2
        .value_kind:     hidden_remainder_x
      - .offset:         156
        .size:           2
        .value_kind:     hidden_remainder_y
      - .offset:         158
        .size:           2
        .value_kind:     hidden_remainder_z
      - .offset:         176
        .size:           8
        .value_kind:     hidden_global_offset_x
      - .offset:         184
        .size:           8
        .value_kind:     hidden_global_offset_y
      - .offset:         192
        .size:           8
        .value_kind:     hidden_global_offset_z
      - .offset:         200
        .size:           2
        .value_kind:     hidden_grid_dims
    .group_segment_fixed_size: 32768
    .kernarg_segment_align: 8
    .kernarg_segment_size: 392
    .language:       OpenCL C
    .language_version:
      - 2
      - 0
    .max_flat_workgroup_size: 1024
    .name:           _ZL30rocblas_trmm_outofplace_kernelI19rocblas_complex_numIdELi32ELi2ELb1ELb0ELb0ELb0EPKS1_S2_S1_Ev17rocblas_diagonal_iiT6_lPT7_lllS7_lllPT8_llli
    .private_segment_fixed_size: 0
    .sgpr_count:     51
    .sgpr_spill_count: 0
    .symbol:         _ZL30rocblas_trmm_outofplace_kernelI19rocblas_complex_numIdELi32ELi2ELb1ELb0ELb0ELb0EPKS1_S2_S1_Ev17rocblas_diagonal_iiT6_lPT7_lllS7_lllPT8_llli.kd
    .uniform_work_group_size: 1
    .uses_dynamic_stack: false
    .vgpr_count:     88
    .vgpr_spill_count: 0
    .wavefront_size: 32
    .workgroup_processor_mode: 1
  - .args:
      - .offset:         0
        .size:           4
        .value_kind:     by_value
      - .offset:         4
        .size:           4
        .value_kind:     by_value
      - .offset:         8
        .size:           4
        .value_kind:     by_value
      - .offset:         16
        .size:           16
        .value_kind:     by_value
      - .offset:         32
        .size:           8
        .value_kind:     by_value
      - .address_space:  global
        .offset:         40
        .size:           8
        .value_kind:     global_buffer
      - .offset:         48
        .size:           8
        .value_kind:     by_value
      - .offset:         56
        .size:           8
        .value_kind:     by_value
      - .offset:         64
        .size:           8
        .value_kind:     by_value
      - .address_space:  global
        .offset:         72
        .size:           8
        .value_kind:     global_buffer
      - .offset:         80
        .size:           8
        .value_kind:     by_value
      - .offset:         88
        .size:           8
        .value_kind:     by_value
      - .offset:         96
        .size:           8
        .value_kind:     by_value
      - .address_space:  global
        .offset:         104
        .size:           8
        .value_kind:     global_buffer
      - .offset:         112
        .size:           8
        .value_kind:     by_value
      - .offset:         120
        .size:           8
        .value_kind:     by_value
      - .offset:         128
        .size:           8
        .value_kind:     by_value
      - .offset:         136
        .size:           4
        .value_kind:     by_value
      - .offset:         144
        .size:           4
        .value_kind:     hidden_block_count_x
      - .offset:         148
        .size:           4
        .value_kind:     hidden_block_count_y
      - .offset:         152
        .size:           4
        .value_kind:     hidden_block_count_z
      - .offset:         156
        .size:           2
        .value_kind:     hidden_group_size_x
      - .offset:         158
        .size:           2
        .value_kind:     hidden_group_size_y
      - .offset:         160
        .size:           2
        .value_kind:     hidden_group_size_z
      - .offset:         162
        .size:           2
        .value_kind:     hidden_remainder_x
      - .offset:         164
        .size:           2
        .value_kind:     hidden_remainder_y
      - .offset:         166
        .size:           2
        .value_kind:     hidden_remainder_z
      - .offset:         184
        .size:           8
        .value_kind:     hidden_global_offset_x
      - .offset:         192
        .size:           8
        .value_kind:     hidden_global_offset_y
      - .offset:         200
        .size:           8
        .value_kind:     hidden_global_offset_z
      - .offset:         208
        .size:           2
        .value_kind:     hidden_grid_dims
    .group_segment_fixed_size: 32768
    .kernarg_segment_align: 8
    .kernarg_segment_size: 400
    .language:       OpenCL C
    .language_version:
      - 2
      - 0
    .max_flat_workgroup_size: 1024
    .name:           _ZL30rocblas_trmm_outofplace_kernelI19rocblas_complex_numIdELi32ELi2ELb1ELb0ELb0ELb0ES1_KS1_S1_Ev17rocblas_diagonal_iiT6_lPT7_lllS6_lllPT8_llli
    .private_segment_fixed_size: 0
    .sgpr_count:     51
    .sgpr_spill_count: 0
    .symbol:         _ZL30rocblas_trmm_outofplace_kernelI19rocblas_complex_numIdELi32ELi2ELb1ELb0ELb0ELb0ES1_KS1_S1_Ev17rocblas_diagonal_iiT6_lPT7_lllS6_lllPT8_llli.kd
    .uniform_work_group_size: 1
    .uses_dynamic_stack: false
    .vgpr_count:     88
    .vgpr_spill_count: 0
    .wavefront_size: 32
    .workgroup_processor_mode: 1
  - .args:
      - .offset:         0
        .size:           4
        .value_kind:     by_value
      - .offset:         4
        .size:           4
        .value_kind:     by_value
      - .offset:         8
        .size:           4
        .value_kind:     by_value
      - .address_space:  global
        .offset:         16
        .size:           8
        .value_kind:     global_buffer
      - .offset:         24
        .size:           8
        .value_kind:     by_value
      - .address_space:  global
        .offset:         32
        .size:           8
        .value_kind:     global_buffer
      - .offset:         40
        .size:           8
        .value_kind:     by_value
      - .offset:         48
        .size:           8
        .value_kind:     by_value
      - .offset:         56
        .size:           8
        .value_kind:     by_value
      - .address_space:  global
        .offset:         64
        .size:           8
        .value_kind:     global_buffer
      - .offset:         72
        .size:           8
        .value_kind:     by_value
      - .offset:         80
        .size:           8
        .value_kind:     by_value
      - .offset:         88
        .size:           8
        .value_kind:     by_value
      - .address_space:  global
        .offset:         96
        .size:           8
        .value_kind:     global_buffer
      - .offset:         104
        .size:           8
        .value_kind:     by_value
      - .offset:         112
        .size:           8
        .value_kind:     by_value
      - .offset:         120
        .size:           8
        .value_kind:     by_value
      - .offset:         128
        .size:           4
        .value_kind:     by_value
      - .offset:         136
        .size:           4
        .value_kind:     hidden_block_count_x
      - .offset:         140
        .size:           4
        .value_kind:     hidden_block_count_y
      - .offset:         144
        .size:           4
        .value_kind:     hidden_block_count_z
      - .offset:         148
        .size:           2
        .value_kind:     hidden_group_size_x
      - .offset:         150
        .size:           2
        .value_kind:     hidden_group_size_y
      - .offset:         152
        .size:           2
        .value_kind:     hidden_group_size_z
      - .offset:         154
        .size:           2
        .value_kind:     hidden_remainder_x
      - .offset:         156
        .size:           2
        .value_kind:     hidden_remainder_y
      - .offset:         158
        .size:           2
        .value_kind:     hidden_remainder_z
      - .offset:         176
        .size:           8
        .value_kind:     hidden_global_offset_x
      - .offset:         184
        .size:           8
        .value_kind:     hidden_global_offset_y
      - .offset:         192
        .size:           8
        .value_kind:     hidden_global_offset_z
      - .offset:         200
        .size:           2
        .value_kind:     hidden_grid_dims
    .group_segment_fixed_size: 32768
    .kernarg_segment_align: 8
    .kernarg_segment_size: 392
    .language:       OpenCL C
    .language_version:
      - 2
      - 0
    .max_flat_workgroup_size: 1024
    .name:           _ZL30rocblas_trmm_outofplace_kernelI19rocblas_complex_numIdELi32ELi2ELb1ELb1ELb0ELb0EPKS1_S2_S1_Ev17rocblas_diagonal_iiT6_lPT7_lllS7_lllPT8_llli
    .private_segment_fixed_size: 0
    .sgpr_count:     52
    .sgpr_spill_count: 0
    .symbol:         _ZL30rocblas_trmm_outofplace_kernelI19rocblas_complex_numIdELi32ELi2ELb1ELb1ELb0ELb0EPKS1_S2_S1_Ev17rocblas_diagonal_iiT6_lPT7_lllS7_lllPT8_llli.kd
    .uniform_work_group_size: 1
    .uses_dynamic_stack: false
    .vgpr_count:     87
    .vgpr_spill_count: 0
    .wavefront_size: 32
    .workgroup_processor_mode: 1
  - .args:
      - .offset:         0
        .size:           4
        .value_kind:     by_value
      - .offset:         4
        .size:           4
        .value_kind:     by_value
      - .offset:         8
        .size:           4
        .value_kind:     by_value
      - .offset:         16
        .size:           16
        .value_kind:     by_value
      - .offset:         32
        .size:           8
        .value_kind:     by_value
      - .address_space:  global
        .offset:         40
        .size:           8
        .value_kind:     global_buffer
      - .offset:         48
        .size:           8
        .value_kind:     by_value
      - .offset:         56
        .size:           8
        .value_kind:     by_value
      - .offset:         64
        .size:           8
        .value_kind:     by_value
      - .address_space:  global
        .offset:         72
        .size:           8
        .value_kind:     global_buffer
      - .offset:         80
        .size:           8
        .value_kind:     by_value
      - .offset:         88
        .size:           8
        .value_kind:     by_value
      - .offset:         96
        .size:           8
        .value_kind:     by_value
      - .address_space:  global
        .offset:         104
        .size:           8
        .value_kind:     global_buffer
      - .offset:         112
        .size:           8
        .value_kind:     by_value
      - .offset:         120
        .size:           8
        .value_kind:     by_value
      - .offset:         128
        .size:           8
        .value_kind:     by_value
      - .offset:         136
        .size:           4
        .value_kind:     by_value
      - .offset:         144
        .size:           4
        .value_kind:     hidden_block_count_x
      - .offset:         148
        .size:           4
        .value_kind:     hidden_block_count_y
      - .offset:         152
        .size:           4
        .value_kind:     hidden_block_count_z
      - .offset:         156
        .size:           2
        .value_kind:     hidden_group_size_x
      - .offset:         158
        .size:           2
        .value_kind:     hidden_group_size_y
      - .offset:         160
        .size:           2
        .value_kind:     hidden_group_size_z
      - .offset:         162
        .size:           2
        .value_kind:     hidden_remainder_x
      - .offset:         164
        .size:           2
        .value_kind:     hidden_remainder_y
      - .offset:         166
        .size:           2
        .value_kind:     hidden_remainder_z
      - .offset:         184
        .size:           8
        .value_kind:     hidden_global_offset_x
      - .offset:         192
        .size:           8
        .value_kind:     hidden_global_offset_y
      - .offset:         200
        .size:           8
        .value_kind:     hidden_global_offset_z
      - .offset:         208
        .size:           2
        .value_kind:     hidden_grid_dims
    .group_segment_fixed_size: 32768
    .kernarg_segment_align: 8
    .kernarg_segment_size: 400
    .language:       OpenCL C
    .language_version:
      - 2
      - 0
    .max_flat_workgroup_size: 1024
    .name:           _ZL30rocblas_trmm_outofplace_kernelI19rocblas_complex_numIdELi32ELi2ELb1ELb1ELb0ELb0ES1_KS1_S1_Ev17rocblas_diagonal_iiT6_lPT7_lllS6_lllPT8_llli
    .private_segment_fixed_size: 0
    .sgpr_count:     51
    .sgpr_spill_count: 0
    .symbol:         _ZL30rocblas_trmm_outofplace_kernelI19rocblas_complex_numIdELi32ELi2ELb1ELb1ELb0ELb0ES1_KS1_S1_Ev17rocblas_diagonal_iiT6_lPT7_lllS6_lllPT8_llli.kd
    .uniform_work_group_size: 1
    .uses_dynamic_stack: false
    .vgpr_count:     87
    .vgpr_spill_count: 0
    .wavefront_size: 32
    .workgroup_processor_mode: 1
  - .args:
      - .offset:         0
        .size:           4
        .value_kind:     by_value
      - .offset:         4
        .size:           4
        .value_kind:     by_value
      - .offset:         8
        .size:           4
        .value_kind:     by_value
      - .address_space:  global
        .offset:         16
        .size:           8
        .value_kind:     global_buffer
      - .offset:         24
        .size:           8
        .value_kind:     by_value
      - .address_space:  global
        .offset:         32
        .size:           8
        .value_kind:     global_buffer
      - .offset:         40
        .size:           8
        .value_kind:     by_value
      - .offset:         48
        .size:           8
        .value_kind:     by_value
      - .offset:         56
        .size:           8
        .value_kind:     by_value
      - .address_space:  global
        .offset:         64
        .size:           8
        .value_kind:     global_buffer
      - .offset:         72
        .size:           8
        .value_kind:     by_value
      - .offset:         80
        .size:           8
        .value_kind:     by_value
      - .offset:         88
        .size:           8
        .value_kind:     by_value
      - .address_space:  global
        .offset:         96
        .size:           8
        .value_kind:     global_buffer
      - .offset:         104
        .size:           8
        .value_kind:     by_value
      - .offset:         112
        .size:           8
        .value_kind:     by_value
      - .offset:         120
        .size:           8
        .value_kind:     by_value
      - .offset:         128
        .size:           4
        .value_kind:     by_value
      - .offset:         136
        .size:           4
        .value_kind:     hidden_block_count_x
      - .offset:         140
        .size:           4
        .value_kind:     hidden_block_count_y
      - .offset:         144
        .size:           4
        .value_kind:     hidden_block_count_z
      - .offset:         148
        .size:           2
        .value_kind:     hidden_group_size_x
      - .offset:         150
        .size:           2
        .value_kind:     hidden_group_size_y
      - .offset:         152
        .size:           2
        .value_kind:     hidden_group_size_z
      - .offset:         154
        .size:           2
        .value_kind:     hidden_remainder_x
      - .offset:         156
        .size:           2
        .value_kind:     hidden_remainder_y
      - .offset:         158
        .size:           2
        .value_kind:     hidden_remainder_z
      - .offset:         176
        .size:           8
        .value_kind:     hidden_global_offset_x
      - .offset:         184
        .size:           8
        .value_kind:     hidden_global_offset_y
      - .offset:         192
        .size:           8
        .value_kind:     hidden_global_offset_z
      - .offset:         200
        .size:           2
        .value_kind:     hidden_grid_dims
    .group_segment_fixed_size: 32768
    .kernarg_segment_align: 8
    .kernarg_segment_size: 392
    .language:       OpenCL C
    .language_version:
      - 2
      - 0
    .max_flat_workgroup_size: 1024
    .name:           _ZL30rocblas_trmm_outofplace_kernelI19rocblas_complex_numIdELi32ELi2ELb1ELb0ELb1ELb0EPKS1_S2_S1_Ev17rocblas_diagonal_iiT6_lPT7_lllS7_lllPT8_llli
    .private_segment_fixed_size: 0
    .sgpr_count:     50
    .sgpr_spill_count: 0
    .symbol:         _ZL30rocblas_trmm_outofplace_kernelI19rocblas_complex_numIdELi32ELi2ELb1ELb0ELb1ELb0EPKS1_S2_S1_Ev17rocblas_diagonal_iiT6_lPT7_lllS7_lllPT8_llli.kd
    .uniform_work_group_size: 1
    .uses_dynamic_stack: false
    .vgpr_count:     89
    .vgpr_spill_count: 0
    .wavefront_size: 32
    .workgroup_processor_mode: 1
  - .args:
      - .offset:         0
        .size:           4
        .value_kind:     by_value
      - .offset:         4
        .size:           4
        .value_kind:     by_value
      - .offset:         8
        .size:           4
        .value_kind:     by_value
      - .offset:         16
        .size:           16
        .value_kind:     by_value
      - .offset:         32
        .size:           8
        .value_kind:     by_value
      - .address_space:  global
        .offset:         40
        .size:           8
        .value_kind:     global_buffer
      - .offset:         48
        .size:           8
        .value_kind:     by_value
      - .offset:         56
        .size:           8
        .value_kind:     by_value
      - .offset:         64
        .size:           8
        .value_kind:     by_value
      - .address_space:  global
        .offset:         72
        .size:           8
        .value_kind:     global_buffer
      - .offset:         80
        .size:           8
        .value_kind:     by_value
      - .offset:         88
        .size:           8
        .value_kind:     by_value
      - .offset:         96
        .size:           8
        .value_kind:     by_value
      - .address_space:  global
        .offset:         104
        .size:           8
        .value_kind:     global_buffer
      - .offset:         112
        .size:           8
        .value_kind:     by_value
      - .offset:         120
        .size:           8
        .value_kind:     by_value
      - .offset:         128
        .size:           8
        .value_kind:     by_value
      - .offset:         136
        .size:           4
        .value_kind:     by_value
      - .offset:         144
        .size:           4
        .value_kind:     hidden_block_count_x
      - .offset:         148
        .size:           4
        .value_kind:     hidden_block_count_y
      - .offset:         152
        .size:           4
        .value_kind:     hidden_block_count_z
      - .offset:         156
        .size:           2
        .value_kind:     hidden_group_size_x
      - .offset:         158
        .size:           2
        .value_kind:     hidden_group_size_y
      - .offset:         160
        .size:           2
        .value_kind:     hidden_group_size_z
      - .offset:         162
        .size:           2
        .value_kind:     hidden_remainder_x
      - .offset:         164
        .size:           2
        .value_kind:     hidden_remainder_y
      - .offset:         166
        .size:           2
        .value_kind:     hidden_remainder_z
      - .offset:         184
        .size:           8
        .value_kind:     hidden_global_offset_x
      - .offset:         192
        .size:           8
        .value_kind:     hidden_global_offset_y
      - .offset:         200
        .size:           8
        .value_kind:     hidden_global_offset_z
      - .offset:         208
        .size:           2
        .value_kind:     hidden_grid_dims
    .group_segment_fixed_size: 32768
    .kernarg_segment_align: 8
    .kernarg_segment_size: 400
    .language:       OpenCL C
    .language_version:
      - 2
      - 0
    .max_flat_workgroup_size: 1024
    .name:           _ZL30rocblas_trmm_outofplace_kernelI19rocblas_complex_numIdELi32ELi2ELb1ELb0ELb1ELb0ES1_KS1_S1_Ev17rocblas_diagonal_iiT6_lPT7_lllS6_lllPT8_llli
    .private_segment_fixed_size: 0
    .sgpr_count:     50
    .sgpr_spill_count: 0
    .symbol:         _ZL30rocblas_trmm_outofplace_kernelI19rocblas_complex_numIdELi32ELi2ELb1ELb0ELb1ELb0ES1_KS1_S1_Ev17rocblas_diagonal_iiT6_lPT7_lllS6_lllPT8_llli.kd
    .uniform_work_group_size: 1
    .uses_dynamic_stack: false
    .vgpr_count:     89
    .vgpr_spill_count: 0
    .wavefront_size: 32
    .workgroup_processor_mode: 1
  - .args:
      - .offset:         0
        .size:           4
        .value_kind:     by_value
      - .offset:         4
        .size:           4
        .value_kind:     by_value
      - .offset:         8
        .size:           4
        .value_kind:     by_value
      - .address_space:  global
        .offset:         16
        .size:           8
        .value_kind:     global_buffer
      - .offset:         24
        .size:           8
        .value_kind:     by_value
      - .address_space:  global
        .offset:         32
        .size:           8
        .value_kind:     global_buffer
      - .offset:         40
        .size:           8
        .value_kind:     by_value
      - .offset:         48
        .size:           8
        .value_kind:     by_value
      - .offset:         56
        .size:           8
        .value_kind:     by_value
      - .address_space:  global
        .offset:         64
        .size:           8
        .value_kind:     global_buffer
      - .offset:         72
        .size:           8
        .value_kind:     by_value
      - .offset:         80
        .size:           8
        .value_kind:     by_value
      - .offset:         88
        .size:           8
        .value_kind:     by_value
      - .address_space:  global
        .offset:         96
        .size:           8
        .value_kind:     global_buffer
      - .offset:         104
        .size:           8
        .value_kind:     by_value
      - .offset:         112
        .size:           8
        .value_kind:     by_value
      - .offset:         120
        .size:           8
        .value_kind:     by_value
      - .offset:         128
        .size:           4
        .value_kind:     by_value
      - .offset:         136
        .size:           4
        .value_kind:     hidden_block_count_x
      - .offset:         140
        .size:           4
        .value_kind:     hidden_block_count_y
      - .offset:         144
        .size:           4
        .value_kind:     hidden_block_count_z
      - .offset:         148
        .size:           2
        .value_kind:     hidden_group_size_x
      - .offset:         150
        .size:           2
        .value_kind:     hidden_group_size_y
      - .offset:         152
        .size:           2
        .value_kind:     hidden_group_size_z
      - .offset:         154
        .size:           2
        .value_kind:     hidden_remainder_x
      - .offset:         156
        .size:           2
        .value_kind:     hidden_remainder_y
      - .offset:         158
        .size:           2
        .value_kind:     hidden_remainder_z
      - .offset:         176
        .size:           8
        .value_kind:     hidden_global_offset_x
      - .offset:         184
        .size:           8
        .value_kind:     hidden_global_offset_y
      - .offset:         192
        .size:           8
        .value_kind:     hidden_global_offset_z
      - .offset:         200
        .size:           2
        .value_kind:     hidden_grid_dims
    .group_segment_fixed_size: 32768
    .kernarg_segment_align: 8
    .kernarg_segment_size: 392
    .language:       OpenCL C
    .language_version:
      - 2
      - 0
    .max_flat_workgroup_size: 1024
    .name:           _ZL30rocblas_trmm_outofplace_kernelI19rocblas_complex_numIdELi32ELi2ELb1ELb1ELb1ELb0EPKS1_S2_S1_Ev17rocblas_diagonal_iiT6_lPT7_lllS7_lllPT8_llli
    .private_segment_fixed_size: 0
    .sgpr_count:     50
    .sgpr_spill_count: 0
    .symbol:         _ZL30rocblas_trmm_outofplace_kernelI19rocblas_complex_numIdELi32ELi2ELb1ELb1ELb1ELb0EPKS1_S2_S1_Ev17rocblas_diagonal_iiT6_lPT7_lllS7_lllPT8_llli.kd
    .uniform_work_group_size: 1
    .uses_dynamic_stack: false
    .vgpr_count:     86
    .vgpr_spill_count: 0
    .wavefront_size: 32
    .workgroup_processor_mode: 1
  - .args:
      - .offset:         0
        .size:           4
        .value_kind:     by_value
      - .offset:         4
        .size:           4
        .value_kind:     by_value
      - .offset:         8
        .size:           4
        .value_kind:     by_value
      - .offset:         16
        .size:           16
        .value_kind:     by_value
      - .offset:         32
        .size:           8
        .value_kind:     by_value
      - .address_space:  global
        .offset:         40
        .size:           8
        .value_kind:     global_buffer
      - .offset:         48
        .size:           8
        .value_kind:     by_value
      - .offset:         56
        .size:           8
        .value_kind:     by_value
      - .offset:         64
        .size:           8
        .value_kind:     by_value
      - .address_space:  global
        .offset:         72
        .size:           8
        .value_kind:     global_buffer
      - .offset:         80
        .size:           8
        .value_kind:     by_value
      - .offset:         88
        .size:           8
        .value_kind:     by_value
      - .offset:         96
        .size:           8
        .value_kind:     by_value
      - .address_space:  global
        .offset:         104
        .size:           8
        .value_kind:     global_buffer
      - .offset:         112
        .size:           8
        .value_kind:     by_value
      - .offset:         120
        .size:           8
        .value_kind:     by_value
      - .offset:         128
        .size:           8
        .value_kind:     by_value
      - .offset:         136
        .size:           4
        .value_kind:     by_value
      - .offset:         144
        .size:           4
        .value_kind:     hidden_block_count_x
      - .offset:         148
        .size:           4
        .value_kind:     hidden_block_count_y
      - .offset:         152
        .size:           4
        .value_kind:     hidden_block_count_z
      - .offset:         156
        .size:           2
        .value_kind:     hidden_group_size_x
      - .offset:         158
        .size:           2
        .value_kind:     hidden_group_size_y
      - .offset:         160
        .size:           2
        .value_kind:     hidden_group_size_z
      - .offset:         162
        .size:           2
        .value_kind:     hidden_remainder_x
      - .offset:         164
        .size:           2
        .value_kind:     hidden_remainder_y
      - .offset:         166
        .size:           2
        .value_kind:     hidden_remainder_z
      - .offset:         184
        .size:           8
        .value_kind:     hidden_global_offset_x
      - .offset:         192
        .size:           8
        .value_kind:     hidden_global_offset_y
      - .offset:         200
        .size:           8
        .value_kind:     hidden_global_offset_z
      - .offset:         208
        .size:           2
        .value_kind:     hidden_grid_dims
    .group_segment_fixed_size: 32768
    .kernarg_segment_align: 8
    .kernarg_segment_size: 400
    .language:       OpenCL C
    .language_version:
      - 2
      - 0
    .max_flat_workgroup_size: 1024
    .name:           _ZL30rocblas_trmm_outofplace_kernelI19rocblas_complex_numIdELi32ELi2ELb1ELb1ELb1ELb0ES1_KS1_S1_Ev17rocblas_diagonal_iiT6_lPT7_lllS6_lllPT8_llli
    .private_segment_fixed_size: 0
    .sgpr_count:     50
    .sgpr_spill_count: 0
    .symbol:         _ZL30rocblas_trmm_outofplace_kernelI19rocblas_complex_numIdELi32ELi2ELb1ELb1ELb1ELb0ES1_KS1_S1_Ev17rocblas_diagonal_iiT6_lPT7_lllS6_lllPT8_llli.kd
    .uniform_work_group_size: 1
    .uses_dynamic_stack: false
    .vgpr_count:     86
    .vgpr_spill_count: 0
    .wavefront_size: 32
    .workgroup_processor_mode: 1
  - .args:
      - .offset:         0
        .size:           4
        .value_kind:     by_value
      - .offset:         4
        .size:           4
        .value_kind:     by_value
      - .offset:         8
        .size:           4
        .value_kind:     by_value
      - .address_space:  global
        .offset:         16
        .size:           8
        .value_kind:     global_buffer
      - .offset:         24
        .size:           8
        .value_kind:     by_value
      - .address_space:  global
        .offset:         32
        .size:           8
        .value_kind:     global_buffer
      - .offset:         40
        .size:           8
        .value_kind:     by_value
      - .offset:         48
        .size:           8
        .value_kind:     by_value
      - .offset:         56
        .size:           8
        .value_kind:     by_value
      - .address_space:  global
        .offset:         64
        .size:           8
        .value_kind:     global_buffer
      - .offset:         72
        .size:           8
        .value_kind:     by_value
      - .offset:         80
        .size:           8
        .value_kind:     by_value
      - .offset:         88
        .size:           8
        .value_kind:     by_value
      - .address_space:  global
        .offset:         96
        .size:           8
        .value_kind:     global_buffer
      - .offset:         104
        .size:           8
        .value_kind:     by_value
      - .offset:         112
        .size:           8
        .value_kind:     by_value
      - .offset:         120
        .size:           8
        .value_kind:     by_value
      - .offset:         128
        .size:           4
        .value_kind:     by_value
      - .offset:         136
        .size:           4
        .value_kind:     hidden_block_count_x
      - .offset:         140
        .size:           4
        .value_kind:     hidden_block_count_y
      - .offset:         144
        .size:           4
        .value_kind:     hidden_block_count_z
      - .offset:         148
        .size:           2
        .value_kind:     hidden_group_size_x
      - .offset:         150
        .size:           2
        .value_kind:     hidden_group_size_y
      - .offset:         152
        .size:           2
        .value_kind:     hidden_group_size_z
      - .offset:         154
        .size:           2
        .value_kind:     hidden_remainder_x
      - .offset:         156
        .size:           2
        .value_kind:     hidden_remainder_y
      - .offset:         158
        .size:           2
        .value_kind:     hidden_remainder_z
      - .offset:         176
        .size:           8
        .value_kind:     hidden_global_offset_x
      - .offset:         184
        .size:           8
        .value_kind:     hidden_global_offset_y
      - .offset:         192
        .size:           8
        .value_kind:     hidden_global_offset_z
      - .offset:         200
        .size:           2
        .value_kind:     hidden_grid_dims
    .group_segment_fixed_size: 32768
    .kernarg_segment_align: 8
    .kernarg_segment_size: 392
    .language:       OpenCL C
    .language_version:
      - 2
      - 0
    .max_flat_workgroup_size: 1024
    .name:           _ZL30rocblas_trmm_outofplace_kernelI19rocblas_complex_numIdELi32ELi2ELb1ELb0ELb1ELb1EPKS1_S2_S1_Ev17rocblas_diagonal_iiT6_lPT7_lllS7_lllPT8_llli
    .private_segment_fixed_size: 0
    .sgpr_count:     52
    .sgpr_spill_count: 0
    .symbol:         _ZL30rocblas_trmm_outofplace_kernelI19rocblas_complex_numIdELi32ELi2ELb1ELb0ELb1ELb1EPKS1_S2_S1_Ev17rocblas_diagonal_iiT6_lPT7_lllS7_lllPT8_llli.kd
    .uniform_work_group_size: 1
    .uses_dynamic_stack: false
    .vgpr_count:     82
    .vgpr_spill_count: 0
    .wavefront_size: 32
    .workgroup_processor_mode: 1
  - .args:
      - .offset:         0
        .size:           4
        .value_kind:     by_value
      - .offset:         4
        .size:           4
        .value_kind:     by_value
      - .offset:         8
        .size:           4
        .value_kind:     by_value
      - .offset:         16
        .size:           16
        .value_kind:     by_value
      - .offset:         32
        .size:           8
        .value_kind:     by_value
      - .address_space:  global
        .offset:         40
        .size:           8
        .value_kind:     global_buffer
      - .offset:         48
        .size:           8
        .value_kind:     by_value
      - .offset:         56
        .size:           8
        .value_kind:     by_value
      - .offset:         64
        .size:           8
        .value_kind:     by_value
      - .address_space:  global
        .offset:         72
        .size:           8
        .value_kind:     global_buffer
      - .offset:         80
        .size:           8
        .value_kind:     by_value
      - .offset:         88
        .size:           8
        .value_kind:     by_value
      - .offset:         96
        .size:           8
        .value_kind:     by_value
      - .address_space:  global
        .offset:         104
        .size:           8
        .value_kind:     global_buffer
      - .offset:         112
        .size:           8
        .value_kind:     by_value
      - .offset:         120
        .size:           8
        .value_kind:     by_value
      - .offset:         128
        .size:           8
        .value_kind:     by_value
      - .offset:         136
        .size:           4
        .value_kind:     by_value
      - .offset:         144
        .size:           4
        .value_kind:     hidden_block_count_x
      - .offset:         148
        .size:           4
        .value_kind:     hidden_block_count_y
      - .offset:         152
        .size:           4
        .value_kind:     hidden_block_count_z
      - .offset:         156
        .size:           2
        .value_kind:     hidden_group_size_x
      - .offset:         158
        .size:           2
        .value_kind:     hidden_group_size_y
      - .offset:         160
        .size:           2
        .value_kind:     hidden_group_size_z
      - .offset:         162
        .size:           2
        .value_kind:     hidden_remainder_x
      - .offset:         164
        .size:           2
        .value_kind:     hidden_remainder_y
      - .offset:         166
        .size:           2
        .value_kind:     hidden_remainder_z
      - .offset:         184
        .size:           8
        .value_kind:     hidden_global_offset_x
      - .offset:         192
        .size:           8
        .value_kind:     hidden_global_offset_y
      - .offset:         200
        .size:           8
        .value_kind:     hidden_global_offset_z
      - .offset:         208
        .size:           2
        .value_kind:     hidden_grid_dims
    .group_segment_fixed_size: 32768
    .kernarg_segment_align: 8
    .kernarg_segment_size: 400
    .language:       OpenCL C
    .language_version:
      - 2
      - 0
    .max_flat_workgroup_size: 1024
    .name:           _ZL30rocblas_trmm_outofplace_kernelI19rocblas_complex_numIdELi32ELi2ELb1ELb0ELb1ELb1ES1_KS1_S1_Ev17rocblas_diagonal_iiT6_lPT7_lllS6_lllPT8_llli
    .private_segment_fixed_size: 0
    .sgpr_count:     52
    .sgpr_spill_count: 0
    .symbol:         _ZL30rocblas_trmm_outofplace_kernelI19rocblas_complex_numIdELi32ELi2ELb1ELb0ELb1ELb1ES1_KS1_S1_Ev17rocblas_diagonal_iiT6_lPT7_lllS6_lllPT8_llli.kd
    .uniform_work_group_size: 1
    .uses_dynamic_stack: false
    .vgpr_count:     82
    .vgpr_spill_count: 0
    .wavefront_size: 32
    .workgroup_processor_mode: 1
  - .args:
      - .offset:         0
        .size:           4
        .value_kind:     by_value
      - .offset:         4
        .size:           4
        .value_kind:     by_value
      - .offset:         8
        .size:           4
        .value_kind:     by_value
      - .address_space:  global
        .offset:         16
        .size:           8
        .value_kind:     global_buffer
      - .offset:         24
        .size:           8
        .value_kind:     by_value
      - .address_space:  global
        .offset:         32
        .size:           8
        .value_kind:     global_buffer
      - .offset:         40
        .size:           8
        .value_kind:     by_value
      - .offset:         48
        .size:           8
        .value_kind:     by_value
      - .offset:         56
        .size:           8
        .value_kind:     by_value
      - .address_space:  global
        .offset:         64
        .size:           8
        .value_kind:     global_buffer
      - .offset:         72
        .size:           8
        .value_kind:     by_value
      - .offset:         80
        .size:           8
        .value_kind:     by_value
      - .offset:         88
        .size:           8
        .value_kind:     by_value
      - .address_space:  global
        .offset:         96
        .size:           8
        .value_kind:     global_buffer
      - .offset:         104
        .size:           8
        .value_kind:     by_value
      - .offset:         112
        .size:           8
        .value_kind:     by_value
      - .offset:         120
        .size:           8
        .value_kind:     by_value
      - .offset:         128
        .size:           4
        .value_kind:     by_value
      - .offset:         136
        .size:           4
        .value_kind:     hidden_block_count_x
      - .offset:         140
        .size:           4
        .value_kind:     hidden_block_count_y
      - .offset:         144
        .size:           4
        .value_kind:     hidden_block_count_z
      - .offset:         148
        .size:           2
        .value_kind:     hidden_group_size_x
      - .offset:         150
        .size:           2
        .value_kind:     hidden_group_size_y
      - .offset:         152
        .size:           2
        .value_kind:     hidden_group_size_z
      - .offset:         154
        .size:           2
        .value_kind:     hidden_remainder_x
      - .offset:         156
        .size:           2
        .value_kind:     hidden_remainder_y
      - .offset:         158
        .size:           2
        .value_kind:     hidden_remainder_z
      - .offset:         176
        .size:           8
        .value_kind:     hidden_global_offset_x
      - .offset:         184
        .size:           8
        .value_kind:     hidden_global_offset_y
      - .offset:         192
        .size:           8
        .value_kind:     hidden_global_offset_z
      - .offset:         200
        .size:           2
        .value_kind:     hidden_grid_dims
    .group_segment_fixed_size: 32768
    .kernarg_segment_align: 8
    .kernarg_segment_size: 392
    .language:       OpenCL C
    .language_version:
      - 2
      - 0
    .max_flat_workgroup_size: 1024
    .name:           _ZL30rocblas_trmm_outofplace_kernelI19rocblas_complex_numIdELi32ELi2ELb1ELb1ELb1ELb1EPKS1_S2_S1_Ev17rocblas_diagonal_iiT6_lPT7_lllS7_lllPT8_llli
    .private_segment_fixed_size: 0
    .sgpr_count:     52
    .sgpr_spill_count: 0
    .symbol:         _ZL30rocblas_trmm_outofplace_kernelI19rocblas_complex_numIdELi32ELi2ELb1ELb1ELb1ELb1EPKS1_S2_S1_Ev17rocblas_diagonal_iiT6_lPT7_lllS7_lllPT8_llli.kd
    .uniform_work_group_size: 1
    .uses_dynamic_stack: false
    .vgpr_count:     80
    .vgpr_spill_count: 0
    .wavefront_size: 32
    .workgroup_processor_mode: 1
  - .args:
      - .offset:         0
        .size:           4
        .value_kind:     by_value
      - .offset:         4
        .size:           4
        .value_kind:     by_value
      - .offset:         8
        .size:           4
        .value_kind:     by_value
      - .offset:         16
        .size:           16
        .value_kind:     by_value
      - .offset:         32
        .size:           8
        .value_kind:     by_value
      - .address_space:  global
        .offset:         40
        .size:           8
        .value_kind:     global_buffer
      - .offset:         48
        .size:           8
        .value_kind:     by_value
      - .offset:         56
        .size:           8
        .value_kind:     by_value
      - .offset:         64
        .size:           8
        .value_kind:     by_value
      - .address_space:  global
        .offset:         72
        .size:           8
        .value_kind:     global_buffer
      - .offset:         80
        .size:           8
        .value_kind:     by_value
      - .offset:         88
        .size:           8
        .value_kind:     by_value
      - .offset:         96
        .size:           8
        .value_kind:     by_value
      - .address_space:  global
        .offset:         104
        .size:           8
        .value_kind:     global_buffer
      - .offset:         112
        .size:           8
        .value_kind:     by_value
      - .offset:         120
        .size:           8
        .value_kind:     by_value
      - .offset:         128
        .size:           8
        .value_kind:     by_value
      - .offset:         136
        .size:           4
        .value_kind:     by_value
      - .offset:         144
        .size:           4
        .value_kind:     hidden_block_count_x
      - .offset:         148
        .size:           4
        .value_kind:     hidden_block_count_y
      - .offset:         152
        .size:           4
        .value_kind:     hidden_block_count_z
      - .offset:         156
        .size:           2
        .value_kind:     hidden_group_size_x
      - .offset:         158
        .size:           2
        .value_kind:     hidden_group_size_y
      - .offset:         160
        .size:           2
        .value_kind:     hidden_group_size_z
      - .offset:         162
        .size:           2
        .value_kind:     hidden_remainder_x
      - .offset:         164
        .size:           2
        .value_kind:     hidden_remainder_y
      - .offset:         166
        .size:           2
        .value_kind:     hidden_remainder_z
      - .offset:         184
        .size:           8
        .value_kind:     hidden_global_offset_x
      - .offset:         192
        .size:           8
        .value_kind:     hidden_global_offset_y
      - .offset:         200
        .size:           8
        .value_kind:     hidden_global_offset_z
      - .offset:         208
        .size:           2
        .value_kind:     hidden_grid_dims
    .group_segment_fixed_size: 32768
    .kernarg_segment_align: 8
    .kernarg_segment_size: 400
    .language:       OpenCL C
    .language_version:
      - 2
      - 0
    .max_flat_workgroup_size: 1024
    .name:           _ZL30rocblas_trmm_outofplace_kernelI19rocblas_complex_numIdELi32ELi2ELb1ELb1ELb1ELb1ES1_KS1_S1_Ev17rocblas_diagonal_iiT6_lPT7_lllS6_lllPT8_llli
    .private_segment_fixed_size: 0
    .sgpr_count:     50
    .sgpr_spill_count: 0
    .symbol:         _ZL30rocblas_trmm_outofplace_kernelI19rocblas_complex_numIdELi32ELi2ELb1ELb1ELb1ELb1ES1_KS1_S1_Ev17rocblas_diagonal_iiT6_lPT7_lllS6_lllPT8_llli.kd
    .uniform_work_group_size: 1
    .uses_dynamic_stack: false
    .vgpr_count:     80
    .vgpr_spill_count: 0
    .wavefront_size: 32
    .workgroup_processor_mode: 1
  - .args:
      - .offset:         0
        .size:           4
        .value_kind:     by_value
      - .offset:         4
        .size:           4
        .value_kind:     by_value
      - .offset:         8
        .size:           4
        .value_kind:     by_value
      - .address_space:  global
        .offset:         16
        .size:           8
        .value_kind:     global_buffer
      - .offset:         24
        .size:           8
        .value_kind:     by_value
      - .address_space:  global
        .offset:         32
        .size:           8
        .value_kind:     global_buffer
      - .offset:         40
        .size:           8
        .value_kind:     by_value
      - .offset:         48
        .size:           8
        .value_kind:     by_value
      - .offset:         56
        .size:           8
        .value_kind:     by_value
      - .address_space:  global
        .offset:         64
        .size:           8
        .value_kind:     global_buffer
      - .offset:         72
        .size:           8
        .value_kind:     by_value
      - .offset:         80
        .size:           8
        .value_kind:     by_value
      - .offset:         88
        .size:           8
        .value_kind:     by_value
      - .address_space:  global
        .offset:         96
        .size:           8
        .value_kind:     global_buffer
      - .offset:         104
        .size:           8
        .value_kind:     by_value
      - .offset:         112
        .size:           8
        .value_kind:     by_value
      - .offset:         120
        .size:           8
        .value_kind:     by_value
      - .offset:         128
        .size:           4
        .value_kind:     by_value
      - .offset:         136
        .size:           4
        .value_kind:     hidden_block_count_x
      - .offset:         140
        .size:           4
        .value_kind:     hidden_block_count_y
      - .offset:         144
        .size:           4
        .value_kind:     hidden_block_count_z
      - .offset:         148
        .size:           2
        .value_kind:     hidden_group_size_x
      - .offset:         150
        .size:           2
        .value_kind:     hidden_group_size_y
      - .offset:         152
        .size:           2
        .value_kind:     hidden_group_size_z
      - .offset:         154
        .size:           2
        .value_kind:     hidden_remainder_x
      - .offset:         156
        .size:           2
        .value_kind:     hidden_remainder_y
      - .offset:         158
        .size:           2
        .value_kind:     hidden_remainder_z
      - .offset:         176
        .size:           8
        .value_kind:     hidden_global_offset_x
      - .offset:         184
        .size:           8
        .value_kind:     hidden_global_offset_y
      - .offset:         192
        .size:           8
        .value_kind:     hidden_global_offset_z
      - .offset:         200
        .size:           2
        .value_kind:     hidden_grid_dims
    .group_segment_fixed_size: 32768
    .kernarg_segment_align: 8
    .kernarg_segment_size: 392
    .language:       OpenCL C
    .language_version:
      - 2
      - 0
    .max_flat_workgroup_size: 1024
    .name:           _ZL30rocblas_trmm_outofplace_kernelI19rocblas_complex_numIdELi32ELi2ELb0ELb0ELb0ELb0EPKS1_S2_S1_Ev17rocblas_diagonal_iiT6_lPT7_lllS7_lllPT8_llli
    .private_segment_fixed_size: 0
    .sgpr_count:     52
    .sgpr_spill_count: 0
    .symbol:         _ZL30rocblas_trmm_outofplace_kernelI19rocblas_complex_numIdELi32ELi2ELb0ELb0ELb0ELb0EPKS1_S2_S1_Ev17rocblas_diagonal_iiT6_lPT7_lllS7_lllPT8_llli.kd
    .uniform_work_group_size: 1
    .uses_dynamic_stack: false
    .vgpr_count:     88
    .vgpr_spill_count: 0
    .wavefront_size: 32
    .workgroup_processor_mode: 1
  - .args:
      - .offset:         0
        .size:           4
        .value_kind:     by_value
      - .offset:         4
        .size:           4
        .value_kind:     by_value
      - .offset:         8
        .size:           4
        .value_kind:     by_value
      - .offset:         16
        .size:           16
        .value_kind:     by_value
      - .offset:         32
        .size:           8
        .value_kind:     by_value
      - .address_space:  global
        .offset:         40
        .size:           8
        .value_kind:     global_buffer
      - .offset:         48
        .size:           8
        .value_kind:     by_value
      - .offset:         56
        .size:           8
        .value_kind:     by_value
      - .offset:         64
        .size:           8
        .value_kind:     by_value
      - .address_space:  global
        .offset:         72
        .size:           8
        .value_kind:     global_buffer
      - .offset:         80
        .size:           8
        .value_kind:     by_value
      - .offset:         88
        .size:           8
        .value_kind:     by_value
      - .offset:         96
        .size:           8
        .value_kind:     by_value
      - .address_space:  global
        .offset:         104
        .size:           8
        .value_kind:     global_buffer
      - .offset:         112
        .size:           8
        .value_kind:     by_value
      - .offset:         120
        .size:           8
        .value_kind:     by_value
      - .offset:         128
        .size:           8
        .value_kind:     by_value
      - .offset:         136
        .size:           4
        .value_kind:     by_value
      - .offset:         144
        .size:           4
        .value_kind:     hidden_block_count_x
      - .offset:         148
        .size:           4
        .value_kind:     hidden_block_count_y
      - .offset:         152
        .size:           4
        .value_kind:     hidden_block_count_z
      - .offset:         156
        .size:           2
        .value_kind:     hidden_group_size_x
      - .offset:         158
        .size:           2
        .value_kind:     hidden_group_size_y
      - .offset:         160
        .size:           2
        .value_kind:     hidden_group_size_z
      - .offset:         162
        .size:           2
        .value_kind:     hidden_remainder_x
      - .offset:         164
        .size:           2
        .value_kind:     hidden_remainder_y
      - .offset:         166
        .size:           2
        .value_kind:     hidden_remainder_z
      - .offset:         184
        .size:           8
        .value_kind:     hidden_global_offset_x
      - .offset:         192
        .size:           8
        .value_kind:     hidden_global_offset_y
      - .offset:         200
        .size:           8
        .value_kind:     hidden_global_offset_z
      - .offset:         208
        .size:           2
        .value_kind:     hidden_grid_dims
    .group_segment_fixed_size: 32768
    .kernarg_segment_align: 8
    .kernarg_segment_size: 400
    .language:       OpenCL C
    .language_version:
      - 2
      - 0
    .max_flat_workgroup_size: 1024
    .name:           _ZL30rocblas_trmm_outofplace_kernelI19rocblas_complex_numIdELi32ELi2ELb0ELb0ELb0ELb0ES1_KS1_S1_Ev17rocblas_diagonal_iiT6_lPT7_lllS6_lllPT8_llli
    .private_segment_fixed_size: 0
    .sgpr_count:     52
    .sgpr_spill_count: 0
    .symbol:         _ZL30rocblas_trmm_outofplace_kernelI19rocblas_complex_numIdELi32ELi2ELb0ELb0ELb0ELb0ES1_KS1_S1_Ev17rocblas_diagonal_iiT6_lPT7_lllS6_lllPT8_llli.kd
    .uniform_work_group_size: 1
    .uses_dynamic_stack: false
    .vgpr_count:     88
    .vgpr_spill_count: 0
    .wavefront_size: 32
    .workgroup_processor_mode: 1
  - .args:
      - .offset:         0
        .size:           4
        .value_kind:     by_value
      - .offset:         4
        .size:           4
        .value_kind:     by_value
      - .offset:         8
        .size:           4
        .value_kind:     by_value
      - .address_space:  global
        .offset:         16
        .size:           8
        .value_kind:     global_buffer
      - .offset:         24
        .size:           8
        .value_kind:     by_value
      - .address_space:  global
        .offset:         32
        .size:           8
        .value_kind:     global_buffer
      - .offset:         40
        .size:           8
        .value_kind:     by_value
      - .offset:         48
        .size:           8
        .value_kind:     by_value
      - .offset:         56
        .size:           8
        .value_kind:     by_value
      - .address_space:  global
        .offset:         64
        .size:           8
        .value_kind:     global_buffer
      - .offset:         72
        .size:           8
        .value_kind:     by_value
      - .offset:         80
        .size:           8
        .value_kind:     by_value
      - .offset:         88
        .size:           8
        .value_kind:     by_value
      - .address_space:  global
        .offset:         96
        .size:           8
        .value_kind:     global_buffer
      - .offset:         104
        .size:           8
        .value_kind:     by_value
      - .offset:         112
        .size:           8
        .value_kind:     by_value
      - .offset:         120
        .size:           8
        .value_kind:     by_value
      - .offset:         128
        .size:           4
        .value_kind:     by_value
      - .offset:         136
        .size:           4
        .value_kind:     hidden_block_count_x
      - .offset:         140
        .size:           4
        .value_kind:     hidden_block_count_y
      - .offset:         144
        .size:           4
        .value_kind:     hidden_block_count_z
      - .offset:         148
        .size:           2
        .value_kind:     hidden_group_size_x
      - .offset:         150
        .size:           2
        .value_kind:     hidden_group_size_y
      - .offset:         152
        .size:           2
        .value_kind:     hidden_group_size_z
      - .offset:         154
        .size:           2
        .value_kind:     hidden_remainder_x
      - .offset:         156
        .size:           2
        .value_kind:     hidden_remainder_y
      - .offset:         158
        .size:           2
        .value_kind:     hidden_remainder_z
      - .offset:         176
        .size:           8
        .value_kind:     hidden_global_offset_x
      - .offset:         184
        .size:           8
        .value_kind:     hidden_global_offset_y
      - .offset:         192
        .size:           8
        .value_kind:     hidden_global_offset_z
      - .offset:         200
        .size:           2
        .value_kind:     hidden_grid_dims
    .group_segment_fixed_size: 32768
    .kernarg_segment_align: 8
    .kernarg_segment_size: 392
    .language:       OpenCL C
    .language_version:
      - 2
      - 0
    .max_flat_workgroup_size: 1024
    .name:           _ZL30rocblas_trmm_outofplace_kernelI19rocblas_complex_numIdELi32ELi2ELb0ELb1ELb0ELb0EPKS1_S2_S1_Ev17rocblas_diagonal_iiT6_lPT7_lllS7_lllPT8_llli
    .private_segment_fixed_size: 0
    .sgpr_count:     50
    .sgpr_spill_count: 0
    .symbol:         _ZL30rocblas_trmm_outofplace_kernelI19rocblas_complex_numIdELi32ELi2ELb0ELb1ELb0ELb0EPKS1_S2_S1_Ev17rocblas_diagonal_iiT6_lPT7_lllS7_lllPT8_llli.kd
    .uniform_work_group_size: 1
    .uses_dynamic_stack: false
    .vgpr_count:     87
    .vgpr_spill_count: 0
    .wavefront_size: 32
    .workgroup_processor_mode: 1
  - .args:
      - .offset:         0
        .size:           4
        .value_kind:     by_value
      - .offset:         4
        .size:           4
        .value_kind:     by_value
      - .offset:         8
        .size:           4
        .value_kind:     by_value
      - .offset:         16
        .size:           16
        .value_kind:     by_value
      - .offset:         32
        .size:           8
        .value_kind:     by_value
      - .address_space:  global
        .offset:         40
        .size:           8
        .value_kind:     global_buffer
      - .offset:         48
        .size:           8
        .value_kind:     by_value
      - .offset:         56
        .size:           8
        .value_kind:     by_value
      - .offset:         64
        .size:           8
        .value_kind:     by_value
      - .address_space:  global
        .offset:         72
        .size:           8
        .value_kind:     global_buffer
      - .offset:         80
        .size:           8
        .value_kind:     by_value
      - .offset:         88
        .size:           8
        .value_kind:     by_value
      - .offset:         96
        .size:           8
        .value_kind:     by_value
      - .address_space:  global
        .offset:         104
        .size:           8
        .value_kind:     global_buffer
      - .offset:         112
        .size:           8
        .value_kind:     by_value
      - .offset:         120
        .size:           8
        .value_kind:     by_value
      - .offset:         128
        .size:           8
        .value_kind:     by_value
      - .offset:         136
        .size:           4
        .value_kind:     by_value
      - .offset:         144
        .size:           4
        .value_kind:     hidden_block_count_x
      - .offset:         148
        .size:           4
        .value_kind:     hidden_block_count_y
      - .offset:         152
        .size:           4
        .value_kind:     hidden_block_count_z
      - .offset:         156
        .size:           2
        .value_kind:     hidden_group_size_x
      - .offset:         158
        .size:           2
        .value_kind:     hidden_group_size_y
      - .offset:         160
        .size:           2
        .value_kind:     hidden_group_size_z
      - .offset:         162
        .size:           2
        .value_kind:     hidden_remainder_x
      - .offset:         164
        .size:           2
        .value_kind:     hidden_remainder_y
      - .offset:         166
        .size:           2
        .value_kind:     hidden_remainder_z
      - .offset:         184
        .size:           8
        .value_kind:     hidden_global_offset_x
      - .offset:         192
        .size:           8
        .value_kind:     hidden_global_offset_y
      - .offset:         200
        .size:           8
        .value_kind:     hidden_global_offset_z
      - .offset:         208
        .size:           2
        .value_kind:     hidden_grid_dims
    .group_segment_fixed_size: 32768
    .kernarg_segment_align: 8
    .kernarg_segment_size: 400
    .language:       OpenCL C
    .language_version:
      - 2
      - 0
    .max_flat_workgroup_size: 1024
    .name:           _ZL30rocblas_trmm_outofplace_kernelI19rocblas_complex_numIdELi32ELi2ELb0ELb1ELb0ELb0ES1_KS1_S1_Ev17rocblas_diagonal_iiT6_lPT7_lllS6_lllPT8_llli
    .private_segment_fixed_size: 0
    .sgpr_count:     50
    .sgpr_spill_count: 0
    .symbol:         _ZL30rocblas_trmm_outofplace_kernelI19rocblas_complex_numIdELi32ELi2ELb0ELb1ELb0ELb0ES1_KS1_S1_Ev17rocblas_diagonal_iiT6_lPT7_lllS6_lllPT8_llli.kd
    .uniform_work_group_size: 1
    .uses_dynamic_stack: false
    .vgpr_count:     87
    .vgpr_spill_count: 0
    .wavefront_size: 32
    .workgroup_processor_mode: 1
  - .args:
      - .offset:         0
        .size:           4
        .value_kind:     by_value
      - .offset:         4
        .size:           4
        .value_kind:     by_value
      - .offset:         8
        .size:           4
        .value_kind:     by_value
      - .address_space:  global
        .offset:         16
        .size:           8
        .value_kind:     global_buffer
      - .offset:         24
        .size:           8
        .value_kind:     by_value
      - .address_space:  global
        .offset:         32
        .size:           8
        .value_kind:     global_buffer
      - .offset:         40
        .size:           8
        .value_kind:     by_value
      - .offset:         48
        .size:           8
        .value_kind:     by_value
      - .offset:         56
        .size:           8
        .value_kind:     by_value
      - .address_space:  global
        .offset:         64
        .size:           8
        .value_kind:     global_buffer
      - .offset:         72
        .size:           8
        .value_kind:     by_value
      - .offset:         80
        .size:           8
        .value_kind:     by_value
      - .offset:         88
        .size:           8
        .value_kind:     by_value
      - .address_space:  global
        .offset:         96
        .size:           8
        .value_kind:     global_buffer
      - .offset:         104
        .size:           8
        .value_kind:     by_value
      - .offset:         112
        .size:           8
        .value_kind:     by_value
      - .offset:         120
        .size:           8
        .value_kind:     by_value
      - .offset:         128
        .size:           4
        .value_kind:     by_value
      - .offset:         136
        .size:           4
        .value_kind:     hidden_block_count_x
      - .offset:         140
        .size:           4
        .value_kind:     hidden_block_count_y
      - .offset:         144
        .size:           4
        .value_kind:     hidden_block_count_z
      - .offset:         148
        .size:           2
        .value_kind:     hidden_group_size_x
      - .offset:         150
        .size:           2
        .value_kind:     hidden_group_size_y
      - .offset:         152
        .size:           2
        .value_kind:     hidden_group_size_z
      - .offset:         154
        .size:           2
        .value_kind:     hidden_remainder_x
      - .offset:         156
        .size:           2
        .value_kind:     hidden_remainder_y
      - .offset:         158
        .size:           2
        .value_kind:     hidden_remainder_z
      - .offset:         176
        .size:           8
        .value_kind:     hidden_global_offset_x
      - .offset:         184
        .size:           8
        .value_kind:     hidden_global_offset_y
      - .offset:         192
        .size:           8
        .value_kind:     hidden_global_offset_z
      - .offset:         200
        .size:           2
        .value_kind:     hidden_grid_dims
    .group_segment_fixed_size: 32768
    .kernarg_segment_align: 8
    .kernarg_segment_size: 392
    .language:       OpenCL C
    .language_version:
      - 2
      - 0
    .max_flat_workgroup_size: 1024
    .name:           _ZL30rocblas_trmm_outofplace_kernelI19rocblas_complex_numIdELi32ELi2ELb0ELb0ELb1ELb0EPKS1_S2_S1_Ev17rocblas_diagonal_iiT6_lPT7_lllS7_lllPT8_llli
    .private_segment_fixed_size: 0
    .sgpr_count:     50
    .sgpr_spill_count: 0
    .symbol:         _ZL30rocblas_trmm_outofplace_kernelI19rocblas_complex_numIdELi32ELi2ELb0ELb0ELb1ELb0EPKS1_S2_S1_Ev17rocblas_diagonal_iiT6_lPT7_lllS7_lllPT8_llli.kd
    .uniform_work_group_size: 1
    .uses_dynamic_stack: false
    .vgpr_count:     92
    .vgpr_spill_count: 0
    .wavefront_size: 32
    .workgroup_processor_mode: 1
  - .args:
      - .offset:         0
        .size:           4
        .value_kind:     by_value
      - .offset:         4
        .size:           4
        .value_kind:     by_value
      - .offset:         8
        .size:           4
        .value_kind:     by_value
      - .offset:         16
        .size:           16
        .value_kind:     by_value
      - .offset:         32
        .size:           8
        .value_kind:     by_value
      - .address_space:  global
        .offset:         40
        .size:           8
        .value_kind:     global_buffer
      - .offset:         48
        .size:           8
        .value_kind:     by_value
      - .offset:         56
        .size:           8
        .value_kind:     by_value
      - .offset:         64
        .size:           8
        .value_kind:     by_value
      - .address_space:  global
        .offset:         72
        .size:           8
        .value_kind:     global_buffer
      - .offset:         80
        .size:           8
        .value_kind:     by_value
      - .offset:         88
        .size:           8
        .value_kind:     by_value
      - .offset:         96
        .size:           8
        .value_kind:     by_value
      - .address_space:  global
        .offset:         104
        .size:           8
        .value_kind:     global_buffer
      - .offset:         112
        .size:           8
        .value_kind:     by_value
      - .offset:         120
        .size:           8
        .value_kind:     by_value
      - .offset:         128
        .size:           8
        .value_kind:     by_value
      - .offset:         136
        .size:           4
        .value_kind:     by_value
      - .offset:         144
        .size:           4
        .value_kind:     hidden_block_count_x
      - .offset:         148
        .size:           4
        .value_kind:     hidden_block_count_y
      - .offset:         152
        .size:           4
        .value_kind:     hidden_block_count_z
      - .offset:         156
        .size:           2
        .value_kind:     hidden_group_size_x
      - .offset:         158
        .size:           2
        .value_kind:     hidden_group_size_y
      - .offset:         160
        .size:           2
        .value_kind:     hidden_group_size_z
      - .offset:         162
        .size:           2
        .value_kind:     hidden_remainder_x
      - .offset:         164
        .size:           2
        .value_kind:     hidden_remainder_y
      - .offset:         166
        .size:           2
        .value_kind:     hidden_remainder_z
      - .offset:         184
        .size:           8
        .value_kind:     hidden_global_offset_x
      - .offset:         192
        .size:           8
        .value_kind:     hidden_global_offset_y
      - .offset:         200
        .size:           8
        .value_kind:     hidden_global_offset_z
      - .offset:         208
        .size:           2
        .value_kind:     hidden_grid_dims
    .group_segment_fixed_size: 32768
    .kernarg_segment_align: 8
    .kernarg_segment_size: 400
    .language:       OpenCL C
    .language_version:
      - 2
      - 0
    .max_flat_workgroup_size: 1024
    .name:           _ZL30rocblas_trmm_outofplace_kernelI19rocblas_complex_numIdELi32ELi2ELb0ELb0ELb1ELb0ES1_KS1_S1_Ev17rocblas_diagonal_iiT6_lPT7_lllS6_lllPT8_llli
    .private_segment_fixed_size: 0
    .sgpr_count:     50
    .sgpr_spill_count: 0
    .symbol:         _ZL30rocblas_trmm_outofplace_kernelI19rocblas_complex_numIdELi32ELi2ELb0ELb0ELb1ELb0ES1_KS1_S1_Ev17rocblas_diagonal_iiT6_lPT7_lllS6_lllPT8_llli.kd
    .uniform_work_group_size: 1
    .uses_dynamic_stack: false
    .vgpr_count:     92
    .vgpr_spill_count: 0
    .wavefront_size: 32
    .workgroup_processor_mode: 1
  - .args:
      - .offset:         0
        .size:           4
        .value_kind:     by_value
      - .offset:         4
        .size:           4
        .value_kind:     by_value
      - .offset:         8
        .size:           4
        .value_kind:     by_value
      - .address_space:  global
        .offset:         16
        .size:           8
        .value_kind:     global_buffer
      - .offset:         24
        .size:           8
        .value_kind:     by_value
      - .address_space:  global
        .offset:         32
        .size:           8
        .value_kind:     global_buffer
      - .offset:         40
        .size:           8
        .value_kind:     by_value
      - .offset:         48
        .size:           8
        .value_kind:     by_value
      - .offset:         56
        .size:           8
        .value_kind:     by_value
      - .address_space:  global
        .offset:         64
        .size:           8
        .value_kind:     global_buffer
      - .offset:         72
        .size:           8
        .value_kind:     by_value
      - .offset:         80
        .size:           8
        .value_kind:     by_value
      - .offset:         88
        .size:           8
        .value_kind:     by_value
      - .address_space:  global
        .offset:         96
        .size:           8
        .value_kind:     global_buffer
      - .offset:         104
        .size:           8
        .value_kind:     by_value
      - .offset:         112
        .size:           8
        .value_kind:     by_value
      - .offset:         120
        .size:           8
        .value_kind:     by_value
      - .offset:         128
        .size:           4
        .value_kind:     by_value
      - .offset:         136
        .size:           4
        .value_kind:     hidden_block_count_x
      - .offset:         140
        .size:           4
        .value_kind:     hidden_block_count_y
      - .offset:         144
        .size:           4
        .value_kind:     hidden_block_count_z
      - .offset:         148
        .size:           2
        .value_kind:     hidden_group_size_x
      - .offset:         150
        .size:           2
        .value_kind:     hidden_group_size_y
      - .offset:         152
        .size:           2
        .value_kind:     hidden_group_size_z
      - .offset:         154
        .size:           2
        .value_kind:     hidden_remainder_x
      - .offset:         156
        .size:           2
        .value_kind:     hidden_remainder_y
      - .offset:         158
        .size:           2
        .value_kind:     hidden_remainder_z
      - .offset:         176
        .size:           8
        .value_kind:     hidden_global_offset_x
      - .offset:         184
        .size:           8
        .value_kind:     hidden_global_offset_y
      - .offset:         192
        .size:           8
        .value_kind:     hidden_global_offset_z
      - .offset:         200
        .size:           2
        .value_kind:     hidden_grid_dims
    .group_segment_fixed_size: 32768
    .kernarg_segment_align: 8
    .kernarg_segment_size: 392
    .language:       OpenCL C
    .language_version:
      - 2
      - 0
    .max_flat_workgroup_size: 1024
    .name:           _ZL30rocblas_trmm_outofplace_kernelI19rocblas_complex_numIdELi32ELi2ELb0ELb1ELb1ELb0EPKS1_S2_S1_Ev17rocblas_diagonal_iiT6_lPT7_lllS7_lllPT8_llli
    .private_segment_fixed_size: 0
    .sgpr_count:     56
    .sgpr_spill_count: 0
    .symbol:         _ZL30rocblas_trmm_outofplace_kernelI19rocblas_complex_numIdELi32ELi2ELb0ELb1ELb1ELb0EPKS1_S2_S1_Ev17rocblas_diagonal_iiT6_lPT7_lllS7_lllPT8_llli.kd
    .uniform_work_group_size: 1
    .uses_dynamic_stack: false
    .vgpr_count:     88
    .vgpr_spill_count: 0
    .wavefront_size: 32
    .workgroup_processor_mode: 1
  - .args:
      - .offset:         0
        .size:           4
        .value_kind:     by_value
      - .offset:         4
        .size:           4
        .value_kind:     by_value
      - .offset:         8
        .size:           4
        .value_kind:     by_value
      - .offset:         16
        .size:           16
        .value_kind:     by_value
      - .offset:         32
        .size:           8
        .value_kind:     by_value
      - .address_space:  global
        .offset:         40
        .size:           8
        .value_kind:     global_buffer
      - .offset:         48
        .size:           8
        .value_kind:     by_value
      - .offset:         56
        .size:           8
        .value_kind:     by_value
      - .offset:         64
        .size:           8
        .value_kind:     by_value
      - .address_space:  global
        .offset:         72
        .size:           8
        .value_kind:     global_buffer
      - .offset:         80
        .size:           8
        .value_kind:     by_value
      - .offset:         88
        .size:           8
        .value_kind:     by_value
      - .offset:         96
        .size:           8
        .value_kind:     by_value
      - .address_space:  global
        .offset:         104
        .size:           8
        .value_kind:     global_buffer
      - .offset:         112
        .size:           8
        .value_kind:     by_value
      - .offset:         120
        .size:           8
        .value_kind:     by_value
      - .offset:         128
        .size:           8
        .value_kind:     by_value
      - .offset:         136
        .size:           4
        .value_kind:     by_value
      - .offset:         144
        .size:           4
        .value_kind:     hidden_block_count_x
      - .offset:         148
        .size:           4
        .value_kind:     hidden_block_count_y
      - .offset:         152
        .size:           4
        .value_kind:     hidden_block_count_z
      - .offset:         156
        .size:           2
        .value_kind:     hidden_group_size_x
      - .offset:         158
        .size:           2
        .value_kind:     hidden_group_size_y
      - .offset:         160
        .size:           2
        .value_kind:     hidden_group_size_z
      - .offset:         162
        .size:           2
        .value_kind:     hidden_remainder_x
      - .offset:         164
        .size:           2
        .value_kind:     hidden_remainder_y
      - .offset:         166
        .size:           2
        .value_kind:     hidden_remainder_z
      - .offset:         184
        .size:           8
        .value_kind:     hidden_global_offset_x
      - .offset:         192
        .size:           8
        .value_kind:     hidden_global_offset_y
      - .offset:         200
        .size:           8
        .value_kind:     hidden_global_offset_z
      - .offset:         208
        .size:           2
        .value_kind:     hidden_grid_dims
    .group_segment_fixed_size: 32768
    .kernarg_segment_align: 8
    .kernarg_segment_size: 400
    .language:       OpenCL C
    .language_version:
      - 2
      - 0
    .max_flat_workgroup_size: 1024
    .name:           _ZL30rocblas_trmm_outofplace_kernelI19rocblas_complex_numIdELi32ELi2ELb0ELb1ELb1ELb0ES1_KS1_S1_Ev17rocblas_diagonal_iiT6_lPT7_lllS6_lllPT8_llli
    .private_segment_fixed_size: 0
    .sgpr_count:     56
    .sgpr_spill_count: 0
    .symbol:         _ZL30rocblas_trmm_outofplace_kernelI19rocblas_complex_numIdELi32ELi2ELb0ELb1ELb1ELb0ES1_KS1_S1_Ev17rocblas_diagonal_iiT6_lPT7_lllS6_lllPT8_llli.kd
    .uniform_work_group_size: 1
    .uses_dynamic_stack: false
    .vgpr_count:     88
    .vgpr_spill_count: 0
    .wavefront_size: 32
    .workgroup_processor_mode: 1
  - .args:
      - .offset:         0
        .size:           4
        .value_kind:     by_value
      - .offset:         4
        .size:           4
        .value_kind:     by_value
      - .offset:         8
        .size:           4
        .value_kind:     by_value
      - .address_space:  global
        .offset:         16
        .size:           8
        .value_kind:     global_buffer
      - .offset:         24
        .size:           8
        .value_kind:     by_value
      - .address_space:  global
        .offset:         32
        .size:           8
        .value_kind:     global_buffer
      - .offset:         40
        .size:           8
        .value_kind:     by_value
      - .offset:         48
        .size:           8
        .value_kind:     by_value
      - .offset:         56
        .size:           8
        .value_kind:     by_value
      - .address_space:  global
        .offset:         64
        .size:           8
        .value_kind:     global_buffer
      - .offset:         72
        .size:           8
        .value_kind:     by_value
      - .offset:         80
        .size:           8
        .value_kind:     by_value
      - .offset:         88
        .size:           8
        .value_kind:     by_value
      - .address_space:  global
        .offset:         96
        .size:           8
        .value_kind:     global_buffer
      - .offset:         104
        .size:           8
        .value_kind:     by_value
      - .offset:         112
        .size:           8
        .value_kind:     by_value
      - .offset:         120
        .size:           8
        .value_kind:     by_value
      - .offset:         128
        .size:           4
        .value_kind:     by_value
      - .offset:         136
        .size:           4
        .value_kind:     hidden_block_count_x
      - .offset:         140
        .size:           4
        .value_kind:     hidden_block_count_y
      - .offset:         144
        .size:           4
        .value_kind:     hidden_block_count_z
      - .offset:         148
        .size:           2
        .value_kind:     hidden_group_size_x
      - .offset:         150
        .size:           2
        .value_kind:     hidden_group_size_y
      - .offset:         152
        .size:           2
        .value_kind:     hidden_group_size_z
      - .offset:         154
        .size:           2
        .value_kind:     hidden_remainder_x
      - .offset:         156
        .size:           2
        .value_kind:     hidden_remainder_y
      - .offset:         158
        .size:           2
        .value_kind:     hidden_remainder_z
      - .offset:         176
        .size:           8
        .value_kind:     hidden_global_offset_x
      - .offset:         184
        .size:           8
        .value_kind:     hidden_global_offset_y
      - .offset:         192
        .size:           8
        .value_kind:     hidden_global_offset_z
      - .offset:         200
        .size:           2
        .value_kind:     hidden_grid_dims
    .group_segment_fixed_size: 32768
    .kernarg_segment_align: 8
    .kernarg_segment_size: 392
    .language:       OpenCL C
    .language_version:
      - 2
      - 0
    .max_flat_workgroup_size: 1024
    .name:           _ZL30rocblas_trmm_outofplace_kernelI19rocblas_complex_numIdELi32ELi2ELb0ELb0ELb1ELb1EPKS1_S2_S1_Ev17rocblas_diagonal_iiT6_lPT7_lllS7_lllPT8_llli
    .private_segment_fixed_size: 0
    .sgpr_count:     53
    .sgpr_spill_count: 0
    .symbol:         _ZL30rocblas_trmm_outofplace_kernelI19rocblas_complex_numIdELi32ELi2ELb0ELb0ELb1ELb1EPKS1_S2_S1_Ev17rocblas_diagonal_iiT6_lPT7_lllS7_lllPT8_llli.kd
    .uniform_work_group_size: 1
    .uses_dynamic_stack: false
    .vgpr_count:     89
    .vgpr_spill_count: 0
    .wavefront_size: 32
    .workgroup_processor_mode: 1
  - .args:
      - .offset:         0
        .size:           4
        .value_kind:     by_value
      - .offset:         4
        .size:           4
        .value_kind:     by_value
      - .offset:         8
        .size:           4
        .value_kind:     by_value
      - .offset:         16
        .size:           16
        .value_kind:     by_value
      - .offset:         32
        .size:           8
        .value_kind:     by_value
      - .address_space:  global
        .offset:         40
        .size:           8
        .value_kind:     global_buffer
      - .offset:         48
        .size:           8
        .value_kind:     by_value
      - .offset:         56
        .size:           8
        .value_kind:     by_value
      - .offset:         64
        .size:           8
        .value_kind:     by_value
      - .address_space:  global
        .offset:         72
        .size:           8
        .value_kind:     global_buffer
      - .offset:         80
        .size:           8
        .value_kind:     by_value
      - .offset:         88
        .size:           8
        .value_kind:     by_value
      - .offset:         96
        .size:           8
        .value_kind:     by_value
      - .address_space:  global
        .offset:         104
        .size:           8
        .value_kind:     global_buffer
      - .offset:         112
        .size:           8
        .value_kind:     by_value
      - .offset:         120
        .size:           8
        .value_kind:     by_value
      - .offset:         128
        .size:           8
        .value_kind:     by_value
      - .offset:         136
        .size:           4
        .value_kind:     by_value
      - .offset:         144
        .size:           4
        .value_kind:     hidden_block_count_x
      - .offset:         148
        .size:           4
        .value_kind:     hidden_block_count_y
      - .offset:         152
        .size:           4
        .value_kind:     hidden_block_count_z
      - .offset:         156
        .size:           2
        .value_kind:     hidden_group_size_x
      - .offset:         158
        .size:           2
        .value_kind:     hidden_group_size_y
      - .offset:         160
        .size:           2
        .value_kind:     hidden_group_size_z
      - .offset:         162
        .size:           2
        .value_kind:     hidden_remainder_x
      - .offset:         164
        .size:           2
        .value_kind:     hidden_remainder_y
      - .offset:         166
        .size:           2
        .value_kind:     hidden_remainder_z
      - .offset:         184
        .size:           8
        .value_kind:     hidden_global_offset_x
      - .offset:         192
        .size:           8
        .value_kind:     hidden_global_offset_y
      - .offset:         200
        .size:           8
        .value_kind:     hidden_global_offset_z
      - .offset:         208
        .size:           2
        .value_kind:     hidden_grid_dims
    .group_segment_fixed_size: 32768
    .kernarg_segment_align: 8
    .kernarg_segment_size: 400
    .language:       OpenCL C
    .language_version:
      - 2
      - 0
    .max_flat_workgroup_size: 1024
    .name:           _ZL30rocblas_trmm_outofplace_kernelI19rocblas_complex_numIdELi32ELi2ELb0ELb0ELb1ELb1ES1_KS1_S1_Ev17rocblas_diagonal_iiT6_lPT7_lllS6_lllPT8_llli
    .private_segment_fixed_size: 0
    .sgpr_count:     50
    .sgpr_spill_count: 0
    .symbol:         _ZL30rocblas_trmm_outofplace_kernelI19rocblas_complex_numIdELi32ELi2ELb0ELb0ELb1ELb1ES1_KS1_S1_Ev17rocblas_diagonal_iiT6_lPT7_lllS6_lllPT8_llli.kd
    .uniform_work_group_size: 1
    .uses_dynamic_stack: false
    .vgpr_count:     89
    .vgpr_spill_count: 0
    .wavefront_size: 32
    .workgroup_processor_mode: 1
  - .args:
      - .offset:         0
        .size:           4
        .value_kind:     by_value
      - .offset:         4
        .size:           4
        .value_kind:     by_value
      - .offset:         8
        .size:           4
        .value_kind:     by_value
      - .address_space:  global
        .offset:         16
        .size:           8
        .value_kind:     global_buffer
      - .offset:         24
        .size:           8
        .value_kind:     by_value
      - .address_space:  global
        .offset:         32
        .size:           8
        .value_kind:     global_buffer
      - .offset:         40
        .size:           8
        .value_kind:     by_value
      - .offset:         48
        .size:           8
        .value_kind:     by_value
      - .offset:         56
        .size:           8
        .value_kind:     by_value
      - .address_space:  global
        .offset:         64
        .size:           8
        .value_kind:     global_buffer
      - .offset:         72
        .size:           8
        .value_kind:     by_value
      - .offset:         80
        .size:           8
        .value_kind:     by_value
      - .offset:         88
        .size:           8
        .value_kind:     by_value
      - .address_space:  global
        .offset:         96
        .size:           8
        .value_kind:     global_buffer
      - .offset:         104
        .size:           8
        .value_kind:     by_value
      - .offset:         112
        .size:           8
        .value_kind:     by_value
      - .offset:         120
        .size:           8
        .value_kind:     by_value
      - .offset:         128
        .size:           4
        .value_kind:     by_value
      - .offset:         136
        .size:           4
        .value_kind:     hidden_block_count_x
      - .offset:         140
        .size:           4
        .value_kind:     hidden_block_count_y
      - .offset:         144
        .size:           4
        .value_kind:     hidden_block_count_z
      - .offset:         148
        .size:           2
        .value_kind:     hidden_group_size_x
      - .offset:         150
        .size:           2
        .value_kind:     hidden_group_size_y
      - .offset:         152
        .size:           2
        .value_kind:     hidden_group_size_z
      - .offset:         154
        .size:           2
        .value_kind:     hidden_remainder_x
      - .offset:         156
        .size:           2
        .value_kind:     hidden_remainder_y
      - .offset:         158
        .size:           2
        .value_kind:     hidden_remainder_z
      - .offset:         176
        .size:           8
        .value_kind:     hidden_global_offset_x
      - .offset:         184
        .size:           8
        .value_kind:     hidden_global_offset_y
      - .offset:         192
        .size:           8
        .value_kind:     hidden_global_offset_z
      - .offset:         200
        .size:           2
        .value_kind:     hidden_grid_dims
    .group_segment_fixed_size: 32768
    .kernarg_segment_align: 8
    .kernarg_segment_size: 392
    .language:       OpenCL C
    .language_version:
      - 2
      - 0
    .max_flat_workgroup_size: 1024
    .name:           _ZL30rocblas_trmm_outofplace_kernelI19rocblas_complex_numIdELi32ELi2ELb0ELb1ELb1ELb1EPKS1_S2_S1_Ev17rocblas_diagonal_iiT6_lPT7_lllS7_lllPT8_llli
    .private_segment_fixed_size: 0
    .sgpr_count:     50
    .sgpr_spill_count: 0
    .symbol:         _ZL30rocblas_trmm_outofplace_kernelI19rocblas_complex_numIdELi32ELi2ELb0ELb1ELb1ELb1EPKS1_S2_S1_Ev17rocblas_diagonal_iiT6_lPT7_lllS7_lllPT8_llli.kd
    .uniform_work_group_size: 1
    .uses_dynamic_stack: false
    .vgpr_count:     85
    .vgpr_spill_count: 0
    .wavefront_size: 32
    .workgroup_processor_mode: 1
  - .args:
      - .offset:         0
        .size:           4
        .value_kind:     by_value
      - .offset:         4
        .size:           4
        .value_kind:     by_value
      - .offset:         8
        .size:           4
        .value_kind:     by_value
      - .offset:         16
        .size:           16
        .value_kind:     by_value
      - .offset:         32
        .size:           8
        .value_kind:     by_value
      - .address_space:  global
        .offset:         40
        .size:           8
        .value_kind:     global_buffer
      - .offset:         48
        .size:           8
        .value_kind:     by_value
      - .offset:         56
        .size:           8
        .value_kind:     by_value
      - .offset:         64
        .size:           8
        .value_kind:     by_value
      - .address_space:  global
        .offset:         72
        .size:           8
        .value_kind:     global_buffer
      - .offset:         80
        .size:           8
        .value_kind:     by_value
      - .offset:         88
        .size:           8
        .value_kind:     by_value
      - .offset:         96
        .size:           8
        .value_kind:     by_value
      - .address_space:  global
        .offset:         104
        .size:           8
        .value_kind:     global_buffer
      - .offset:         112
        .size:           8
        .value_kind:     by_value
      - .offset:         120
        .size:           8
        .value_kind:     by_value
      - .offset:         128
        .size:           8
        .value_kind:     by_value
      - .offset:         136
        .size:           4
        .value_kind:     by_value
      - .offset:         144
        .size:           4
        .value_kind:     hidden_block_count_x
      - .offset:         148
        .size:           4
        .value_kind:     hidden_block_count_y
      - .offset:         152
        .size:           4
        .value_kind:     hidden_block_count_z
      - .offset:         156
        .size:           2
        .value_kind:     hidden_group_size_x
      - .offset:         158
        .size:           2
        .value_kind:     hidden_group_size_y
      - .offset:         160
        .size:           2
        .value_kind:     hidden_group_size_z
      - .offset:         162
        .size:           2
        .value_kind:     hidden_remainder_x
      - .offset:         164
        .size:           2
        .value_kind:     hidden_remainder_y
      - .offset:         166
        .size:           2
        .value_kind:     hidden_remainder_z
      - .offset:         184
        .size:           8
        .value_kind:     hidden_global_offset_x
      - .offset:         192
        .size:           8
        .value_kind:     hidden_global_offset_y
      - .offset:         200
        .size:           8
        .value_kind:     hidden_global_offset_z
      - .offset:         208
        .size:           2
        .value_kind:     hidden_grid_dims
    .group_segment_fixed_size: 32768
    .kernarg_segment_align: 8
    .kernarg_segment_size: 400
    .language:       OpenCL C
    .language_version:
      - 2
      - 0
    .max_flat_workgroup_size: 1024
    .name:           _ZL30rocblas_trmm_outofplace_kernelI19rocblas_complex_numIdELi32ELi2ELb0ELb1ELb1ELb1ES1_KS1_S1_Ev17rocblas_diagonal_iiT6_lPT7_lllS6_lllPT8_llli
    .private_segment_fixed_size: 0
    .sgpr_count:     50
    .sgpr_spill_count: 0
    .symbol:         _ZL30rocblas_trmm_outofplace_kernelI19rocblas_complex_numIdELi32ELi2ELb0ELb1ELb1ELb1ES1_KS1_S1_Ev17rocblas_diagonal_iiT6_lPT7_lllS6_lllPT8_llli.kd
    .uniform_work_group_size: 1
    .uses_dynamic_stack: false
    .vgpr_count:     85
    .vgpr_spill_count: 0
    .wavefront_size: 32
    .workgroup_processor_mode: 1
  - .args:
      - .offset:         0
        .size:           4
        .value_kind:     by_value
      - .offset:         4
        .size:           4
        .value_kind:     by_value
      - .offset:         8
        .size:           4
        .value_kind:     by_value
      - .offset:         12
        .size:           4
        .value_kind:     by_value
      - .address_space:  global
        .offset:         16
        .size:           8
        .value_kind:     global_buffer
      - .offset:         24
        .size:           8
        .value_kind:     by_value
      - .address_space:  global
        .offset:         32
        .size:           8
        .value_kind:     global_buffer
      - .offset:         40
        .size:           8
        .value_kind:     by_value
      - .offset:         48
        .size:           8
        .value_kind:     by_value
      - .address_space:  global
        .offset:         56
        .size:           8
        .value_kind:     global_buffer
      - .offset:         64
        .size:           8
        .value_kind:     by_value
      - .offset:         72
        .size:           8
        .value_kind:     by_value
      - .address_space:  global
        .offset:         80
        .size:           8
        .value_kind:     global_buffer
      - .offset:         88
        .size:           8
        .value_kind:     by_value
      - .offset:         96
        .size:           8
        .value_kind:     by_value
      - .offset:         104
        .size:           4
        .value_kind:     by_value
    .group_segment_fixed_size: 8192
    .kernarg_segment_align: 8
    .kernarg_segment_size: 108
    .language:       OpenCL C
    .language_version:
      - 2
      - 0
    .max_flat_workgroup_size: 256
    .name:           _ZL23rocblas_trmm_lNx_kernelILi16E19rocblas_complex_numIdEPKS1_S2_S1_Ev13rocblas_fill_17rocblas_diagonal_iiT1_lPT2_llS8_llPT3_lli
    .private_segment_fixed_size: 0
    .sgpr_count:     30
    .sgpr_spill_count: 0
    .symbol:         _ZL23rocblas_trmm_lNx_kernelILi16E19rocblas_complex_numIdEPKS1_S2_S1_Ev13rocblas_fill_17rocblas_diagonal_iiT1_lPT2_llS8_llPT3_lli.kd
    .uniform_work_group_size: 1
    .uses_dynamic_stack: false
    .vgpr_count:     45
    .vgpr_spill_count: 0
    .wavefront_size: 32
    .workgroup_processor_mode: 1
  - .args:
      - .offset:         0
        .size:           4
        .value_kind:     by_value
      - .offset:         4
        .size:           4
        .value_kind:     by_value
      - .offset:         8
        .size:           4
        .value_kind:     by_value
      - .offset:         12
        .size:           4
        .value_kind:     by_value
      - .offset:         16
        .size:           16
        .value_kind:     by_value
      - .offset:         32
        .size:           8
        .value_kind:     by_value
      - .address_space:  global
        .offset:         40
        .size:           8
        .value_kind:     global_buffer
      - .offset:         48
        .size:           8
        .value_kind:     by_value
      - .offset:         56
        .size:           8
        .value_kind:     by_value
      - .address_space:  global
        .offset:         64
        .size:           8
        .value_kind:     global_buffer
      - .offset:         72
        .size:           8
        .value_kind:     by_value
      - .offset:         80
        .size:           8
        .value_kind:     by_value
      - .address_space:  global
        .offset:         88
        .size:           8
        .value_kind:     global_buffer
      - .offset:         96
        .size:           8
        .value_kind:     by_value
      - .offset:         104
        .size:           8
        .value_kind:     by_value
      - .offset:         112
        .size:           4
        .value_kind:     by_value
    .group_segment_fixed_size: 8192
    .kernarg_segment_align: 8
    .kernarg_segment_size: 116
    .language:       OpenCL C
    .language_version:
      - 2
      - 0
    .max_flat_workgroup_size: 256
    .name:           _ZL23rocblas_trmm_lNx_kernelILi16E19rocblas_complex_numIdES1_KS1_S1_Ev13rocblas_fill_17rocblas_diagonal_iiT1_lPT2_llS7_llPT3_lli
    .private_segment_fixed_size: 0
    .sgpr_count:     34
    .sgpr_spill_count: 0
    .symbol:         _ZL23rocblas_trmm_lNx_kernelILi16E19rocblas_complex_numIdES1_KS1_S1_Ev13rocblas_fill_17rocblas_diagonal_iiT1_lPT2_llS7_llPT3_lli.kd
    .uniform_work_group_size: 1
    .uses_dynamic_stack: false
    .vgpr_count:     45
    .vgpr_spill_count: 0
    .wavefront_size: 32
    .workgroup_processor_mode: 1
  - .args:
      - .offset:         0
        .size:           4
        .value_kind:     by_value
      - .offset:         4
        .size:           4
        .value_kind:     by_value
      - .offset:         8
        .size:           4
        .value_kind:     by_value
      - .offset:         12
        .size:           4
        .value_kind:     by_value
      - .address_space:  global
        .offset:         16
        .size:           8
        .value_kind:     global_buffer
      - .offset:         24
        .size:           8
        .value_kind:     by_value
      - .address_space:  global
        .offset:         32
        .size:           8
        .value_kind:     global_buffer
      - .offset:         40
        .size:           8
        .value_kind:     by_value
      - .offset:         48
        .size:           8
        .value_kind:     by_value
      - .address_space:  global
        .offset:         56
        .size:           8
        .value_kind:     global_buffer
      - .offset:         64
        .size:           8
        .value_kind:     by_value
      - .offset:         72
        .size:           8
        .value_kind:     by_value
      - .address_space:  global
        .offset:         80
        .size:           8
        .value_kind:     global_buffer
      - .offset:         88
        .size:           8
        .value_kind:     by_value
      - .offset:         96
        .size:           8
        .value_kind:     by_value
      - .offset:         104
        .size:           4
        .value_kind:     by_value
    .group_segment_fixed_size: 8192
    .kernarg_segment_align: 8
    .kernarg_segment_size: 108
    .language:       OpenCL C
    .language_version:
      - 2
      - 0
    .max_flat_workgroup_size: 256
    .name:           _ZL23rocblas_trmm_lTx_kernelILi16ELb0E19rocblas_complex_numIdEPKS1_S2_S1_Ev13rocblas_fill_17rocblas_diagonal_iiT2_lPT3_llS8_llPT4_lli
    .private_segment_fixed_size: 0
    .sgpr_count:     30
    .sgpr_spill_count: 0
    .symbol:         _ZL23rocblas_trmm_lTx_kernelILi16ELb0E19rocblas_complex_numIdEPKS1_S2_S1_Ev13rocblas_fill_17rocblas_diagonal_iiT2_lPT3_llS8_llPT4_lli.kd
    .uniform_work_group_size: 1
    .uses_dynamic_stack: false
    .vgpr_count:     45
    .vgpr_spill_count: 0
    .wavefront_size: 32
    .workgroup_processor_mode: 1
  - .args:
      - .offset:         0
        .size:           4
        .value_kind:     by_value
      - .offset:         4
        .size:           4
        .value_kind:     by_value
      - .offset:         8
        .size:           4
        .value_kind:     by_value
      - .offset:         12
        .size:           4
        .value_kind:     by_value
      - .offset:         16
        .size:           16
        .value_kind:     by_value
      - .offset:         32
        .size:           8
        .value_kind:     by_value
      - .address_space:  global
        .offset:         40
        .size:           8
        .value_kind:     global_buffer
      - .offset:         48
        .size:           8
        .value_kind:     by_value
      - .offset:         56
        .size:           8
        .value_kind:     by_value
      - .address_space:  global
        .offset:         64
        .size:           8
        .value_kind:     global_buffer
      - .offset:         72
        .size:           8
        .value_kind:     by_value
      - .offset:         80
        .size:           8
        .value_kind:     by_value
      - .address_space:  global
        .offset:         88
        .size:           8
        .value_kind:     global_buffer
      - .offset:         96
        .size:           8
        .value_kind:     by_value
      - .offset:         104
        .size:           8
        .value_kind:     by_value
      - .offset:         112
        .size:           4
        .value_kind:     by_value
    .group_segment_fixed_size: 8192
    .kernarg_segment_align: 8
    .kernarg_segment_size: 116
    .language:       OpenCL C
    .language_version:
      - 2
      - 0
    .max_flat_workgroup_size: 256
    .name:           _ZL23rocblas_trmm_lTx_kernelILi16ELb0E19rocblas_complex_numIdES1_KS1_S1_Ev13rocblas_fill_17rocblas_diagonal_iiT2_lPT3_llS7_llPT4_lli
    .private_segment_fixed_size: 0
    .sgpr_count:     34
    .sgpr_spill_count: 0
    .symbol:         _ZL23rocblas_trmm_lTx_kernelILi16ELb0E19rocblas_complex_numIdES1_KS1_S1_Ev13rocblas_fill_17rocblas_diagonal_iiT2_lPT3_llS7_llPT4_lli.kd
    .uniform_work_group_size: 1
    .uses_dynamic_stack: false
    .vgpr_count:     45
    .vgpr_spill_count: 0
    .wavefront_size: 32
    .workgroup_processor_mode: 1
  - .args:
      - .offset:         0
        .size:           4
        .value_kind:     by_value
      - .offset:         4
        .size:           4
        .value_kind:     by_value
      - .offset:         8
        .size:           4
        .value_kind:     by_value
      - .offset:         12
        .size:           4
        .value_kind:     by_value
      - .address_space:  global
        .offset:         16
        .size:           8
        .value_kind:     global_buffer
      - .offset:         24
        .size:           8
        .value_kind:     by_value
      - .address_space:  global
        .offset:         32
        .size:           8
        .value_kind:     global_buffer
      - .offset:         40
        .size:           8
        .value_kind:     by_value
      - .offset:         48
        .size:           8
        .value_kind:     by_value
      - .address_space:  global
        .offset:         56
        .size:           8
        .value_kind:     global_buffer
      - .offset:         64
        .size:           8
        .value_kind:     by_value
      - .offset:         72
        .size:           8
        .value_kind:     by_value
      - .address_space:  global
        .offset:         80
        .size:           8
        .value_kind:     global_buffer
      - .offset:         88
        .size:           8
        .value_kind:     by_value
      - .offset:         96
        .size:           8
        .value_kind:     by_value
      - .offset:         104
        .size:           4
        .value_kind:     by_value
    .group_segment_fixed_size: 8192
    .kernarg_segment_align: 8
    .kernarg_segment_size: 108
    .language:       OpenCL C
    .language_version:
      - 2
      - 0
    .max_flat_workgroup_size: 256
    .name:           _ZL23rocblas_trmm_lTx_kernelILi16ELb1E19rocblas_complex_numIdEPKS1_S2_S1_Ev13rocblas_fill_17rocblas_diagonal_iiT2_lPT3_llS8_llPT4_lli
    .private_segment_fixed_size: 0
    .sgpr_count:     30
    .sgpr_spill_count: 0
    .symbol:         _ZL23rocblas_trmm_lTx_kernelILi16ELb1E19rocblas_complex_numIdEPKS1_S2_S1_Ev13rocblas_fill_17rocblas_diagonal_iiT2_lPT3_llS8_llPT4_lli.kd
    .uniform_work_group_size: 1
    .uses_dynamic_stack: false
    .vgpr_count:     45
    .vgpr_spill_count: 0
    .wavefront_size: 32
    .workgroup_processor_mode: 1
  - .args:
      - .offset:         0
        .size:           4
        .value_kind:     by_value
      - .offset:         4
        .size:           4
        .value_kind:     by_value
      - .offset:         8
        .size:           4
        .value_kind:     by_value
      - .offset:         12
        .size:           4
        .value_kind:     by_value
      - .offset:         16
        .size:           16
        .value_kind:     by_value
      - .offset:         32
        .size:           8
        .value_kind:     by_value
      - .address_space:  global
        .offset:         40
        .size:           8
        .value_kind:     global_buffer
      - .offset:         48
        .size:           8
        .value_kind:     by_value
      - .offset:         56
        .size:           8
        .value_kind:     by_value
      - .address_space:  global
        .offset:         64
        .size:           8
        .value_kind:     global_buffer
      - .offset:         72
        .size:           8
        .value_kind:     by_value
      - .offset:         80
        .size:           8
        .value_kind:     by_value
      - .address_space:  global
        .offset:         88
        .size:           8
        .value_kind:     global_buffer
      - .offset:         96
        .size:           8
        .value_kind:     by_value
      - .offset:         104
        .size:           8
        .value_kind:     by_value
      - .offset:         112
        .size:           4
        .value_kind:     by_value
    .group_segment_fixed_size: 8192
    .kernarg_segment_align: 8
    .kernarg_segment_size: 116
    .language:       OpenCL C
    .language_version:
      - 2
      - 0
    .max_flat_workgroup_size: 256
    .name:           _ZL23rocblas_trmm_lTx_kernelILi16ELb1E19rocblas_complex_numIdES1_KS1_S1_Ev13rocblas_fill_17rocblas_diagonal_iiT2_lPT3_llS7_llPT4_lli
    .private_segment_fixed_size: 0
    .sgpr_count:     34
    .sgpr_spill_count: 0
    .symbol:         _ZL23rocblas_trmm_lTx_kernelILi16ELb1E19rocblas_complex_numIdES1_KS1_S1_Ev13rocblas_fill_17rocblas_diagonal_iiT2_lPT3_llS7_llPT4_lli.kd
    .uniform_work_group_size: 1
    .uses_dynamic_stack: false
    .vgpr_count:     45
    .vgpr_spill_count: 0
    .wavefront_size: 32
    .workgroup_processor_mode: 1
  - .args:
      - .offset:         0
        .size:           4
        .value_kind:     by_value
      - .offset:         4
        .size:           4
        .value_kind:     by_value
      - .offset:         8
        .size:           4
        .value_kind:     by_value
      - .offset:         12
        .size:           4
        .value_kind:     by_value
      - .address_space:  global
        .offset:         16
        .size:           8
        .value_kind:     global_buffer
      - .offset:         24
        .size:           8
        .value_kind:     by_value
      - .address_space:  global
        .offset:         32
        .size:           8
        .value_kind:     global_buffer
      - .offset:         40
        .size:           8
        .value_kind:     by_value
      - .offset:         48
        .size:           8
        .value_kind:     by_value
      - .address_space:  global
        .offset:         56
        .size:           8
        .value_kind:     global_buffer
      - .offset:         64
        .size:           8
        .value_kind:     by_value
      - .offset:         72
        .size:           8
        .value_kind:     by_value
      - .address_space:  global
        .offset:         80
        .size:           8
        .value_kind:     global_buffer
      - .offset:         88
        .size:           8
        .value_kind:     by_value
      - .offset:         96
        .size:           8
        .value_kind:     by_value
      - .offset:         104
        .size:           4
        .value_kind:     by_value
    .group_segment_fixed_size: 8192
    .kernarg_segment_align: 8
    .kernarg_segment_size: 108
    .language:       OpenCL C
    .language_version:
      - 2
      - 0
    .max_flat_workgroup_size: 256
    .name:           _ZL23rocblas_trmm_rNx_kernelILi16E19rocblas_complex_numIdEPKS1_S2_S1_Ev13rocblas_fill_17rocblas_diagonal_iiT1_lPT2_llS8_llPT3_lli
    .private_segment_fixed_size: 0
    .sgpr_count:     30
    .sgpr_spill_count: 0
    .symbol:         _ZL23rocblas_trmm_rNx_kernelILi16E19rocblas_complex_numIdEPKS1_S2_S1_Ev13rocblas_fill_17rocblas_diagonal_iiT1_lPT2_llS8_llPT3_lli.kd
    .uniform_work_group_size: 1
    .uses_dynamic_stack: false
    .vgpr_count:     45
    .vgpr_spill_count: 0
    .wavefront_size: 32
    .workgroup_processor_mode: 1
  - .args:
      - .offset:         0
        .size:           4
        .value_kind:     by_value
      - .offset:         4
        .size:           4
        .value_kind:     by_value
      - .offset:         8
        .size:           4
        .value_kind:     by_value
      - .offset:         12
        .size:           4
        .value_kind:     by_value
      - .offset:         16
        .size:           16
        .value_kind:     by_value
      - .offset:         32
        .size:           8
        .value_kind:     by_value
      - .address_space:  global
        .offset:         40
        .size:           8
        .value_kind:     global_buffer
      - .offset:         48
        .size:           8
        .value_kind:     by_value
      - .offset:         56
        .size:           8
        .value_kind:     by_value
      - .address_space:  global
        .offset:         64
        .size:           8
        .value_kind:     global_buffer
      - .offset:         72
        .size:           8
        .value_kind:     by_value
      - .offset:         80
        .size:           8
        .value_kind:     by_value
      - .address_space:  global
        .offset:         88
        .size:           8
        .value_kind:     global_buffer
      - .offset:         96
        .size:           8
        .value_kind:     by_value
      - .offset:         104
        .size:           8
        .value_kind:     by_value
      - .offset:         112
        .size:           4
        .value_kind:     by_value
    .group_segment_fixed_size: 8192
    .kernarg_segment_align: 8
    .kernarg_segment_size: 116
    .language:       OpenCL C
    .language_version:
      - 2
      - 0
    .max_flat_workgroup_size: 256
    .name:           _ZL23rocblas_trmm_rNx_kernelILi16E19rocblas_complex_numIdES1_KS1_S1_Ev13rocblas_fill_17rocblas_diagonal_iiT1_lPT2_llS7_llPT3_lli
    .private_segment_fixed_size: 0
    .sgpr_count:     34
    .sgpr_spill_count: 0
    .symbol:         _ZL23rocblas_trmm_rNx_kernelILi16E19rocblas_complex_numIdES1_KS1_S1_Ev13rocblas_fill_17rocblas_diagonal_iiT1_lPT2_llS7_llPT3_lli.kd
    .uniform_work_group_size: 1
    .uses_dynamic_stack: false
    .vgpr_count:     45
    .vgpr_spill_count: 0
    .wavefront_size: 32
    .workgroup_processor_mode: 1
  - .args:
      - .offset:         0
        .size:           4
        .value_kind:     by_value
      - .offset:         4
        .size:           4
        .value_kind:     by_value
      - .offset:         8
        .size:           4
        .value_kind:     by_value
      - .offset:         12
        .size:           4
        .value_kind:     by_value
      - .address_space:  global
        .offset:         16
        .size:           8
        .value_kind:     global_buffer
      - .offset:         24
        .size:           8
        .value_kind:     by_value
      - .address_space:  global
        .offset:         32
        .size:           8
        .value_kind:     global_buffer
      - .offset:         40
        .size:           8
        .value_kind:     by_value
      - .offset:         48
        .size:           8
        .value_kind:     by_value
      - .address_space:  global
        .offset:         56
        .size:           8
        .value_kind:     global_buffer
      - .offset:         64
        .size:           8
        .value_kind:     by_value
      - .offset:         72
        .size:           8
        .value_kind:     by_value
      - .address_space:  global
        .offset:         80
        .size:           8
        .value_kind:     global_buffer
      - .offset:         88
        .size:           8
        .value_kind:     by_value
      - .offset:         96
        .size:           8
        .value_kind:     by_value
      - .offset:         104
        .size:           4
        .value_kind:     by_value
    .group_segment_fixed_size: 8192
    .kernarg_segment_align: 8
    .kernarg_segment_size: 108
    .language:       OpenCL C
    .language_version:
      - 2
      - 0
    .max_flat_workgroup_size: 256
    .name:           _ZL23rocblas_trmm_rTx_kernelILi16ELb0E19rocblas_complex_numIdEPKS1_S2_S1_Ev13rocblas_fill_17rocblas_diagonal_iiT2_lPT3_llS8_llPT4_lli
    .private_segment_fixed_size: 0
    .sgpr_count:     30
    .sgpr_spill_count: 0
    .symbol:         _ZL23rocblas_trmm_rTx_kernelILi16ELb0E19rocblas_complex_numIdEPKS1_S2_S1_Ev13rocblas_fill_17rocblas_diagonal_iiT2_lPT3_llS8_llPT4_lli.kd
    .uniform_work_group_size: 1
    .uses_dynamic_stack: false
    .vgpr_count:     46
    .vgpr_spill_count: 0
    .wavefront_size: 32
    .workgroup_processor_mode: 1
  - .args:
      - .offset:         0
        .size:           4
        .value_kind:     by_value
      - .offset:         4
        .size:           4
        .value_kind:     by_value
      - .offset:         8
        .size:           4
        .value_kind:     by_value
      - .offset:         12
        .size:           4
        .value_kind:     by_value
      - .offset:         16
        .size:           16
        .value_kind:     by_value
      - .offset:         32
        .size:           8
        .value_kind:     by_value
      - .address_space:  global
        .offset:         40
        .size:           8
        .value_kind:     global_buffer
      - .offset:         48
        .size:           8
        .value_kind:     by_value
      - .offset:         56
        .size:           8
        .value_kind:     by_value
      - .address_space:  global
        .offset:         64
        .size:           8
        .value_kind:     global_buffer
      - .offset:         72
        .size:           8
        .value_kind:     by_value
      - .offset:         80
        .size:           8
        .value_kind:     by_value
      - .address_space:  global
        .offset:         88
        .size:           8
        .value_kind:     global_buffer
      - .offset:         96
        .size:           8
        .value_kind:     by_value
      - .offset:         104
        .size:           8
        .value_kind:     by_value
      - .offset:         112
        .size:           4
        .value_kind:     by_value
    .group_segment_fixed_size: 8192
    .kernarg_segment_align: 8
    .kernarg_segment_size: 116
    .language:       OpenCL C
    .language_version:
      - 2
      - 0
    .max_flat_workgroup_size: 256
    .name:           _ZL23rocblas_trmm_rTx_kernelILi16ELb0E19rocblas_complex_numIdES1_KS1_S1_Ev13rocblas_fill_17rocblas_diagonal_iiT2_lPT3_llS7_llPT4_lli
    .private_segment_fixed_size: 0
    .sgpr_count:     34
    .sgpr_spill_count: 0
    .symbol:         _ZL23rocblas_trmm_rTx_kernelILi16ELb0E19rocblas_complex_numIdES1_KS1_S1_Ev13rocblas_fill_17rocblas_diagonal_iiT2_lPT3_llS7_llPT4_lli.kd
    .uniform_work_group_size: 1
    .uses_dynamic_stack: false
    .vgpr_count:     46
    .vgpr_spill_count: 0
    .wavefront_size: 32
    .workgroup_processor_mode: 1
  - .args:
      - .offset:         0
        .size:           4
        .value_kind:     by_value
      - .offset:         4
        .size:           4
        .value_kind:     by_value
      - .offset:         8
        .size:           4
        .value_kind:     by_value
      - .offset:         12
        .size:           4
        .value_kind:     by_value
      - .address_space:  global
        .offset:         16
        .size:           8
        .value_kind:     global_buffer
      - .offset:         24
        .size:           8
        .value_kind:     by_value
      - .address_space:  global
        .offset:         32
        .size:           8
        .value_kind:     global_buffer
      - .offset:         40
        .size:           8
        .value_kind:     by_value
      - .offset:         48
        .size:           8
        .value_kind:     by_value
      - .address_space:  global
        .offset:         56
        .size:           8
        .value_kind:     global_buffer
      - .offset:         64
        .size:           8
        .value_kind:     by_value
      - .offset:         72
        .size:           8
        .value_kind:     by_value
      - .address_space:  global
        .offset:         80
        .size:           8
        .value_kind:     global_buffer
      - .offset:         88
        .size:           8
        .value_kind:     by_value
      - .offset:         96
        .size:           8
        .value_kind:     by_value
      - .offset:         104
        .size:           4
        .value_kind:     by_value
    .group_segment_fixed_size: 8192
    .kernarg_segment_align: 8
    .kernarg_segment_size: 108
    .language:       OpenCL C
    .language_version:
      - 2
      - 0
    .max_flat_workgroup_size: 256
    .name:           _ZL23rocblas_trmm_rTx_kernelILi16ELb1E19rocblas_complex_numIdEPKS1_S2_S1_Ev13rocblas_fill_17rocblas_diagonal_iiT2_lPT3_llS8_llPT4_lli
    .private_segment_fixed_size: 0
    .sgpr_count:     30
    .sgpr_spill_count: 0
    .symbol:         _ZL23rocblas_trmm_rTx_kernelILi16ELb1E19rocblas_complex_numIdEPKS1_S2_S1_Ev13rocblas_fill_17rocblas_diagonal_iiT2_lPT3_llS8_llPT4_lli.kd
    .uniform_work_group_size: 1
    .uses_dynamic_stack: false
    .vgpr_count:     46
    .vgpr_spill_count: 0
    .wavefront_size: 32
    .workgroup_processor_mode: 1
  - .args:
      - .offset:         0
        .size:           4
        .value_kind:     by_value
      - .offset:         4
        .size:           4
        .value_kind:     by_value
      - .offset:         8
        .size:           4
        .value_kind:     by_value
      - .offset:         12
        .size:           4
        .value_kind:     by_value
      - .offset:         16
        .size:           16
        .value_kind:     by_value
      - .offset:         32
        .size:           8
        .value_kind:     by_value
      - .address_space:  global
        .offset:         40
        .size:           8
        .value_kind:     global_buffer
      - .offset:         48
        .size:           8
        .value_kind:     by_value
      - .offset:         56
        .size:           8
        .value_kind:     by_value
      - .address_space:  global
        .offset:         64
        .size:           8
        .value_kind:     global_buffer
      - .offset:         72
        .size:           8
        .value_kind:     by_value
      - .offset:         80
        .size:           8
        .value_kind:     by_value
      - .address_space:  global
        .offset:         88
        .size:           8
        .value_kind:     global_buffer
      - .offset:         96
        .size:           8
        .value_kind:     by_value
      - .offset:         104
        .size:           8
        .value_kind:     by_value
      - .offset:         112
        .size:           4
        .value_kind:     by_value
    .group_segment_fixed_size: 8192
    .kernarg_segment_align: 8
    .kernarg_segment_size: 116
    .language:       OpenCL C
    .language_version:
      - 2
      - 0
    .max_flat_workgroup_size: 256
    .name:           _ZL23rocblas_trmm_rTx_kernelILi16ELb1E19rocblas_complex_numIdES1_KS1_S1_Ev13rocblas_fill_17rocblas_diagonal_iiT2_lPT3_llS7_llPT4_lli
    .private_segment_fixed_size: 0
    .sgpr_count:     34
    .sgpr_spill_count: 0
    .symbol:         _ZL23rocblas_trmm_rTx_kernelILi16ELb1E19rocblas_complex_numIdES1_KS1_S1_Ev13rocblas_fill_17rocblas_diagonal_iiT2_lPT3_llS7_llPT4_lli.kd
    .uniform_work_group_size: 1
    .uses_dynamic_stack: false
    .vgpr_count:     46
    .vgpr_spill_count: 0
    .wavefront_size: 32
    .workgroup_processor_mode: 1
  - .args:
      - .offset:         0
        .size:           4
        .value_kind:     by_value
      - .offset:         4
        .size:           4
        .value_kind:     by_value
      - .offset:         8
        .size:           4
        .value_kind:     by_value
      - .offset:         12
        .size:           4
        .value_kind:     by_value
      - .address_space:  global
        .offset:         16
        .size:           8
        .value_kind:     global_buffer
      - .offset:         24
        .size:           8
        .value_kind:     by_value
      - .address_space:  global
        .offset:         32
        .size:           8
        .value_kind:     global_buffer
      - .offset:         40
        .size:           8
        .value_kind:     by_value
      - .offset:         48
        .size:           8
        .value_kind:     by_value
      - .address_space:  global
        .offset:         56
        .size:           8
        .value_kind:     global_buffer
      - .offset:         64
        .size:           8
        .value_kind:     by_value
      - .offset:         72
        .size:           8
        .value_kind:     by_value
      - .address_space:  global
        .offset:         80
        .size:           8
        .value_kind:     global_buffer
      - .offset:         88
        .size:           8
        .value_kind:     by_value
      - .offset:         96
        .size:           8
        .value_kind:     by_value
      - .offset:         104
        .size:           4
        .value_kind:     by_value
    .group_segment_fixed_size: 8192
    .kernarg_segment_align: 8
    .kernarg_segment_size: 108
    .language:       OpenCL C
    .language_version:
      - 2
      - 0
    .max_flat_workgroup_size: 1024
    .name:           _ZL23rocblas_trmm_lNx_kernelILi32EfPKfKS1_KPfEv13rocblas_fill_17rocblas_diagonal_iiT1_lPT2_llS9_llPT3_lli
    .private_segment_fixed_size: 0
    .sgpr_count:     30
    .sgpr_spill_count: 0
    .symbol:         _ZL23rocblas_trmm_lNx_kernelILi32EfPKfKS1_KPfEv13rocblas_fill_17rocblas_diagonal_iiT1_lPT2_llS9_llPT3_lli.kd
    .uniform_work_group_size: 1
    .uses_dynamic_stack: false
    .vgpr_count:     21
    .vgpr_spill_count: 0
    .wavefront_size: 32
    .workgroup_processor_mode: 1
  - .args:
      - .offset:         0
        .size:           4
        .value_kind:     by_value
      - .offset:         4
        .size:           4
        .value_kind:     by_value
      - .offset:         8
        .size:           4
        .value_kind:     by_value
      - .offset:         12
        .size:           4
        .value_kind:     by_value
      - .offset:         16
        .size:           4
        .value_kind:     by_value
      - .offset:         24
        .size:           8
        .value_kind:     by_value
      - .address_space:  global
        .offset:         32
        .size:           8
        .value_kind:     global_buffer
      - .offset:         40
        .size:           8
        .value_kind:     by_value
      - .offset:         48
        .size:           8
        .value_kind:     by_value
      - .address_space:  global
        .offset:         56
        .size:           8
        .value_kind:     global_buffer
      - .offset:         64
        .size:           8
        .value_kind:     by_value
      - .offset:         72
        .size:           8
        .value_kind:     by_value
      - .address_space:  global
        .offset:         80
        .size:           8
        .value_kind:     global_buffer
      - .offset:         88
        .size:           8
        .value_kind:     by_value
      - .offset:         96
        .size:           8
        .value_kind:     by_value
      - .offset:         104
        .size:           4
        .value_kind:     by_value
    .group_segment_fixed_size: 8192
    .kernarg_segment_align: 8
    .kernarg_segment_size: 108
    .language:       OpenCL C
    .language_version:
      - 2
      - 0
    .max_flat_workgroup_size: 1024
    .name:           _ZL23rocblas_trmm_lNx_kernelILi32EffKPKfKPfEv13rocblas_fill_17rocblas_diagonal_iiT1_lPT2_llS9_llPT3_lli
    .private_segment_fixed_size: 0
    .sgpr_count:     32
    .sgpr_spill_count: 0
    .symbol:         _ZL23rocblas_trmm_lNx_kernelILi32EffKPKfKPfEv13rocblas_fill_17rocblas_diagonal_iiT1_lPT2_llS9_llPT3_lli.kd
    .uniform_work_group_size: 1
    .uses_dynamic_stack: false
    .vgpr_count:     21
    .vgpr_spill_count: 0
    .wavefront_size: 32
    .workgroup_processor_mode: 1
  - .args:
      - .offset:         0
        .size:           4
        .value_kind:     by_value
      - .offset:         4
        .size:           4
        .value_kind:     by_value
      - .offset:         8
        .size:           4
        .value_kind:     by_value
      - .offset:         12
        .size:           4
        .value_kind:     by_value
      - .address_space:  global
        .offset:         16
        .size:           8
        .value_kind:     global_buffer
      - .offset:         24
        .size:           8
        .value_kind:     by_value
      - .address_space:  global
        .offset:         32
        .size:           8
        .value_kind:     global_buffer
      - .offset:         40
        .size:           8
        .value_kind:     by_value
      - .offset:         48
        .size:           8
        .value_kind:     by_value
      - .address_space:  global
        .offset:         56
        .size:           8
        .value_kind:     global_buffer
      - .offset:         64
        .size:           8
        .value_kind:     by_value
      - .offset:         72
        .size:           8
        .value_kind:     by_value
      - .address_space:  global
        .offset:         80
        .size:           8
        .value_kind:     global_buffer
      - .offset:         88
        .size:           8
        .value_kind:     by_value
      - .offset:         96
        .size:           8
        .value_kind:     by_value
      - .offset:         104
        .size:           4
        .value_kind:     by_value
    .group_segment_fixed_size: 8192
    .kernarg_segment_align: 8
    .kernarg_segment_size: 108
    .language:       OpenCL C
    .language_version:
      - 2
      - 0
    .max_flat_workgroup_size: 1024
    .name:           _ZL23rocblas_trmm_lTx_kernelILi32ELb0EfPKfKS1_KPfEv13rocblas_fill_17rocblas_diagonal_iiT2_lPT3_llS9_llPT4_lli
    .private_segment_fixed_size: 0
    .sgpr_count:     30
    .sgpr_spill_count: 0
    .symbol:         _ZL23rocblas_trmm_lTx_kernelILi32ELb0EfPKfKS1_KPfEv13rocblas_fill_17rocblas_diagonal_iiT2_lPT3_llS9_llPT4_lli.kd
    .uniform_work_group_size: 1
    .uses_dynamic_stack: false
    .vgpr_count:     21
    .vgpr_spill_count: 0
    .wavefront_size: 32
    .workgroup_processor_mode: 1
  - .args:
      - .offset:         0
        .size:           4
        .value_kind:     by_value
      - .offset:         4
        .size:           4
        .value_kind:     by_value
      - .offset:         8
        .size:           4
        .value_kind:     by_value
      - .offset:         12
        .size:           4
        .value_kind:     by_value
      - .offset:         16
        .size:           4
        .value_kind:     by_value
      - .offset:         24
        .size:           8
        .value_kind:     by_value
      - .address_space:  global
        .offset:         32
        .size:           8
        .value_kind:     global_buffer
      - .offset:         40
        .size:           8
        .value_kind:     by_value
      - .offset:         48
        .size:           8
        .value_kind:     by_value
      - .address_space:  global
        .offset:         56
        .size:           8
        .value_kind:     global_buffer
      - .offset:         64
        .size:           8
        .value_kind:     by_value
      - .offset:         72
        .size:           8
        .value_kind:     by_value
      - .address_space:  global
        .offset:         80
        .size:           8
        .value_kind:     global_buffer
      - .offset:         88
        .size:           8
        .value_kind:     by_value
      - .offset:         96
        .size:           8
        .value_kind:     by_value
      - .offset:         104
        .size:           4
        .value_kind:     by_value
    .group_segment_fixed_size: 8192
    .kernarg_segment_align: 8
    .kernarg_segment_size: 108
    .language:       OpenCL C
    .language_version:
      - 2
      - 0
    .max_flat_workgroup_size: 1024
    .name:           _ZL23rocblas_trmm_lTx_kernelILi32ELb0EffKPKfKPfEv13rocblas_fill_17rocblas_diagonal_iiT2_lPT3_llS9_llPT4_lli
    .private_segment_fixed_size: 0
    .sgpr_count:     32
    .sgpr_spill_count: 0
    .symbol:         _ZL23rocblas_trmm_lTx_kernelILi32ELb0EffKPKfKPfEv13rocblas_fill_17rocblas_diagonal_iiT2_lPT3_llS9_llPT4_lli.kd
    .uniform_work_group_size: 1
    .uses_dynamic_stack: false
    .vgpr_count:     21
    .vgpr_spill_count: 0
    .wavefront_size: 32
    .workgroup_processor_mode: 1
  - .args:
      - .offset:         0
        .size:           4
        .value_kind:     by_value
      - .offset:         4
        .size:           4
        .value_kind:     by_value
      - .offset:         8
        .size:           4
        .value_kind:     by_value
      - .offset:         12
        .size:           4
        .value_kind:     by_value
      - .address_space:  global
        .offset:         16
        .size:           8
        .value_kind:     global_buffer
      - .offset:         24
        .size:           8
        .value_kind:     by_value
      - .address_space:  global
        .offset:         32
        .size:           8
        .value_kind:     global_buffer
      - .offset:         40
        .size:           8
        .value_kind:     by_value
      - .offset:         48
        .size:           8
        .value_kind:     by_value
      - .address_space:  global
        .offset:         56
        .size:           8
        .value_kind:     global_buffer
      - .offset:         64
        .size:           8
        .value_kind:     by_value
      - .offset:         72
        .size:           8
        .value_kind:     by_value
      - .address_space:  global
        .offset:         80
        .size:           8
        .value_kind:     global_buffer
      - .offset:         88
        .size:           8
        .value_kind:     by_value
      - .offset:         96
        .size:           8
        .value_kind:     by_value
      - .offset:         104
        .size:           4
        .value_kind:     by_value
    .group_segment_fixed_size: 8192
    .kernarg_segment_align: 8
    .kernarg_segment_size: 108
    .language:       OpenCL C
    .language_version:
      - 2
      - 0
    .max_flat_workgroup_size: 1024
    .name:           _ZL23rocblas_trmm_lTx_kernelILi32ELb1EfPKfKS1_KPfEv13rocblas_fill_17rocblas_diagonal_iiT2_lPT3_llS9_llPT4_lli
    .private_segment_fixed_size: 0
    .sgpr_count:     30
    .sgpr_spill_count: 0
    .symbol:         _ZL23rocblas_trmm_lTx_kernelILi32ELb1EfPKfKS1_KPfEv13rocblas_fill_17rocblas_diagonal_iiT2_lPT3_llS9_llPT4_lli.kd
    .uniform_work_group_size: 1
    .uses_dynamic_stack: false
    .vgpr_count:     21
    .vgpr_spill_count: 0
    .wavefront_size: 32
    .workgroup_processor_mode: 1
  - .args:
      - .offset:         0
        .size:           4
        .value_kind:     by_value
      - .offset:         4
        .size:           4
        .value_kind:     by_value
      - .offset:         8
        .size:           4
        .value_kind:     by_value
      - .offset:         12
        .size:           4
        .value_kind:     by_value
      - .offset:         16
        .size:           4
        .value_kind:     by_value
      - .offset:         24
        .size:           8
        .value_kind:     by_value
      - .address_space:  global
        .offset:         32
        .size:           8
        .value_kind:     global_buffer
      - .offset:         40
        .size:           8
        .value_kind:     by_value
      - .offset:         48
        .size:           8
        .value_kind:     by_value
      - .address_space:  global
        .offset:         56
        .size:           8
        .value_kind:     global_buffer
      - .offset:         64
        .size:           8
        .value_kind:     by_value
      - .offset:         72
        .size:           8
        .value_kind:     by_value
      - .address_space:  global
        .offset:         80
        .size:           8
        .value_kind:     global_buffer
      - .offset:         88
        .size:           8
        .value_kind:     by_value
      - .offset:         96
        .size:           8
        .value_kind:     by_value
      - .offset:         104
        .size:           4
        .value_kind:     by_value
    .group_segment_fixed_size: 8192
    .kernarg_segment_align: 8
    .kernarg_segment_size: 108
    .language:       OpenCL C
    .language_version:
      - 2
      - 0
    .max_flat_workgroup_size: 1024
    .name:           _ZL23rocblas_trmm_lTx_kernelILi32ELb1EffKPKfKPfEv13rocblas_fill_17rocblas_diagonal_iiT2_lPT3_llS9_llPT4_lli
    .private_segment_fixed_size: 0
    .sgpr_count:     32
    .sgpr_spill_count: 0
    .symbol:         _ZL23rocblas_trmm_lTx_kernelILi32ELb1EffKPKfKPfEv13rocblas_fill_17rocblas_diagonal_iiT2_lPT3_llS9_llPT4_lli.kd
    .uniform_work_group_size: 1
    .uses_dynamic_stack: false
    .vgpr_count:     21
    .vgpr_spill_count: 0
    .wavefront_size: 32
    .workgroup_processor_mode: 1
  - .args:
      - .offset:         0
        .size:           4
        .value_kind:     by_value
      - .offset:         4
        .size:           4
        .value_kind:     by_value
      - .offset:         8
        .size:           4
        .value_kind:     by_value
      - .offset:         12
        .size:           4
        .value_kind:     by_value
      - .address_space:  global
        .offset:         16
        .size:           8
        .value_kind:     global_buffer
      - .offset:         24
        .size:           8
        .value_kind:     by_value
      - .address_space:  global
        .offset:         32
        .size:           8
        .value_kind:     global_buffer
      - .offset:         40
        .size:           8
        .value_kind:     by_value
      - .offset:         48
        .size:           8
        .value_kind:     by_value
      - .address_space:  global
        .offset:         56
        .size:           8
        .value_kind:     global_buffer
      - .offset:         64
        .size:           8
        .value_kind:     by_value
      - .offset:         72
        .size:           8
        .value_kind:     by_value
      - .address_space:  global
        .offset:         80
        .size:           8
        .value_kind:     global_buffer
      - .offset:         88
        .size:           8
        .value_kind:     by_value
      - .offset:         96
        .size:           8
        .value_kind:     by_value
      - .offset:         104
        .size:           4
        .value_kind:     by_value
    .group_segment_fixed_size: 8192
    .kernarg_segment_align: 8
    .kernarg_segment_size: 108
    .language:       OpenCL C
    .language_version:
      - 2
      - 0
    .max_flat_workgroup_size: 1024
    .name:           _ZL23rocblas_trmm_rNx_kernelILi32EfPKfKS1_KPfEv13rocblas_fill_17rocblas_diagonal_iiT1_lPT2_llS9_llPT3_lli
    .private_segment_fixed_size: 0
    .sgpr_count:     31
    .sgpr_spill_count: 0
    .symbol:         _ZL23rocblas_trmm_rNx_kernelILi32EfPKfKS1_KPfEv13rocblas_fill_17rocblas_diagonal_iiT1_lPT2_llS9_llPT3_lli.kd
    .uniform_work_group_size: 1
    .uses_dynamic_stack: false
    .vgpr_count:     20
    .vgpr_spill_count: 0
    .wavefront_size: 32
    .workgroup_processor_mode: 1
  - .args:
      - .offset:         0
        .size:           4
        .value_kind:     by_value
      - .offset:         4
        .size:           4
        .value_kind:     by_value
      - .offset:         8
        .size:           4
        .value_kind:     by_value
      - .offset:         12
        .size:           4
        .value_kind:     by_value
      - .offset:         16
        .size:           4
        .value_kind:     by_value
      - .offset:         24
        .size:           8
        .value_kind:     by_value
      - .address_space:  global
        .offset:         32
        .size:           8
        .value_kind:     global_buffer
      - .offset:         40
        .size:           8
        .value_kind:     by_value
      - .offset:         48
        .size:           8
        .value_kind:     by_value
      - .address_space:  global
        .offset:         56
        .size:           8
        .value_kind:     global_buffer
      - .offset:         64
        .size:           8
        .value_kind:     by_value
      - .offset:         72
        .size:           8
        .value_kind:     by_value
      - .address_space:  global
        .offset:         80
        .size:           8
        .value_kind:     global_buffer
      - .offset:         88
        .size:           8
        .value_kind:     by_value
      - .offset:         96
        .size:           8
        .value_kind:     by_value
      - .offset:         104
        .size:           4
        .value_kind:     by_value
    .group_segment_fixed_size: 8192
    .kernarg_segment_align: 8
    .kernarg_segment_size: 108
    .language:       OpenCL C
    .language_version:
      - 2
      - 0
    .max_flat_workgroup_size: 1024
    .name:           _ZL23rocblas_trmm_rNx_kernelILi32EffKPKfKPfEv13rocblas_fill_17rocblas_diagonal_iiT1_lPT2_llS9_llPT3_lli
    .private_segment_fixed_size: 0
    .sgpr_count:     33
    .sgpr_spill_count: 0
    .symbol:         _ZL23rocblas_trmm_rNx_kernelILi32EffKPKfKPfEv13rocblas_fill_17rocblas_diagonal_iiT1_lPT2_llS9_llPT3_lli.kd
    .uniform_work_group_size: 1
    .uses_dynamic_stack: false
    .vgpr_count:     20
    .vgpr_spill_count: 0
    .wavefront_size: 32
    .workgroup_processor_mode: 1
  - .args:
      - .offset:         0
        .size:           4
        .value_kind:     by_value
      - .offset:         4
        .size:           4
        .value_kind:     by_value
      - .offset:         8
        .size:           4
        .value_kind:     by_value
      - .offset:         12
        .size:           4
        .value_kind:     by_value
      - .address_space:  global
        .offset:         16
        .size:           8
        .value_kind:     global_buffer
      - .offset:         24
        .size:           8
        .value_kind:     by_value
      - .address_space:  global
        .offset:         32
        .size:           8
        .value_kind:     global_buffer
      - .offset:         40
        .size:           8
        .value_kind:     by_value
      - .offset:         48
        .size:           8
        .value_kind:     by_value
      - .address_space:  global
        .offset:         56
        .size:           8
        .value_kind:     global_buffer
      - .offset:         64
        .size:           8
        .value_kind:     by_value
      - .offset:         72
        .size:           8
        .value_kind:     by_value
      - .address_space:  global
        .offset:         80
        .size:           8
        .value_kind:     global_buffer
      - .offset:         88
        .size:           8
        .value_kind:     by_value
      - .offset:         96
        .size:           8
        .value_kind:     by_value
      - .offset:         104
        .size:           4
        .value_kind:     by_value
    .group_segment_fixed_size: 8192
    .kernarg_segment_align: 8
    .kernarg_segment_size: 108
    .language:       OpenCL C
    .language_version:
      - 2
      - 0
    .max_flat_workgroup_size: 1024
    .name:           _ZL23rocblas_trmm_rTx_kernelILi32ELb0EfPKfKS1_KPfEv13rocblas_fill_17rocblas_diagonal_iiT2_lPT3_llS9_llPT4_lli
    .private_segment_fixed_size: 0
    .sgpr_count:     31
    .sgpr_spill_count: 0
    .symbol:         _ZL23rocblas_trmm_rTx_kernelILi32ELb0EfPKfKS1_KPfEv13rocblas_fill_17rocblas_diagonal_iiT2_lPT3_llS9_llPT4_lli.kd
    .uniform_work_group_size: 1
    .uses_dynamic_stack: false
    .vgpr_count:     19
    .vgpr_spill_count: 0
    .wavefront_size: 32
    .workgroup_processor_mode: 1
  - .args:
      - .offset:         0
        .size:           4
        .value_kind:     by_value
      - .offset:         4
        .size:           4
        .value_kind:     by_value
      - .offset:         8
        .size:           4
        .value_kind:     by_value
      - .offset:         12
        .size:           4
        .value_kind:     by_value
      - .offset:         16
        .size:           4
        .value_kind:     by_value
      - .offset:         24
        .size:           8
        .value_kind:     by_value
      - .address_space:  global
        .offset:         32
        .size:           8
        .value_kind:     global_buffer
      - .offset:         40
        .size:           8
        .value_kind:     by_value
      - .offset:         48
        .size:           8
        .value_kind:     by_value
      - .address_space:  global
        .offset:         56
        .size:           8
        .value_kind:     global_buffer
      - .offset:         64
        .size:           8
        .value_kind:     by_value
      - .offset:         72
        .size:           8
        .value_kind:     by_value
      - .address_space:  global
        .offset:         80
        .size:           8
        .value_kind:     global_buffer
      - .offset:         88
        .size:           8
        .value_kind:     by_value
      - .offset:         96
        .size:           8
        .value_kind:     by_value
      - .offset:         104
        .size:           4
        .value_kind:     by_value
    .group_segment_fixed_size: 8192
    .kernarg_segment_align: 8
    .kernarg_segment_size: 108
    .language:       OpenCL C
    .language_version:
      - 2
      - 0
    .max_flat_workgroup_size: 1024
    .name:           _ZL23rocblas_trmm_rTx_kernelILi32ELb0EffKPKfKPfEv13rocblas_fill_17rocblas_diagonal_iiT2_lPT3_llS9_llPT4_lli
    .private_segment_fixed_size: 0
    .sgpr_count:     33
    .sgpr_spill_count: 0
    .symbol:         _ZL23rocblas_trmm_rTx_kernelILi32ELb0EffKPKfKPfEv13rocblas_fill_17rocblas_diagonal_iiT2_lPT3_llS9_llPT4_lli.kd
    .uniform_work_group_size: 1
    .uses_dynamic_stack: false
    .vgpr_count:     19
    .vgpr_spill_count: 0
    .wavefront_size: 32
    .workgroup_processor_mode: 1
  - .args:
      - .offset:         0
        .size:           4
        .value_kind:     by_value
      - .offset:         4
        .size:           4
        .value_kind:     by_value
      - .offset:         8
        .size:           4
        .value_kind:     by_value
      - .offset:         12
        .size:           4
        .value_kind:     by_value
      - .address_space:  global
        .offset:         16
        .size:           8
        .value_kind:     global_buffer
      - .offset:         24
        .size:           8
        .value_kind:     by_value
      - .address_space:  global
        .offset:         32
        .size:           8
        .value_kind:     global_buffer
      - .offset:         40
        .size:           8
        .value_kind:     by_value
      - .offset:         48
        .size:           8
        .value_kind:     by_value
      - .address_space:  global
        .offset:         56
        .size:           8
        .value_kind:     global_buffer
      - .offset:         64
        .size:           8
        .value_kind:     by_value
      - .offset:         72
        .size:           8
        .value_kind:     by_value
      - .address_space:  global
        .offset:         80
        .size:           8
        .value_kind:     global_buffer
      - .offset:         88
        .size:           8
        .value_kind:     by_value
      - .offset:         96
        .size:           8
        .value_kind:     by_value
      - .offset:         104
        .size:           4
        .value_kind:     by_value
    .group_segment_fixed_size: 8192
    .kernarg_segment_align: 8
    .kernarg_segment_size: 108
    .language:       OpenCL C
    .language_version:
      - 2
      - 0
    .max_flat_workgroup_size: 1024
    .name:           _ZL23rocblas_trmm_rTx_kernelILi32ELb1EfPKfKS1_KPfEv13rocblas_fill_17rocblas_diagonal_iiT2_lPT3_llS9_llPT4_lli
    .private_segment_fixed_size: 0
    .sgpr_count:     31
    .sgpr_spill_count: 0
    .symbol:         _ZL23rocblas_trmm_rTx_kernelILi32ELb1EfPKfKS1_KPfEv13rocblas_fill_17rocblas_diagonal_iiT2_lPT3_llS9_llPT4_lli.kd
    .uniform_work_group_size: 1
    .uses_dynamic_stack: false
    .vgpr_count:     19
    .vgpr_spill_count: 0
    .wavefront_size: 32
    .workgroup_processor_mode: 1
  - .args:
      - .offset:         0
        .size:           4
        .value_kind:     by_value
      - .offset:         4
        .size:           4
        .value_kind:     by_value
      - .offset:         8
        .size:           4
        .value_kind:     by_value
      - .offset:         12
        .size:           4
        .value_kind:     by_value
      - .offset:         16
        .size:           4
        .value_kind:     by_value
      - .offset:         24
        .size:           8
        .value_kind:     by_value
      - .address_space:  global
        .offset:         32
        .size:           8
        .value_kind:     global_buffer
      - .offset:         40
        .size:           8
        .value_kind:     by_value
      - .offset:         48
        .size:           8
        .value_kind:     by_value
      - .address_space:  global
        .offset:         56
        .size:           8
        .value_kind:     global_buffer
      - .offset:         64
        .size:           8
        .value_kind:     by_value
      - .offset:         72
        .size:           8
        .value_kind:     by_value
      - .address_space:  global
        .offset:         80
        .size:           8
        .value_kind:     global_buffer
      - .offset:         88
        .size:           8
        .value_kind:     by_value
      - .offset:         96
        .size:           8
        .value_kind:     by_value
      - .offset:         104
        .size:           4
        .value_kind:     by_value
    .group_segment_fixed_size: 8192
    .kernarg_segment_align: 8
    .kernarg_segment_size: 108
    .language:       OpenCL C
    .language_version:
      - 2
      - 0
    .max_flat_workgroup_size: 1024
    .name:           _ZL23rocblas_trmm_rTx_kernelILi32ELb1EffKPKfKPfEv13rocblas_fill_17rocblas_diagonal_iiT2_lPT3_llS9_llPT4_lli
    .private_segment_fixed_size: 0
    .sgpr_count:     33
    .sgpr_spill_count: 0
    .symbol:         _ZL23rocblas_trmm_rTx_kernelILi32ELb1EffKPKfKPfEv13rocblas_fill_17rocblas_diagonal_iiT2_lPT3_llS9_llPT4_lli.kd
    .uniform_work_group_size: 1
    .uses_dynamic_stack: false
    .vgpr_count:     19
    .vgpr_spill_count: 0
    .wavefront_size: 32
    .workgroup_processor_mode: 1
  - .args:
      - .offset:         0
        .size:           4
        .value_kind:     by_value
      - .offset:         4
        .size:           4
        .value_kind:     by_value
      - .offset:         8
        .size:           4
        .value_kind:     by_value
      - .offset:         12
        .size:           4
        .value_kind:     by_value
      - .address_space:  global
        .offset:         16
        .size:           8
        .value_kind:     global_buffer
      - .offset:         24
        .size:           8
        .value_kind:     by_value
      - .address_space:  global
        .offset:         32
        .size:           8
        .value_kind:     global_buffer
      - .offset:         40
        .size:           8
        .value_kind:     by_value
      - .offset:         48
        .size:           8
        .value_kind:     by_value
      - .address_space:  global
        .offset:         56
        .size:           8
        .value_kind:     global_buffer
      - .offset:         64
        .size:           8
        .value_kind:     by_value
      - .offset:         72
        .size:           8
        .value_kind:     by_value
      - .address_space:  global
        .offset:         80
        .size:           8
        .value_kind:     global_buffer
      - .offset:         88
        .size:           8
        .value_kind:     by_value
      - .offset:         96
        .size:           8
        .value_kind:     by_value
      - .offset:         104
        .size:           4
        .value_kind:     by_value
    .group_segment_fixed_size: 16384
    .kernarg_segment_align: 8
    .kernarg_segment_size: 108
    .language:       OpenCL C
    .language_version:
      - 2
      - 0
    .max_flat_workgroup_size: 1024
    .name:           _ZL23rocblas_trmm_lNx_kernelILi32EdPKdKS1_KPdEv13rocblas_fill_17rocblas_diagonal_iiT1_lPT2_llS9_llPT3_lli
    .private_segment_fixed_size: 0
    .sgpr_count:     34
    .sgpr_spill_count: 0
    .symbol:         _ZL23rocblas_trmm_lNx_kernelILi32EdPKdKS1_KPdEv13rocblas_fill_17rocblas_diagonal_iiT1_lPT2_llS9_llPT3_lli.kd
    .uniform_work_group_size: 1
    .uses_dynamic_stack: false
    .vgpr_count:     18
    .vgpr_spill_count: 0
    .wavefront_size: 32
    .workgroup_processor_mode: 1
  - .args:
      - .offset:         0
        .size:           4
        .value_kind:     by_value
      - .offset:         4
        .size:           4
        .value_kind:     by_value
      - .offset:         8
        .size:           4
        .value_kind:     by_value
      - .offset:         12
        .size:           4
        .value_kind:     by_value
      - .offset:         16
        .size:           8
        .value_kind:     by_value
      - .offset:         24
        .size:           8
        .value_kind:     by_value
      - .address_space:  global
        .offset:         32
        .size:           8
        .value_kind:     global_buffer
      - .offset:         40
        .size:           8
        .value_kind:     by_value
      - .offset:         48
        .size:           8
        .value_kind:     by_value
      - .address_space:  global
        .offset:         56
        .size:           8
        .value_kind:     global_buffer
      - .offset:         64
        .size:           8
        .value_kind:     by_value
      - .offset:         72
        .size:           8
        .value_kind:     by_value
      - .address_space:  global
        .offset:         80
        .size:           8
        .value_kind:     global_buffer
      - .offset:         88
        .size:           8
        .value_kind:     by_value
      - .offset:         96
        .size:           8
        .value_kind:     by_value
      - .offset:         104
        .size:           4
        .value_kind:     by_value
    .group_segment_fixed_size: 16384
    .kernarg_segment_align: 8
    .kernarg_segment_size: 108
    .language:       OpenCL C
    .language_version:
      - 2
      - 0
    .max_flat_workgroup_size: 1024
    .name:           _ZL23rocblas_trmm_lNx_kernelILi32EddKPKdKPdEv13rocblas_fill_17rocblas_diagonal_iiT1_lPT2_llS9_llPT3_lli
    .private_segment_fixed_size: 0
    .sgpr_count:     34
    .sgpr_spill_count: 0
    .symbol:         _ZL23rocblas_trmm_lNx_kernelILi32EddKPKdKPdEv13rocblas_fill_17rocblas_diagonal_iiT1_lPT2_llS9_llPT3_lli.kd
    .uniform_work_group_size: 1
    .uses_dynamic_stack: false
    .vgpr_count:     18
    .vgpr_spill_count: 0
    .wavefront_size: 32
    .workgroup_processor_mode: 1
  - .args:
      - .offset:         0
        .size:           4
        .value_kind:     by_value
      - .offset:         4
        .size:           4
        .value_kind:     by_value
      - .offset:         8
        .size:           4
        .value_kind:     by_value
      - .offset:         12
        .size:           4
        .value_kind:     by_value
      - .address_space:  global
        .offset:         16
        .size:           8
        .value_kind:     global_buffer
      - .offset:         24
        .size:           8
        .value_kind:     by_value
      - .address_space:  global
        .offset:         32
        .size:           8
        .value_kind:     global_buffer
      - .offset:         40
        .size:           8
        .value_kind:     by_value
      - .offset:         48
        .size:           8
        .value_kind:     by_value
      - .address_space:  global
        .offset:         56
        .size:           8
        .value_kind:     global_buffer
      - .offset:         64
        .size:           8
        .value_kind:     by_value
      - .offset:         72
        .size:           8
        .value_kind:     by_value
      - .address_space:  global
        .offset:         80
        .size:           8
        .value_kind:     global_buffer
      - .offset:         88
        .size:           8
        .value_kind:     by_value
      - .offset:         96
        .size:           8
        .value_kind:     by_value
      - .offset:         104
        .size:           4
        .value_kind:     by_value
    .group_segment_fixed_size: 16384
    .kernarg_segment_align: 8
    .kernarg_segment_size: 108
    .language:       OpenCL C
    .language_version:
      - 2
      - 0
    .max_flat_workgroup_size: 1024
    .name:           _ZL23rocblas_trmm_lTx_kernelILi32ELb0EdPKdKS1_KPdEv13rocblas_fill_17rocblas_diagonal_iiT2_lPT3_llS9_llPT4_lli
    .private_segment_fixed_size: 0
    .sgpr_count:     34
    .sgpr_spill_count: 0
    .symbol:         _ZL23rocblas_trmm_lTx_kernelILi32ELb0EdPKdKS1_KPdEv13rocblas_fill_17rocblas_diagonal_iiT2_lPT3_llS9_llPT4_lli.kd
    .uniform_work_group_size: 1
    .uses_dynamic_stack: false
    .vgpr_count:     18
    .vgpr_spill_count: 0
    .wavefront_size: 32
    .workgroup_processor_mode: 1
  - .args:
      - .offset:         0
        .size:           4
        .value_kind:     by_value
      - .offset:         4
        .size:           4
        .value_kind:     by_value
      - .offset:         8
        .size:           4
        .value_kind:     by_value
      - .offset:         12
        .size:           4
        .value_kind:     by_value
      - .offset:         16
        .size:           8
        .value_kind:     by_value
      - .offset:         24
        .size:           8
        .value_kind:     by_value
      - .address_space:  global
        .offset:         32
        .size:           8
        .value_kind:     global_buffer
      - .offset:         40
        .size:           8
        .value_kind:     by_value
      - .offset:         48
        .size:           8
        .value_kind:     by_value
      - .address_space:  global
        .offset:         56
        .size:           8
        .value_kind:     global_buffer
      - .offset:         64
        .size:           8
        .value_kind:     by_value
      - .offset:         72
        .size:           8
        .value_kind:     by_value
      - .address_space:  global
        .offset:         80
        .size:           8
        .value_kind:     global_buffer
      - .offset:         88
        .size:           8
        .value_kind:     by_value
      - .offset:         96
        .size:           8
        .value_kind:     by_value
      - .offset:         104
        .size:           4
        .value_kind:     by_value
    .group_segment_fixed_size: 16384
    .kernarg_segment_align: 8
    .kernarg_segment_size: 108
    .language:       OpenCL C
    .language_version:
      - 2
      - 0
    .max_flat_workgroup_size: 1024
    .name:           _ZL23rocblas_trmm_lTx_kernelILi32ELb0EddKPKdKPdEv13rocblas_fill_17rocblas_diagonal_iiT2_lPT3_llS9_llPT4_lli
    .private_segment_fixed_size: 0
    .sgpr_count:     34
    .sgpr_spill_count: 0
    .symbol:         _ZL23rocblas_trmm_lTx_kernelILi32ELb0EddKPKdKPdEv13rocblas_fill_17rocblas_diagonal_iiT2_lPT3_llS9_llPT4_lli.kd
    .uniform_work_group_size: 1
    .uses_dynamic_stack: false
    .vgpr_count:     18
    .vgpr_spill_count: 0
    .wavefront_size: 32
    .workgroup_processor_mode: 1
  - .args:
      - .offset:         0
        .size:           4
        .value_kind:     by_value
      - .offset:         4
        .size:           4
        .value_kind:     by_value
      - .offset:         8
        .size:           4
        .value_kind:     by_value
      - .offset:         12
        .size:           4
        .value_kind:     by_value
      - .address_space:  global
        .offset:         16
        .size:           8
        .value_kind:     global_buffer
      - .offset:         24
        .size:           8
        .value_kind:     by_value
      - .address_space:  global
        .offset:         32
        .size:           8
        .value_kind:     global_buffer
      - .offset:         40
        .size:           8
        .value_kind:     by_value
      - .offset:         48
        .size:           8
        .value_kind:     by_value
      - .address_space:  global
        .offset:         56
        .size:           8
        .value_kind:     global_buffer
      - .offset:         64
        .size:           8
        .value_kind:     by_value
      - .offset:         72
        .size:           8
        .value_kind:     by_value
      - .address_space:  global
        .offset:         80
        .size:           8
        .value_kind:     global_buffer
      - .offset:         88
        .size:           8
        .value_kind:     by_value
      - .offset:         96
        .size:           8
        .value_kind:     by_value
      - .offset:         104
        .size:           4
        .value_kind:     by_value
    .group_segment_fixed_size: 16384
    .kernarg_segment_align: 8
    .kernarg_segment_size: 108
    .language:       OpenCL C
    .language_version:
      - 2
      - 0
    .max_flat_workgroup_size: 1024
    .name:           _ZL23rocblas_trmm_lTx_kernelILi32ELb1EdPKdKS1_KPdEv13rocblas_fill_17rocblas_diagonal_iiT2_lPT3_llS9_llPT4_lli
    .private_segment_fixed_size: 0
    .sgpr_count:     34
    .sgpr_spill_count: 0
    .symbol:         _ZL23rocblas_trmm_lTx_kernelILi32ELb1EdPKdKS1_KPdEv13rocblas_fill_17rocblas_diagonal_iiT2_lPT3_llS9_llPT4_lli.kd
    .uniform_work_group_size: 1
    .uses_dynamic_stack: false
    .vgpr_count:     18
    .vgpr_spill_count: 0
    .wavefront_size: 32
    .workgroup_processor_mode: 1
  - .args:
      - .offset:         0
        .size:           4
        .value_kind:     by_value
      - .offset:         4
        .size:           4
        .value_kind:     by_value
      - .offset:         8
        .size:           4
        .value_kind:     by_value
      - .offset:         12
        .size:           4
        .value_kind:     by_value
      - .offset:         16
        .size:           8
        .value_kind:     by_value
      - .offset:         24
        .size:           8
        .value_kind:     by_value
      - .address_space:  global
        .offset:         32
        .size:           8
        .value_kind:     global_buffer
      - .offset:         40
        .size:           8
        .value_kind:     by_value
      - .offset:         48
        .size:           8
        .value_kind:     by_value
      - .address_space:  global
        .offset:         56
        .size:           8
        .value_kind:     global_buffer
      - .offset:         64
        .size:           8
        .value_kind:     by_value
      - .offset:         72
        .size:           8
        .value_kind:     by_value
      - .address_space:  global
        .offset:         80
        .size:           8
        .value_kind:     global_buffer
      - .offset:         88
        .size:           8
        .value_kind:     by_value
      - .offset:         96
        .size:           8
        .value_kind:     by_value
      - .offset:         104
        .size:           4
        .value_kind:     by_value
    .group_segment_fixed_size: 16384
    .kernarg_segment_align: 8
    .kernarg_segment_size: 108
    .language:       OpenCL C
    .language_version:
      - 2
      - 0
    .max_flat_workgroup_size: 1024
    .name:           _ZL23rocblas_trmm_lTx_kernelILi32ELb1EddKPKdKPdEv13rocblas_fill_17rocblas_diagonal_iiT2_lPT3_llS9_llPT4_lli
    .private_segment_fixed_size: 0
    .sgpr_count:     34
    .sgpr_spill_count: 0
    .symbol:         _ZL23rocblas_trmm_lTx_kernelILi32ELb1EddKPKdKPdEv13rocblas_fill_17rocblas_diagonal_iiT2_lPT3_llS9_llPT4_lli.kd
    .uniform_work_group_size: 1
    .uses_dynamic_stack: false
    .vgpr_count:     18
    .vgpr_spill_count: 0
    .wavefront_size: 32
    .workgroup_processor_mode: 1
  - .args:
      - .offset:         0
        .size:           4
        .value_kind:     by_value
      - .offset:         4
        .size:           4
        .value_kind:     by_value
      - .offset:         8
        .size:           4
        .value_kind:     by_value
      - .offset:         12
        .size:           4
        .value_kind:     by_value
      - .address_space:  global
        .offset:         16
        .size:           8
        .value_kind:     global_buffer
      - .offset:         24
        .size:           8
        .value_kind:     by_value
      - .address_space:  global
        .offset:         32
        .size:           8
        .value_kind:     global_buffer
      - .offset:         40
        .size:           8
        .value_kind:     by_value
      - .offset:         48
        .size:           8
        .value_kind:     by_value
      - .address_space:  global
        .offset:         56
        .size:           8
        .value_kind:     global_buffer
      - .offset:         64
        .size:           8
        .value_kind:     by_value
      - .offset:         72
        .size:           8
        .value_kind:     by_value
      - .address_space:  global
        .offset:         80
        .size:           8
        .value_kind:     global_buffer
      - .offset:         88
        .size:           8
        .value_kind:     by_value
      - .offset:         96
        .size:           8
        .value_kind:     by_value
      - .offset:         104
        .size:           4
        .value_kind:     by_value
    .group_segment_fixed_size: 16384
    .kernarg_segment_align: 8
    .kernarg_segment_size: 108
    .language:       OpenCL C
    .language_version:
      - 2
      - 0
    .max_flat_workgroup_size: 1024
    .name:           _ZL23rocblas_trmm_rNx_kernelILi32EdPKdKS1_KPdEv13rocblas_fill_17rocblas_diagonal_iiT1_lPT2_llS9_llPT3_lli
    .private_segment_fixed_size: 0
    .sgpr_count:     34
    .sgpr_spill_count: 0
    .symbol:         _ZL23rocblas_trmm_rNx_kernelILi32EdPKdKS1_KPdEv13rocblas_fill_17rocblas_diagonal_iiT1_lPT2_llS9_llPT3_lli.kd
    .uniform_work_group_size: 1
    .uses_dynamic_stack: false
    .vgpr_count:     18
    .vgpr_spill_count: 0
    .wavefront_size: 32
    .workgroup_processor_mode: 1
  - .args:
      - .offset:         0
        .size:           4
        .value_kind:     by_value
      - .offset:         4
        .size:           4
        .value_kind:     by_value
      - .offset:         8
        .size:           4
        .value_kind:     by_value
      - .offset:         12
        .size:           4
        .value_kind:     by_value
      - .offset:         16
        .size:           8
        .value_kind:     by_value
      - .offset:         24
        .size:           8
        .value_kind:     by_value
      - .address_space:  global
        .offset:         32
        .size:           8
        .value_kind:     global_buffer
      - .offset:         40
        .size:           8
        .value_kind:     by_value
      - .offset:         48
        .size:           8
        .value_kind:     by_value
      - .address_space:  global
        .offset:         56
        .size:           8
        .value_kind:     global_buffer
      - .offset:         64
        .size:           8
        .value_kind:     by_value
      - .offset:         72
        .size:           8
        .value_kind:     by_value
      - .address_space:  global
        .offset:         80
        .size:           8
        .value_kind:     global_buffer
      - .offset:         88
        .size:           8
        .value_kind:     by_value
      - .offset:         96
        .size:           8
        .value_kind:     by_value
      - .offset:         104
        .size:           4
        .value_kind:     by_value
    .group_segment_fixed_size: 16384
    .kernarg_segment_align: 8
    .kernarg_segment_size: 108
    .language:       OpenCL C
    .language_version:
      - 2
      - 0
    .max_flat_workgroup_size: 1024
    .name:           _ZL23rocblas_trmm_rNx_kernelILi32EddKPKdKPdEv13rocblas_fill_17rocblas_diagonal_iiT1_lPT2_llS9_llPT3_lli
    .private_segment_fixed_size: 0
    .sgpr_count:     34
    .sgpr_spill_count: 0
    .symbol:         _ZL23rocblas_trmm_rNx_kernelILi32EddKPKdKPdEv13rocblas_fill_17rocblas_diagonal_iiT1_lPT2_llS9_llPT3_lli.kd
    .uniform_work_group_size: 1
    .uses_dynamic_stack: false
    .vgpr_count:     18
    .vgpr_spill_count: 0
    .wavefront_size: 32
    .workgroup_processor_mode: 1
  - .args:
      - .offset:         0
        .size:           4
        .value_kind:     by_value
      - .offset:         4
        .size:           4
        .value_kind:     by_value
      - .offset:         8
        .size:           4
        .value_kind:     by_value
      - .offset:         12
        .size:           4
        .value_kind:     by_value
      - .address_space:  global
        .offset:         16
        .size:           8
        .value_kind:     global_buffer
      - .offset:         24
        .size:           8
        .value_kind:     by_value
      - .address_space:  global
        .offset:         32
        .size:           8
        .value_kind:     global_buffer
      - .offset:         40
        .size:           8
        .value_kind:     by_value
      - .offset:         48
        .size:           8
        .value_kind:     by_value
      - .address_space:  global
        .offset:         56
        .size:           8
        .value_kind:     global_buffer
      - .offset:         64
        .size:           8
        .value_kind:     by_value
      - .offset:         72
        .size:           8
        .value_kind:     by_value
      - .address_space:  global
        .offset:         80
        .size:           8
        .value_kind:     global_buffer
      - .offset:         88
        .size:           8
        .value_kind:     by_value
      - .offset:         96
        .size:           8
        .value_kind:     by_value
      - .offset:         104
        .size:           4
        .value_kind:     by_value
    .group_segment_fixed_size: 16384
    .kernarg_segment_align: 8
    .kernarg_segment_size: 108
    .language:       OpenCL C
    .language_version:
      - 2
      - 0
    .max_flat_workgroup_size: 1024
    .name:           _ZL23rocblas_trmm_rTx_kernelILi32ELb0EdPKdKS1_KPdEv13rocblas_fill_17rocblas_diagonal_iiT2_lPT3_llS9_llPT4_lli
    .private_segment_fixed_size: 0
    .sgpr_count:     34
    .sgpr_spill_count: 0
    .symbol:         _ZL23rocblas_trmm_rTx_kernelILi32ELb0EdPKdKS1_KPdEv13rocblas_fill_17rocblas_diagonal_iiT2_lPT3_llS9_llPT4_lli.kd
    .uniform_work_group_size: 1
    .uses_dynamic_stack: false
    .vgpr_count:     15
    .vgpr_spill_count: 0
    .wavefront_size: 32
    .workgroup_processor_mode: 1
  - .args:
      - .offset:         0
        .size:           4
        .value_kind:     by_value
      - .offset:         4
        .size:           4
        .value_kind:     by_value
      - .offset:         8
        .size:           4
        .value_kind:     by_value
      - .offset:         12
        .size:           4
        .value_kind:     by_value
      - .offset:         16
        .size:           8
        .value_kind:     by_value
      - .offset:         24
        .size:           8
        .value_kind:     by_value
      - .address_space:  global
        .offset:         32
        .size:           8
        .value_kind:     global_buffer
      - .offset:         40
        .size:           8
        .value_kind:     by_value
      - .offset:         48
        .size:           8
        .value_kind:     by_value
      - .address_space:  global
        .offset:         56
        .size:           8
        .value_kind:     global_buffer
      - .offset:         64
        .size:           8
        .value_kind:     by_value
      - .offset:         72
        .size:           8
        .value_kind:     by_value
      - .address_space:  global
        .offset:         80
        .size:           8
        .value_kind:     global_buffer
      - .offset:         88
        .size:           8
        .value_kind:     by_value
      - .offset:         96
        .size:           8
        .value_kind:     by_value
      - .offset:         104
        .size:           4
        .value_kind:     by_value
    .group_segment_fixed_size: 16384
    .kernarg_segment_align: 8
    .kernarg_segment_size: 108
    .language:       OpenCL C
    .language_version:
      - 2
      - 0
    .max_flat_workgroup_size: 1024
    .name:           _ZL23rocblas_trmm_rTx_kernelILi32ELb0EddKPKdKPdEv13rocblas_fill_17rocblas_diagonal_iiT2_lPT3_llS9_llPT4_lli
    .private_segment_fixed_size: 0
    .sgpr_count:     34
    .sgpr_spill_count: 0
    .symbol:         _ZL23rocblas_trmm_rTx_kernelILi32ELb0EddKPKdKPdEv13rocblas_fill_17rocblas_diagonal_iiT2_lPT3_llS9_llPT4_lli.kd
    .uniform_work_group_size: 1
    .uses_dynamic_stack: false
    .vgpr_count:     15
    .vgpr_spill_count: 0
    .wavefront_size: 32
    .workgroup_processor_mode: 1
  - .args:
      - .offset:         0
        .size:           4
        .value_kind:     by_value
      - .offset:         4
        .size:           4
        .value_kind:     by_value
      - .offset:         8
        .size:           4
        .value_kind:     by_value
      - .offset:         12
        .size:           4
        .value_kind:     by_value
      - .address_space:  global
        .offset:         16
        .size:           8
        .value_kind:     global_buffer
      - .offset:         24
        .size:           8
        .value_kind:     by_value
      - .address_space:  global
        .offset:         32
        .size:           8
        .value_kind:     global_buffer
      - .offset:         40
        .size:           8
        .value_kind:     by_value
      - .offset:         48
        .size:           8
        .value_kind:     by_value
      - .address_space:  global
        .offset:         56
        .size:           8
        .value_kind:     global_buffer
      - .offset:         64
        .size:           8
        .value_kind:     by_value
      - .offset:         72
        .size:           8
        .value_kind:     by_value
      - .address_space:  global
        .offset:         80
        .size:           8
        .value_kind:     global_buffer
      - .offset:         88
        .size:           8
        .value_kind:     by_value
      - .offset:         96
        .size:           8
        .value_kind:     by_value
      - .offset:         104
        .size:           4
        .value_kind:     by_value
    .group_segment_fixed_size: 16384
    .kernarg_segment_align: 8
    .kernarg_segment_size: 108
    .language:       OpenCL C
    .language_version:
      - 2
      - 0
    .max_flat_workgroup_size: 1024
    .name:           _ZL23rocblas_trmm_rTx_kernelILi32ELb1EdPKdKS1_KPdEv13rocblas_fill_17rocblas_diagonal_iiT2_lPT3_llS9_llPT4_lli
    .private_segment_fixed_size: 0
    .sgpr_count:     34
    .sgpr_spill_count: 0
    .symbol:         _ZL23rocblas_trmm_rTx_kernelILi32ELb1EdPKdKS1_KPdEv13rocblas_fill_17rocblas_diagonal_iiT2_lPT3_llS9_llPT4_lli.kd
    .uniform_work_group_size: 1
    .uses_dynamic_stack: false
    .vgpr_count:     15
    .vgpr_spill_count: 0
    .wavefront_size: 32
    .workgroup_processor_mode: 1
  - .args:
      - .offset:         0
        .size:           4
        .value_kind:     by_value
      - .offset:         4
        .size:           4
        .value_kind:     by_value
      - .offset:         8
        .size:           4
        .value_kind:     by_value
      - .offset:         12
        .size:           4
        .value_kind:     by_value
      - .offset:         16
        .size:           8
        .value_kind:     by_value
      - .offset:         24
        .size:           8
        .value_kind:     by_value
      - .address_space:  global
        .offset:         32
        .size:           8
        .value_kind:     global_buffer
      - .offset:         40
        .size:           8
        .value_kind:     by_value
      - .offset:         48
        .size:           8
        .value_kind:     by_value
      - .address_space:  global
        .offset:         56
        .size:           8
        .value_kind:     global_buffer
      - .offset:         64
        .size:           8
        .value_kind:     by_value
      - .offset:         72
        .size:           8
        .value_kind:     by_value
      - .address_space:  global
        .offset:         80
        .size:           8
        .value_kind:     global_buffer
      - .offset:         88
        .size:           8
        .value_kind:     by_value
      - .offset:         96
        .size:           8
        .value_kind:     by_value
      - .offset:         104
        .size:           4
        .value_kind:     by_value
    .group_segment_fixed_size: 16384
    .kernarg_segment_align: 8
    .kernarg_segment_size: 108
    .language:       OpenCL C
    .language_version:
      - 2
      - 0
    .max_flat_workgroup_size: 1024
    .name:           _ZL23rocblas_trmm_rTx_kernelILi32ELb1EddKPKdKPdEv13rocblas_fill_17rocblas_diagonal_iiT2_lPT3_llS9_llPT4_lli
    .private_segment_fixed_size: 0
    .sgpr_count:     34
    .sgpr_spill_count: 0
    .symbol:         _ZL23rocblas_trmm_rTx_kernelILi32ELb1EddKPKdKPdEv13rocblas_fill_17rocblas_diagonal_iiT2_lPT3_llS9_llPT4_lli.kd
    .uniform_work_group_size: 1
    .uses_dynamic_stack: false
    .vgpr_count:     15
    .vgpr_spill_count: 0
    .wavefront_size: 32
    .workgroup_processor_mode: 1
  - .args:
      - .offset:         0
        .size:           4
        .value_kind:     by_value
      - .offset:         4
        .size:           4
        .value_kind:     by_value
      - .offset:         8
        .size:           4
        .value_kind:     by_value
      - .offset:         12
        .size:           4
        .value_kind:     by_value
      - .address_space:  global
        .offset:         16
        .size:           8
        .value_kind:     global_buffer
      - .offset:         24
        .size:           8
        .value_kind:     by_value
      - .address_space:  global
        .offset:         32
        .size:           8
        .value_kind:     global_buffer
      - .offset:         40
        .size:           8
        .value_kind:     by_value
      - .offset:         48
        .size:           8
        .value_kind:     by_value
      - .address_space:  global
        .offset:         56
        .size:           8
        .value_kind:     global_buffer
      - .offset:         64
        .size:           8
        .value_kind:     by_value
      - .offset:         72
        .size:           8
        .value_kind:     by_value
      - .address_space:  global
        .offset:         80
        .size:           8
        .value_kind:     global_buffer
      - .offset:         88
        .size:           8
        .value_kind:     by_value
      - .offset:         96
        .size:           8
        .value_kind:     by_value
      - .offset:         104
        .size:           4
        .value_kind:     by_value
    .group_segment_fixed_size: 4096
    .kernarg_segment_align: 8
    .kernarg_segment_size: 108
    .language:       OpenCL C
    .language_version:
      - 2
      - 0
    .max_flat_workgroup_size: 256
    .name:           _ZL23rocblas_trmm_lNx_kernelILi16E19rocblas_complex_numIfEPKS1_KS3_KPS1_Ev13rocblas_fill_17rocblas_diagonal_iiT1_lPT2_llSB_llPT3_lli
    .private_segment_fixed_size: 0
    .sgpr_count:     34
    .sgpr_spill_count: 0
    .symbol:         _ZL23rocblas_trmm_lNx_kernelILi16E19rocblas_complex_numIfEPKS1_KS3_KPS1_Ev13rocblas_fill_17rocblas_diagonal_iiT1_lPT2_llSB_llPT3_lli.kd
    .uniform_work_group_size: 1
    .uses_dynamic_stack: false
    .vgpr_count:     59
    .vgpr_spill_count: 0
    .wavefront_size: 32
    .workgroup_processor_mode: 1
  - .args:
      - .offset:         0
        .size:           4
        .value_kind:     by_value
      - .offset:         4
        .size:           4
        .value_kind:     by_value
      - .offset:         8
        .size:           4
        .value_kind:     by_value
      - .offset:         12
        .size:           4
        .value_kind:     by_value
      - .offset:         16
        .size:           8
        .value_kind:     by_value
      - .offset:         24
        .size:           8
        .value_kind:     by_value
      - .address_space:  global
        .offset:         32
        .size:           8
        .value_kind:     global_buffer
      - .offset:         40
        .size:           8
        .value_kind:     by_value
      - .offset:         48
        .size:           8
        .value_kind:     by_value
      - .address_space:  global
        .offset:         56
        .size:           8
        .value_kind:     global_buffer
      - .offset:         64
        .size:           8
        .value_kind:     by_value
      - .offset:         72
        .size:           8
        .value_kind:     by_value
      - .address_space:  global
        .offset:         80
        .size:           8
        .value_kind:     global_buffer
      - .offset:         88
        .size:           8
        .value_kind:     by_value
      - .offset:         96
        .size:           8
        .value_kind:     by_value
      - .offset:         104
        .size:           4
        .value_kind:     by_value
    .group_segment_fixed_size: 4096
    .kernarg_segment_align: 8
    .kernarg_segment_size: 108
    .language:       OpenCL C
    .language_version:
      - 2
      - 0
    .max_flat_workgroup_size: 256
    .name:           _ZL23rocblas_trmm_lNx_kernelILi16E19rocblas_complex_numIfES1_KPKS1_KPS1_Ev13rocblas_fill_17rocblas_diagonal_iiT1_lPT2_llSB_llPT3_lli
    .private_segment_fixed_size: 0
    .sgpr_count:     34
    .sgpr_spill_count: 0
    .symbol:         _ZL23rocblas_trmm_lNx_kernelILi16E19rocblas_complex_numIfES1_KPKS1_KPS1_Ev13rocblas_fill_17rocblas_diagonal_iiT1_lPT2_llSB_llPT3_lli.kd
    .uniform_work_group_size: 1
    .uses_dynamic_stack: false
    .vgpr_count:     59
    .vgpr_spill_count: 0
    .wavefront_size: 32
    .workgroup_processor_mode: 1
  - .args:
      - .offset:         0
        .size:           4
        .value_kind:     by_value
      - .offset:         4
        .size:           4
        .value_kind:     by_value
      - .offset:         8
        .size:           4
        .value_kind:     by_value
      - .offset:         12
        .size:           4
        .value_kind:     by_value
      - .address_space:  global
        .offset:         16
        .size:           8
        .value_kind:     global_buffer
      - .offset:         24
        .size:           8
        .value_kind:     by_value
      - .address_space:  global
        .offset:         32
        .size:           8
        .value_kind:     global_buffer
      - .offset:         40
        .size:           8
        .value_kind:     by_value
      - .offset:         48
        .size:           8
        .value_kind:     by_value
      - .address_space:  global
        .offset:         56
        .size:           8
        .value_kind:     global_buffer
      - .offset:         64
        .size:           8
        .value_kind:     by_value
      - .offset:         72
        .size:           8
        .value_kind:     by_value
      - .address_space:  global
        .offset:         80
        .size:           8
        .value_kind:     global_buffer
      - .offset:         88
        .size:           8
        .value_kind:     by_value
      - .offset:         96
        .size:           8
        .value_kind:     by_value
      - .offset:         104
        .size:           4
        .value_kind:     by_value
    .group_segment_fixed_size: 4096
    .kernarg_segment_align: 8
    .kernarg_segment_size: 108
    .language:       OpenCL C
    .language_version:
      - 2
      - 0
    .max_flat_workgroup_size: 256
    .name:           _ZL23rocblas_trmm_lTx_kernelILi16ELb0E19rocblas_complex_numIfEPKS1_KS3_KPS1_Ev13rocblas_fill_17rocblas_diagonal_iiT2_lPT3_llSB_llPT4_lli
    .private_segment_fixed_size: 0
    .sgpr_count:     34
    .sgpr_spill_count: 0
    .symbol:         _ZL23rocblas_trmm_lTx_kernelILi16ELb0E19rocblas_complex_numIfEPKS1_KS3_KPS1_Ev13rocblas_fill_17rocblas_diagonal_iiT2_lPT3_llSB_llPT4_lli.kd
    .uniform_work_group_size: 1
    .uses_dynamic_stack: false
    .vgpr_count:     59
    .vgpr_spill_count: 0
    .wavefront_size: 32
    .workgroup_processor_mode: 1
  - .args:
      - .offset:         0
        .size:           4
        .value_kind:     by_value
      - .offset:         4
        .size:           4
        .value_kind:     by_value
      - .offset:         8
        .size:           4
        .value_kind:     by_value
      - .offset:         12
        .size:           4
        .value_kind:     by_value
      - .offset:         16
        .size:           8
        .value_kind:     by_value
      - .offset:         24
        .size:           8
        .value_kind:     by_value
      - .address_space:  global
        .offset:         32
        .size:           8
        .value_kind:     global_buffer
      - .offset:         40
        .size:           8
        .value_kind:     by_value
      - .offset:         48
        .size:           8
        .value_kind:     by_value
      - .address_space:  global
        .offset:         56
        .size:           8
        .value_kind:     global_buffer
      - .offset:         64
        .size:           8
        .value_kind:     by_value
      - .offset:         72
        .size:           8
        .value_kind:     by_value
      - .address_space:  global
        .offset:         80
        .size:           8
        .value_kind:     global_buffer
      - .offset:         88
        .size:           8
        .value_kind:     by_value
      - .offset:         96
        .size:           8
        .value_kind:     by_value
      - .offset:         104
        .size:           4
        .value_kind:     by_value
    .group_segment_fixed_size: 4096
    .kernarg_segment_align: 8
    .kernarg_segment_size: 108
    .language:       OpenCL C
    .language_version:
      - 2
      - 0
    .max_flat_workgroup_size: 256
    .name:           _ZL23rocblas_trmm_lTx_kernelILi16ELb0E19rocblas_complex_numIfES1_KPKS1_KPS1_Ev13rocblas_fill_17rocblas_diagonal_iiT2_lPT3_llSB_llPT4_lli
    .private_segment_fixed_size: 0
    .sgpr_count:     34
    .sgpr_spill_count: 0
    .symbol:         _ZL23rocblas_trmm_lTx_kernelILi16ELb0E19rocblas_complex_numIfES1_KPKS1_KPS1_Ev13rocblas_fill_17rocblas_diagonal_iiT2_lPT3_llSB_llPT4_lli.kd
    .uniform_work_group_size: 1
    .uses_dynamic_stack: false
    .vgpr_count:     59
    .vgpr_spill_count: 0
    .wavefront_size: 32
    .workgroup_processor_mode: 1
  - .args:
      - .offset:         0
        .size:           4
        .value_kind:     by_value
      - .offset:         4
        .size:           4
        .value_kind:     by_value
      - .offset:         8
        .size:           4
        .value_kind:     by_value
      - .offset:         12
        .size:           4
        .value_kind:     by_value
      - .address_space:  global
        .offset:         16
        .size:           8
        .value_kind:     global_buffer
      - .offset:         24
        .size:           8
        .value_kind:     by_value
      - .address_space:  global
        .offset:         32
        .size:           8
        .value_kind:     global_buffer
      - .offset:         40
        .size:           8
        .value_kind:     by_value
      - .offset:         48
        .size:           8
        .value_kind:     by_value
      - .address_space:  global
        .offset:         56
        .size:           8
        .value_kind:     global_buffer
      - .offset:         64
        .size:           8
        .value_kind:     by_value
      - .offset:         72
        .size:           8
        .value_kind:     by_value
      - .address_space:  global
        .offset:         80
        .size:           8
        .value_kind:     global_buffer
      - .offset:         88
        .size:           8
        .value_kind:     by_value
      - .offset:         96
        .size:           8
        .value_kind:     by_value
      - .offset:         104
        .size:           4
        .value_kind:     by_value
    .group_segment_fixed_size: 4096
    .kernarg_segment_align: 8
    .kernarg_segment_size: 108
    .language:       OpenCL C
    .language_version:
      - 2
      - 0
    .max_flat_workgroup_size: 256
    .name:           _ZL23rocblas_trmm_lTx_kernelILi16ELb1E19rocblas_complex_numIfEPKS1_KS3_KPS1_Ev13rocblas_fill_17rocblas_diagonal_iiT2_lPT3_llSB_llPT4_lli
    .private_segment_fixed_size: 0
    .sgpr_count:     34
    .sgpr_spill_count: 0
    .symbol:         _ZL23rocblas_trmm_lTx_kernelILi16ELb1E19rocblas_complex_numIfEPKS1_KS3_KPS1_Ev13rocblas_fill_17rocblas_diagonal_iiT2_lPT3_llSB_llPT4_lli.kd
    .uniform_work_group_size: 1
    .uses_dynamic_stack: false
    .vgpr_count:     59
    .vgpr_spill_count: 0
    .wavefront_size: 32
    .workgroup_processor_mode: 1
  - .args:
      - .offset:         0
        .size:           4
        .value_kind:     by_value
      - .offset:         4
        .size:           4
        .value_kind:     by_value
      - .offset:         8
        .size:           4
        .value_kind:     by_value
      - .offset:         12
        .size:           4
        .value_kind:     by_value
      - .offset:         16
        .size:           8
        .value_kind:     by_value
      - .offset:         24
        .size:           8
        .value_kind:     by_value
      - .address_space:  global
        .offset:         32
        .size:           8
        .value_kind:     global_buffer
      - .offset:         40
        .size:           8
        .value_kind:     by_value
      - .offset:         48
        .size:           8
        .value_kind:     by_value
      - .address_space:  global
        .offset:         56
        .size:           8
        .value_kind:     global_buffer
      - .offset:         64
        .size:           8
        .value_kind:     by_value
      - .offset:         72
        .size:           8
        .value_kind:     by_value
      - .address_space:  global
        .offset:         80
        .size:           8
        .value_kind:     global_buffer
      - .offset:         88
        .size:           8
        .value_kind:     by_value
      - .offset:         96
        .size:           8
        .value_kind:     by_value
      - .offset:         104
        .size:           4
        .value_kind:     by_value
    .group_segment_fixed_size: 4096
    .kernarg_segment_align: 8
    .kernarg_segment_size: 108
    .language:       OpenCL C
    .language_version:
      - 2
      - 0
    .max_flat_workgroup_size: 256
    .name:           _ZL23rocblas_trmm_lTx_kernelILi16ELb1E19rocblas_complex_numIfES1_KPKS1_KPS1_Ev13rocblas_fill_17rocblas_diagonal_iiT2_lPT3_llSB_llPT4_lli
    .private_segment_fixed_size: 0
    .sgpr_count:     34
    .sgpr_spill_count: 0
    .symbol:         _ZL23rocblas_trmm_lTx_kernelILi16ELb1E19rocblas_complex_numIfES1_KPKS1_KPS1_Ev13rocblas_fill_17rocblas_diagonal_iiT2_lPT3_llSB_llPT4_lli.kd
    .uniform_work_group_size: 1
    .uses_dynamic_stack: false
    .vgpr_count:     59
    .vgpr_spill_count: 0
    .wavefront_size: 32
    .workgroup_processor_mode: 1
  - .args:
      - .offset:         0
        .size:           4
        .value_kind:     by_value
      - .offset:         4
        .size:           4
        .value_kind:     by_value
      - .offset:         8
        .size:           4
        .value_kind:     by_value
      - .offset:         12
        .size:           4
        .value_kind:     by_value
      - .address_space:  global
        .offset:         16
        .size:           8
        .value_kind:     global_buffer
      - .offset:         24
        .size:           8
        .value_kind:     by_value
      - .address_space:  global
        .offset:         32
        .size:           8
        .value_kind:     global_buffer
      - .offset:         40
        .size:           8
        .value_kind:     by_value
      - .offset:         48
        .size:           8
        .value_kind:     by_value
      - .address_space:  global
        .offset:         56
        .size:           8
        .value_kind:     global_buffer
      - .offset:         64
        .size:           8
        .value_kind:     by_value
      - .offset:         72
        .size:           8
        .value_kind:     by_value
      - .address_space:  global
        .offset:         80
        .size:           8
        .value_kind:     global_buffer
      - .offset:         88
        .size:           8
        .value_kind:     by_value
      - .offset:         96
        .size:           8
        .value_kind:     by_value
      - .offset:         104
        .size:           4
        .value_kind:     by_value
    .group_segment_fixed_size: 4096
    .kernarg_segment_align: 8
    .kernarg_segment_size: 108
    .language:       OpenCL C
    .language_version:
      - 2
      - 0
    .max_flat_workgroup_size: 256
    .name:           _ZL23rocblas_trmm_rNx_kernelILi16E19rocblas_complex_numIfEPKS1_KS3_KPS1_Ev13rocblas_fill_17rocblas_diagonal_iiT1_lPT2_llSB_llPT3_lli
    .private_segment_fixed_size: 0
    .sgpr_count:     34
    .sgpr_spill_count: 0
    .symbol:         _ZL23rocblas_trmm_rNx_kernelILi16E19rocblas_complex_numIfEPKS1_KS3_KPS1_Ev13rocblas_fill_17rocblas_diagonal_iiT1_lPT2_llSB_llPT3_lli.kd
    .uniform_work_group_size: 1
    .uses_dynamic_stack: false
    .vgpr_count:     59
    .vgpr_spill_count: 0
    .wavefront_size: 32
    .workgroup_processor_mode: 1
  - .args:
      - .offset:         0
        .size:           4
        .value_kind:     by_value
      - .offset:         4
        .size:           4
        .value_kind:     by_value
      - .offset:         8
        .size:           4
        .value_kind:     by_value
      - .offset:         12
        .size:           4
        .value_kind:     by_value
      - .offset:         16
        .size:           8
        .value_kind:     by_value
      - .offset:         24
        .size:           8
        .value_kind:     by_value
      - .address_space:  global
        .offset:         32
        .size:           8
        .value_kind:     global_buffer
      - .offset:         40
        .size:           8
        .value_kind:     by_value
      - .offset:         48
        .size:           8
        .value_kind:     by_value
      - .address_space:  global
        .offset:         56
        .size:           8
        .value_kind:     global_buffer
      - .offset:         64
        .size:           8
        .value_kind:     by_value
      - .offset:         72
        .size:           8
        .value_kind:     by_value
      - .address_space:  global
        .offset:         80
        .size:           8
        .value_kind:     global_buffer
      - .offset:         88
        .size:           8
        .value_kind:     by_value
      - .offset:         96
        .size:           8
        .value_kind:     by_value
      - .offset:         104
        .size:           4
        .value_kind:     by_value
    .group_segment_fixed_size: 4096
    .kernarg_segment_align: 8
    .kernarg_segment_size: 108
    .language:       OpenCL C
    .language_version:
      - 2
      - 0
    .max_flat_workgroup_size: 256
    .name:           _ZL23rocblas_trmm_rNx_kernelILi16E19rocblas_complex_numIfES1_KPKS1_KPS1_Ev13rocblas_fill_17rocblas_diagonal_iiT1_lPT2_llSB_llPT3_lli
    .private_segment_fixed_size: 0
    .sgpr_count:     34
    .sgpr_spill_count: 0
    .symbol:         _ZL23rocblas_trmm_rNx_kernelILi16E19rocblas_complex_numIfES1_KPKS1_KPS1_Ev13rocblas_fill_17rocblas_diagonal_iiT1_lPT2_llSB_llPT3_lli.kd
    .uniform_work_group_size: 1
    .uses_dynamic_stack: false
    .vgpr_count:     59
    .vgpr_spill_count: 0
    .wavefront_size: 32
    .workgroup_processor_mode: 1
  - .args:
      - .offset:         0
        .size:           4
        .value_kind:     by_value
      - .offset:         4
        .size:           4
        .value_kind:     by_value
      - .offset:         8
        .size:           4
        .value_kind:     by_value
      - .offset:         12
        .size:           4
        .value_kind:     by_value
      - .address_space:  global
        .offset:         16
        .size:           8
        .value_kind:     global_buffer
      - .offset:         24
        .size:           8
        .value_kind:     by_value
      - .address_space:  global
        .offset:         32
        .size:           8
        .value_kind:     global_buffer
      - .offset:         40
        .size:           8
        .value_kind:     by_value
      - .offset:         48
        .size:           8
        .value_kind:     by_value
      - .address_space:  global
        .offset:         56
        .size:           8
        .value_kind:     global_buffer
      - .offset:         64
        .size:           8
        .value_kind:     by_value
      - .offset:         72
        .size:           8
        .value_kind:     by_value
      - .address_space:  global
        .offset:         80
        .size:           8
        .value_kind:     global_buffer
      - .offset:         88
        .size:           8
        .value_kind:     by_value
      - .offset:         96
        .size:           8
        .value_kind:     by_value
      - .offset:         104
        .size:           4
        .value_kind:     by_value
    .group_segment_fixed_size: 4096
    .kernarg_segment_align: 8
    .kernarg_segment_size: 108
    .language:       OpenCL C
    .language_version:
      - 2
      - 0
    .max_flat_workgroup_size: 256
    .name:           _ZL23rocblas_trmm_rTx_kernelILi16ELb0E19rocblas_complex_numIfEPKS1_KS3_KPS1_Ev13rocblas_fill_17rocblas_diagonal_iiT2_lPT3_llSB_llPT4_lli
    .private_segment_fixed_size: 0
    .sgpr_count:     34
    .sgpr_spill_count: 0
    .symbol:         _ZL23rocblas_trmm_rTx_kernelILi16ELb0E19rocblas_complex_numIfEPKS1_KS3_KPS1_Ev13rocblas_fill_17rocblas_diagonal_iiT2_lPT3_llSB_llPT4_lli.kd
    .uniform_work_group_size: 1
    .uses_dynamic_stack: false
    .vgpr_count:     62
    .vgpr_spill_count: 0
    .wavefront_size: 32
    .workgroup_processor_mode: 1
  - .args:
      - .offset:         0
        .size:           4
        .value_kind:     by_value
      - .offset:         4
        .size:           4
        .value_kind:     by_value
      - .offset:         8
        .size:           4
        .value_kind:     by_value
      - .offset:         12
        .size:           4
        .value_kind:     by_value
      - .offset:         16
        .size:           8
        .value_kind:     by_value
      - .offset:         24
        .size:           8
        .value_kind:     by_value
      - .address_space:  global
        .offset:         32
        .size:           8
        .value_kind:     global_buffer
      - .offset:         40
        .size:           8
        .value_kind:     by_value
      - .offset:         48
        .size:           8
        .value_kind:     by_value
      - .address_space:  global
        .offset:         56
        .size:           8
        .value_kind:     global_buffer
      - .offset:         64
        .size:           8
        .value_kind:     by_value
      - .offset:         72
        .size:           8
        .value_kind:     by_value
      - .address_space:  global
        .offset:         80
        .size:           8
        .value_kind:     global_buffer
      - .offset:         88
        .size:           8
        .value_kind:     by_value
      - .offset:         96
        .size:           8
        .value_kind:     by_value
      - .offset:         104
        .size:           4
        .value_kind:     by_value
    .group_segment_fixed_size: 4096
    .kernarg_segment_align: 8
    .kernarg_segment_size: 108
    .language:       OpenCL C
    .language_version:
      - 2
      - 0
    .max_flat_workgroup_size: 256
    .name:           _ZL23rocblas_trmm_rTx_kernelILi16ELb0E19rocblas_complex_numIfES1_KPKS1_KPS1_Ev13rocblas_fill_17rocblas_diagonal_iiT2_lPT3_llSB_llPT4_lli
    .private_segment_fixed_size: 0
    .sgpr_count:     34
    .sgpr_spill_count: 0
    .symbol:         _ZL23rocblas_trmm_rTx_kernelILi16ELb0E19rocblas_complex_numIfES1_KPKS1_KPS1_Ev13rocblas_fill_17rocblas_diagonal_iiT2_lPT3_llSB_llPT4_lli.kd
    .uniform_work_group_size: 1
    .uses_dynamic_stack: false
    .vgpr_count:     62
    .vgpr_spill_count: 0
    .wavefront_size: 32
    .workgroup_processor_mode: 1
  - .args:
      - .offset:         0
        .size:           4
        .value_kind:     by_value
      - .offset:         4
        .size:           4
        .value_kind:     by_value
      - .offset:         8
        .size:           4
        .value_kind:     by_value
      - .offset:         12
        .size:           4
        .value_kind:     by_value
      - .address_space:  global
        .offset:         16
        .size:           8
        .value_kind:     global_buffer
      - .offset:         24
        .size:           8
        .value_kind:     by_value
      - .address_space:  global
        .offset:         32
        .size:           8
        .value_kind:     global_buffer
      - .offset:         40
        .size:           8
        .value_kind:     by_value
      - .offset:         48
        .size:           8
        .value_kind:     by_value
      - .address_space:  global
        .offset:         56
        .size:           8
        .value_kind:     global_buffer
      - .offset:         64
        .size:           8
        .value_kind:     by_value
      - .offset:         72
        .size:           8
        .value_kind:     by_value
      - .address_space:  global
        .offset:         80
        .size:           8
        .value_kind:     global_buffer
      - .offset:         88
        .size:           8
        .value_kind:     by_value
      - .offset:         96
        .size:           8
        .value_kind:     by_value
      - .offset:         104
        .size:           4
        .value_kind:     by_value
    .group_segment_fixed_size: 4096
    .kernarg_segment_align: 8
    .kernarg_segment_size: 108
    .language:       OpenCL C
    .language_version:
      - 2
      - 0
    .max_flat_workgroup_size: 256
    .name:           _ZL23rocblas_trmm_rTx_kernelILi16ELb1E19rocblas_complex_numIfEPKS1_KS3_KPS1_Ev13rocblas_fill_17rocblas_diagonal_iiT2_lPT3_llSB_llPT4_lli
    .private_segment_fixed_size: 0
    .sgpr_count:     34
    .sgpr_spill_count: 0
    .symbol:         _ZL23rocblas_trmm_rTx_kernelILi16ELb1E19rocblas_complex_numIfEPKS1_KS3_KPS1_Ev13rocblas_fill_17rocblas_diagonal_iiT2_lPT3_llSB_llPT4_lli.kd
    .uniform_work_group_size: 1
    .uses_dynamic_stack: false
    .vgpr_count:     62
    .vgpr_spill_count: 0
    .wavefront_size: 32
    .workgroup_processor_mode: 1
  - .args:
      - .offset:         0
        .size:           4
        .value_kind:     by_value
      - .offset:         4
        .size:           4
        .value_kind:     by_value
      - .offset:         8
        .size:           4
        .value_kind:     by_value
      - .offset:         12
        .size:           4
        .value_kind:     by_value
      - .offset:         16
        .size:           8
        .value_kind:     by_value
      - .offset:         24
        .size:           8
        .value_kind:     by_value
      - .address_space:  global
        .offset:         32
        .size:           8
        .value_kind:     global_buffer
      - .offset:         40
        .size:           8
        .value_kind:     by_value
      - .offset:         48
        .size:           8
        .value_kind:     by_value
      - .address_space:  global
        .offset:         56
        .size:           8
        .value_kind:     global_buffer
      - .offset:         64
        .size:           8
        .value_kind:     by_value
      - .offset:         72
        .size:           8
        .value_kind:     by_value
      - .address_space:  global
        .offset:         80
        .size:           8
        .value_kind:     global_buffer
      - .offset:         88
        .size:           8
        .value_kind:     by_value
      - .offset:         96
        .size:           8
        .value_kind:     by_value
      - .offset:         104
        .size:           4
        .value_kind:     by_value
    .group_segment_fixed_size: 4096
    .kernarg_segment_align: 8
    .kernarg_segment_size: 108
    .language:       OpenCL C
    .language_version:
      - 2
      - 0
    .max_flat_workgroup_size: 256
    .name:           _ZL23rocblas_trmm_rTx_kernelILi16ELb1E19rocblas_complex_numIfES1_KPKS1_KPS1_Ev13rocblas_fill_17rocblas_diagonal_iiT2_lPT3_llSB_llPT4_lli
    .private_segment_fixed_size: 0
    .sgpr_count:     34
    .sgpr_spill_count: 0
    .symbol:         _ZL23rocblas_trmm_rTx_kernelILi16ELb1E19rocblas_complex_numIfES1_KPKS1_KPS1_Ev13rocblas_fill_17rocblas_diagonal_iiT2_lPT3_llSB_llPT4_lli.kd
    .uniform_work_group_size: 1
    .uses_dynamic_stack: false
    .vgpr_count:     62
    .vgpr_spill_count: 0
    .wavefront_size: 32
    .workgroup_processor_mode: 1
  - .args:
      - .offset:         0
        .size:           4
        .value_kind:     by_value
      - .offset:         4
        .size:           4
        .value_kind:     by_value
      - .offset:         8
        .size:           4
        .value_kind:     by_value
      - .offset:         12
        .size:           4
        .value_kind:     by_value
      - .address_space:  global
        .offset:         16
        .size:           8
        .value_kind:     global_buffer
      - .offset:         24
        .size:           8
        .value_kind:     by_value
      - .address_space:  global
        .offset:         32
        .size:           8
        .value_kind:     global_buffer
      - .offset:         40
        .size:           8
        .value_kind:     by_value
      - .offset:         48
        .size:           8
        .value_kind:     by_value
      - .address_space:  global
        .offset:         56
        .size:           8
        .value_kind:     global_buffer
      - .offset:         64
        .size:           8
        .value_kind:     by_value
      - .offset:         72
        .size:           8
        .value_kind:     by_value
      - .address_space:  global
        .offset:         80
        .size:           8
        .value_kind:     global_buffer
      - .offset:         88
        .size:           8
        .value_kind:     by_value
      - .offset:         96
        .size:           8
        .value_kind:     by_value
      - .offset:         104
        .size:           4
        .value_kind:     by_value
    .group_segment_fixed_size: 8192
    .kernarg_segment_align: 8
    .kernarg_segment_size: 108
    .language:       OpenCL C
    .language_version:
      - 2
      - 0
    .max_flat_workgroup_size: 256
    .name:           _ZL23rocblas_trmm_lNx_kernelILi16E19rocblas_complex_numIdEPKS1_KS3_KPS1_Ev13rocblas_fill_17rocblas_diagonal_iiT1_lPT2_llSB_llPT3_lli
    .private_segment_fixed_size: 0
    .sgpr_count:     40
    .sgpr_spill_count: 0
    .symbol:         _ZL23rocblas_trmm_lNx_kernelILi16E19rocblas_complex_numIdEPKS1_KS3_KPS1_Ev13rocblas_fill_17rocblas_diagonal_iiT1_lPT2_llSB_llPT3_lli.kd
    .uniform_work_group_size: 1
    .uses_dynamic_stack: false
    .vgpr_count:     45
    .vgpr_spill_count: 0
    .wavefront_size: 32
    .workgroup_processor_mode: 1
  - .args:
      - .offset:         0
        .size:           4
        .value_kind:     by_value
      - .offset:         4
        .size:           4
        .value_kind:     by_value
      - .offset:         8
        .size:           4
        .value_kind:     by_value
      - .offset:         12
        .size:           4
        .value_kind:     by_value
      - .offset:         16
        .size:           16
        .value_kind:     by_value
      - .offset:         32
        .size:           8
        .value_kind:     by_value
      - .address_space:  global
        .offset:         40
        .size:           8
        .value_kind:     global_buffer
      - .offset:         48
        .size:           8
        .value_kind:     by_value
      - .offset:         56
        .size:           8
        .value_kind:     by_value
      - .address_space:  global
        .offset:         64
        .size:           8
        .value_kind:     global_buffer
      - .offset:         72
        .size:           8
        .value_kind:     by_value
      - .offset:         80
        .size:           8
        .value_kind:     by_value
      - .address_space:  global
        .offset:         88
        .size:           8
        .value_kind:     global_buffer
      - .offset:         96
        .size:           8
        .value_kind:     by_value
      - .offset:         104
        .size:           8
        .value_kind:     by_value
      - .offset:         112
        .size:           4
        .value_kind:     by_value
    .group_segment_fixed_size: 8192
    .kernarg_segment_align: 8
    .kernarg_segment_size: 116
    .language:       OpenCL C
    .language_version:
      - 2
      - 0
    .max_flat_workgroup_size: 256
    .name:           _ZL23rocblas_trmm_lNx_kernelILi16E19rocblas_complex_numIdES1_KPKS1_KPS1_Ev13rocblas_fill_17rocblas_diagonal_iiT1_lPT2_llSB_llPT3_lli
    .private_segment_fixed_size: 0
    .sgpr_count:     38
    .sgpr_spill_count: 0
    .symbol:         _ZL23rocblas_trmm_lNx_kernelILi16E19rocblas_complex_numIdES1_KPKS1_KPS1_Ev13rocblas_fill_17rocblas_diagonal_iiT1_lPT2_llSB_llPT3_lli.kd
    .uniform_work_group_size: 1
    .uses_dynamic_stack: false
    .vgpr_count:     45
    .vgpr_spill_count: 0
    .wavefront_size: 32
    .workgroup_processor_mode: 1
  - .args:
      - .offset:         0
        .size:           4
        .value_kind:     by_value
      - .offset:         4
        .size:           4
        .value_kind:     by_value
      - .offset:         8
        .size:           4
        .value_kind:     by_value
      - .offset:         12
        .size:           4
        .value_kind:     by_value
      - .address_space:  global
        .offset:         16
        .size:           8
        .value_kind:     global_buffer
      - .offset:         24
        .size:           8
        .value_kind:     by_value
      - .address_space:  global
        .offset:         32
        .size:           8
        .value_kind:     global_buffer
      - .offset:         40
        .size:           8
        .value_kind:     by_value
      - .offset:         48
        .size:           8
        .value_kind:     by_value
      - .address_space:  global
        .offset:         56
        .size:           8
        .value_kind:     global_buffer
      - .offset:         64
        .size:           8
        .value_kind:     by_value
      - .offset:         72
        .size:           8
        .value_kind:     by_value
      - .address_space:  global
        .offset:         80
        .size:           8
        .value_kind:     global_buffer
      - .offset:         88
        .size:           8
        .value_kind:     by_value
      - .offset:         96
        .size:           8
        .value_kind:     by_value
      - .offset:         104
        .size:           4
        .value_kind:     by_value
    .group_segment_fixed_size: 8192
    .kernarg_segment_align: 8
    .kernarg_segment_size: 108
    .language:       OpenCL C
    .language_version:
      - 2
      - 0
    .max_flat_workgroup_size: 256
    .name:           _ZL23rocblas_trmm_lTx_kernelILi16ELb0E19rocblas_complex_numIdEPKS1_KS3_KPS1_Ev13rocblas_fill_17rocblas_diagonal_iiT2_lPT3_llSB_llPT4_lli
    .private_segment_fixed_size: 0
    .sgpr_count:     38
    .sgpr_spill_count: 0
    .symbol:         _ZL23rocblas_trmm_lTx_kernelILi16ELb0E19rocblas_complex_numIdEPKS1_KS3_KPS1_Ev13rocblas_fill_17rocblas_diagonal_iiT2_lPT3_llSB_llPT4_lli.kd
    .uniform_work_group_size: 1
    .uses_dynamic_stack: false
    .vgpr_count:     45
    .vgpr_spill_count: 0
    .wavefront_size: 32
    .workgroup_processor_mode: 1
  - .args:
      - .offset:         0
        .size:           4
        .value_kind:     by_value
      - .offset:         4
        .size:           4
        .value_kind:     by_value
      - .offset:         8
        .size:           4
        .value_kind:     by_value
      - .offset:         12
        .size:           4
        .value_kind:     by_value
      - .offset:         16
        .size:           16
        .value_kind:     by_value
      - .offset:         32
        .size:           8
        .value_kind:     by_value
      - .address_space:  global
        .offset:         40
        .size:           8
        .value_kind:     global_buffer
      - .offset:         48
        .size:           8
        .value_kind:     by_value
      - .offset:         56
        .size:           8
        .value_kind:     by_value
      - .address_space:  global
        .offset:         64
        .size:           8
        .value_kind:     global_buffer
      - .offset:         72
        .size:           8
        .value_kind:     by_value
      - .offset:         80
        .size:           8
        .value_kind:     by_value
      - .address_space:  global
        .offset:         88
        .size:           8
        .value_kind:     global_buffer
      - .offset:         96
        .size:           8
        .value_kind:     by_value
      - .offset:         104
        .size:           8
        .value_kind:     by_value
      - .offset:         112
        .size:           4
        .value_kind:     by_value
    .group_segment_fixed_size: 8192
    .kernarg_segment_align: 8
    .kernarg_segment_size: 116
    .language:       OpenCL C
    .language_version:
      - 2
      - 0
    .max_flat_workgroup_size: 256
    .name:           _ZL23rocblas_trmm_lTx_kernelILi16ELb0E19rocblas_complex_numIdES1_KPKS1_KPS1_Ev13rocblas_fill_17rocblas_diagonal_iiT2_lPT3_llSB_llPT4_lli
    .private_segment_fixed_size: 0
    .sgpr_count:     38
    .sgpr_spill_count: 0
    .symbol:         _ZL23rocblas_trmm_lTx_kernelILi16ELb0E19rocblas_complex_numIdES1_KPKS1_KPS1_Ev13rocblas_fill_17rocblas_diagonal_iiT2_lPT3_llSB_llPT4_lli.kd
    .uniform_work_group_size: 1
    .uses_dynamic_stack: false
    .vgpr_count:     45
    .vgpr_spill_count: 0
    .wavefront_size: 32
    .workgroup_processor_mode: 1
  - .args:
      - .offset:         0
        .size:           4
        .value_kind:     by_value
      - .offset:         4
        .size:           4
        .value_kind:     by_value
      - .offset:         8
        .size:           4
        .value_kind:     by_value
      - .offset:         12
        .size:           4
        .value_kind:     by_value
      - .address_space:  global
        .offset:         16
        .size:           8
        .value_kind:     global_buffer
      - .offset:         24
        .size:           8
        .value_kind:     by_value
      - .address_space:  global
        .offset:         32
        .size:           8
        .value_kind:     global_buffer
      - .offset:         40
        .size:           8
        .value_kind:     by_value
      - .offset:         48
        .size:           8
        .value_kind:     by_value
      - .address_space:  global
        .offset:         56
        .size:           8
        .value_kind:     global_buffer
      - .offset:         64
        .size:           8
        .value_kind:     by_value
      - .offset:         72
        .size:           8
        .value_kind:     by_value
      - .address_space:  global
        .offset:         80
        .size:           8
        .value_kind:     global_buffer
      - .offset:         88
        .size:           8
        .value_kind:     by_value
      - .offset:         96
        .size:           8
        .value_kind:     by_value
      - .offset:         104
        .size:           4
        .value_kind:     by_value
    .group_segment_fixed_size: 8192
    .kernarg_segment_align: 8
    .kernarg_segment_size: 108
    .language:       OpenCL C
    .language_version:
      - 2
      - 0
    .max_flat_workgroup_size: 256
    .name:           _ZL23rocblas_trmm_lTx_kernelILi16ELb1E19rocblas_complex_numIdEPKS1_KS3_KPS1_Ev13rocblas_fill_17rocblas_diagonal_iiT2_lPT3_llSB_llPT4_lli
    .private_segment_fixed_size: 0
    .sgpr_count:     38
    .sgpr_spill_count: 0
    .symbol:         _ZL23rocblas_trmm_lTx_kernelILi16ELb1E19rocblas_complex_numIdEPKS1_KS3_KPS1_Ev13rocblas_fill_17rocblas_diagonal_iiT2_lPT3_llSB_llPT4_lli.kd
    .uniform_work_group_size: 1
    .uses_dynamic_stack: false
    .vgpr_count:     45
    .vgpr_spill_count: 0
    .wavefront_size: 32
    .workgroup_processor_mode: 1
  - .args:
      - .offset:         0
        .size:           4
        .value_kind:     by_value
      - .offset:         4
        .size:           4
        .value_kind:     by_value
      - .offset:         8
        .size:           4
        .value_kind:     by_value
      - .offset:         12
        .size:           4
        .value_kind:     by_value
      - .offset:         16
        .size:           16
        .value_kind:     by_value
      - .offset:         32
        .size:           8
        .value_kind:     by_value
      - .address_space:  global
        .offset:         40
        .size:           8
        .value_kind:     global_buffer
      - .offset:         48
        .size:           8
        .value_kind:     by_value
      - .offset:         56
        .size:           8
        .value_kind:     by_value
      - .address_space:  global
        .offset:         64
        .size:           8
        .value_kind:     global_buffer
      - .offset:         72
        .size:           8
        .value_kind:     by_value
      - .offset:         80
        .size:           8
        .value_kind:     by_value
      - .address_space:  global
        .offset:         88
        .size:           8
        .value_kind:     global_buffer
      - .offset:         96
        .size:           8
        .value_kind:     by_value
      - .offset:         104
        .size:           8
        .value_kind:     by_value
      - .offset:         112
        .size:           4
        .value_kind:     by_value
    .group_segment_fixed_size: 8192
    .kernarg_segment_align: 8
    .kernarg_segment_size: 116
    .language:       OpenCL C
    .language_version:
      - 2
      - 0
    .max_flat_workgroup_size: 256
    .name:           _ZL23rocblas_trmm_lTx_kernelILi16ELb1E19rocblas_complex_numIdES1_KPKS1_KPS1_Ev13rocblas_fill_17rocblas_diagonal_iiT2_lPT3_llSB_llPT4_lli
    .private_segment_fixed_size: 0
    .sgpr_count:     38
    .sgpr_spill_count: 0
    .symbol:         _ZL23rocblas_trmm_lTx_kernelILi16ELb1E19rocblas_complex_numIdES1_KPKS1_KPS1_Ev13rocblas_fill_17rocblas_diagonal_iiT2_lPT3_llSB_llPT4_lli.kd
    .uniform_work_group_size: 1
    .uses_dynamic_stack: false
    .vgpr_count:     45
    .vgpr_spill_count: 0
    .wavefront_size: 32
    .workgroup_processor_mode: 1
  - .args:
      - .offset:         0
        .size:           4
        .value_kind:     by_value
      - .offset:         4
        .size:           4
        .value_kind:     by_value
      - .offset:         8
        .size:           4
        .value_kind:     by_value
      - .offset:         12
        .size:           4
        .value_kind:     by_value
      - .address_space:  global
        .offset:         16
        .size:           8
        .value_kind:     global_buffer
      - .offset:         24
        .size:           8
        .value_kind:     by_value
      - .address_space:  global
        .offset:         32
        .size:           8
        .value_kind:     global_buffer
      - .offset:         40
        .size:           8
        .value_kind:     by_value
      - .offset:         48
        .size:           8
        .value_kind:     by_value
      - .address_space:  global
        .offset:         56
        .size:           8
        .value_kind:     global_buffer
      - .offset:         64
        .size:           8
        .value_kind:     by_value
      - .offset:         72
        .size:           8
        .value_kind:     by_value
      - .address_space:  global
        .offset:         80
        .size:           8
        .value_kind:     global_buffer
      - .offset:         88
        .size:           8
        .value_kind:     by_value
      - .offset:         96
        .size:           8
        .value_kind:     by_value
      - .offset:         104
        .size:           4
        .value_kind:     by_value
    .group_segment_fixed_size: 8192
    .kernarg_segment_align: 8
    .kernarg_segment_size: 108
    .language:       OpenCL C
    .language_version:
      - 2
      - 0
    .max_flat_workgroup_size: 256
    .name:           _ZL23rocblas_trmm_rNx_kernelILi16E19rocblas_complex_numIdEPKS1_KS3_KPS1_Ev13rocblas_fill_17rocblas_diagonal_iiT1_lPT2_llSB_llPT3_lli
    .private_segment_fixed_size: 0
    .sgpr_count:     40
    .sgpr_spill_count: 0
    .symbol:         _ZL23rocblas_trmm_rNx_kernelILi16E19rocblas_complex_numIdEPKS1_KS3_KPS1_Ev13rocblas_fill_17rocblas_diagonal_iiT1_lPT2_llSB_llPT3_lli.kd
    .uniform_work_group_size: 1
    .uses_dynamic_stack: false
    .vgpr_count:     45
    .vgpr_spill_count: 0
    .wavefront_size: 32
    .workgroup_processor_mode: 1
  - .args:
      - .offset:         0
        .size:           4
        .value_kind:     by_value
      - .offset:         4
        .size:           4
        .value_kind:     by_value
      - .offset:         8
        .size:           4
        .value_kind:     by_value
      - .offset:         12
        .size:           4
        .value_kind:     by_value
      - .offset:         16
        .size:           16
        .value_kind:     by_value
      - .offset:         32
        .size:           8
        .value_kind:     by_value
      - .address_space:  global
        .offset:         40
        .size:           8
        .value_kind:     global_buffer
      - .offset:         48
        .size:           8
        .value_kind:     by_value
      - .offset:         56
        .size:           8
        .value_kind:     by_value
      - .address_space:  global
        .offset:         64
        .size:           8
        .value_kind:     global_buffer
      - .offset:         72
        .size:           8
        .value_kind:     by_value
      - .offset:         80
        .size:           8
        .value_kind:     by_value
      - .address_space:  global
        .offset:         88
        .size:           8
        .value_kind:     global_buffer
      - .offset:         96
        .size:           8
        .value_kind:     by_value
      - .offset:         104
        .size:           8
        .value_kind:     by_value
      - .offset:         112
        .size:           4
        .value_kind:     by_value
    .group_segment_fixed_size: 8192
    .kernarg_segment_align: 8
    .kernarg_segment_size: 116
    .language:       OpenCL C
    .language_version:
      - 2
      - 0
    .max_flat_workgroup_size: 256
    .name:           _ZL23rocblas_trmm_rNx_kernelILi16E19rocblas_complex_numIdES1_KPKS1_KPS1_Ev13rocblas_fill_17rocblas_diagonal_iiT1_lPT2_llSB_llPT3_lli
    .private_segment_fixed_size: 0
    .sgpr_count:     38
    .sgpr_spill_count: 0
    .symbol:         _ZL23rocblas_trmm_rNx_kernelILi16E19rocblas_complex_numIdES1_KPKS1_KPS1_Ev13rocblas_fill_17rocblas_diagonal_iiT1_lPT2_llSB_llPT3_lli.kd
    .uniform_work_group_size: 1
    .uses_dynamic_stack: false
    .vgpr_count:     45
    .vgpr_spill_count: 0
    .wavefront_size: 32
    .workgroup_processor_mode: 1
  - .args:
      - .offset:         0
        .size:           4
        .value_kind:     by_value
      - .offset:         4
        .size:           4
        .value_kind:     by_value
      - .offset:         8
        .size:           4
        .value_kind:     by_value
      - .offset:         12
        .size:           4
        .value_kind:     by_value
      - .address_space:  global
        .offset:         16
        .size:           8
        .value_kind:     global_buffer
      - .offset:         24
        .size:           8
        .value_kind:     by_value
      - .address_space:  global
        .offset:         32
        .size:           8
        .value_kind:     global_buffer
      - .offset:         40
        .size:           8
        .value_kind:     by_value
      - .offset:         48
        .size:           8
        .value_kind:     by_value
      - .address_space:  global
        .offset:         56
        .size:           8
        .value_kind:     global_buffer
      - .offset:         64
        .size:           8
        .value_kind:     by_value
      - .offset:         72
        .size:           8
        .value_kind:     by_value
      - .address_space:  global
        .offset:         80
        .size:           8
        .value_kind:     global_buffer
      - .offset:         88
        .size:           8
        .value_kind:     by_value
      - .offset:         96
        .size:           8
        .value_kind:     by_value
      - .offset:         104
        .size:           4
        .value_kind:     by_value
    .group_segment_fixed_size: 8192
    .kernarg_segment_align: 8
    .kernarg_segment_size: 108
    .language:       OpenCL C
    .language_version:
      - 2
      - 0
    .max_flat_workgroup_size: 256
    .name:           _ZL23rocblas_trmm_rTx_kernelILi16ELb0E19rocblas_complex_numIdEPKS1_KS3_KPS1_Ev13rocblas_fill_17rocblas_diagonal_iiT2_lPT3_llSB_llPT4_lli
    .private_segment_fixed_size: 0
    .sgpr_count:     40
    .sgpr_spill_count: 0
    .symbol:         _ZL23rocblas_trmm_rTx_kernelILi16ELb0E19rocblas_complex_numIdEPKS1_KS3_KPS1_Ev13rocblas_fill_17rocblas_diagonal_iiT2_lPT3_llSB_llPT4_lli.kd
    .uniform_work_group_size: 1
    .uses_dynamic_stack: false
    .vgpr_count:     46
    .vgpr_spill_count: 0
    .wavefront_size: 32
    .workgroup_processor_mode: 1
  - .args:
      - .offset:         0
        .size:           4
        .value_kind:     by_value
      - .offset:         4
        .size:           4
        .value_kind:     by_value
      - .offset:         8
        .size:           4
        .value_kind:     by_value
      - .offset:         12
        .size:           4
        .value_kind:     by_value
      - .offset:         16
        .size:           16
        .value_kind:     by_value
      - .offset:         32
        .size:           8
        .value_kind:     by_value
      - .address_space:  global
        .offset:         40
        .size:           8
        .value_kind:     global_buffer
      - .offset:         48
        .size:           8
        .value_kind:     by_value
      - .offset:         56
        .size:           8
        .value_kind:     by_value
      - .address_space:  global
        .offset:         64
        .size:           8
        .value_kind:     global_buffer
      - .offset:         72
        .size:           8
        .value_kind:     by_value
      - .offset:         80
        .size:           8
        .value_kind:     by_value
      - .address_space:  global
        .offset:         88
        .size:           8
        .value_kind:     global_buffer
      - .offset:         96
        .size:           8
        .value_kind:     by_value
      - .offset:         104
        .size:           8
        .value_kind:     by_value
      - .offset:         112
        .size:           4
        .value_kind:     by_value
    .group_segment_fixed_size: 8192
    .kernarg_segment_align: 8
    .kernarg_segment_size: 116
    .language:       OpenCL C
    .language_version:
      - 2
      - 0
    .max_flat_workgroup_size: 256
    .name:           _ZL23rocblas_trmm_rTx_kernelILi16ELb0E19rocblas_complex_numIdES1_KPKS1_KPS1_Ev13rocblas_fill_17rocblas_diagonal_iiT2_lPT3_llSB_llPT4_lli
    .private_segment_fixed_size: 0
    .sgpr_count:     38
    .sgpr_spill_count: 0
    .symbol:         _ZL23rocblas_trmm_rTx_kernelILi16ELb0E19rocblas_complex_numIdES1_KPKS1_KPS1_Ev13rocblas_fill_17rocblas_diagonal_iiT2_lPT3_llSB_llPT4_lli.kd
    .uniform_work_group_size: 1
    .uses_dynamic_stack: false
    .vgpr_count:     46
    .vgpr_spill_count: 0
    .wavefront_size: 32
    .workgroup_processor_mode: 1
  - .args:
      - .offset:         0
        .size:           4
        .value_kind:     by_value
      - .offset:         4
        .size:           4
        .value_kind:     by_value
      - .offset:         8
        .size:           4
        .value_kind:     by_value
      - .offset:         12
        .size:           4
        .value_kind:     by_value
      - .address_space:  global
        .offset:         16
        .size:           8
        .value_kind:     global_buffer
      - .offset:         24
        .size:           8
        .value_kind:     by_value
      - .address_space:  global
        .offset:         32
        .size:           8
        .value_kind:     global_buffer
      - .offset:         40
        .size:           8
        .value_kind:     by_value
      - .offset:         48
        .size:           8
        .value_kind:     by_value
      - .address_space:  global
        .offset:         56
        .size:           8
        .value_kind:     global_buffer
      - .offset:         64
        .size:           8
        .value_kind:     by_value
      - .offset:         72
        .size:           8
        .value_kind:     by_value
      - .address_space:  global
        .offset:         80
        .size:           8
        .value_kind:     global_buffer
      - .offset:         88
        .size:           8
        .value_kind:     by_value
      - .offset:         96
        .size:           8
        .value_kind:     by_value
      - .offset:         104
        .size:           4
        .value_kind:     by_value
    .group_segment_fixed_size: 8192
    .kernarg_segment_align: 8
    .kernarg_segment_size: 108
    .language:       OpenCL C
    .language_version:
      - 2
      - 0
    .max_flat_workgroup_size: 256
    .name:           _ZL23rocblas_trmm_rTx_kernelILi16ELb1E19rocblas_complex_numIdEPKS1_KS3_KPS1_Ev13rocblas_fill_17rocblas_diagonal_iiT2_lPT3_llSB_llPT4_lli
    .private_segment_fixed_size: 0
    .sgpr_count:     40
    .sgpr_spill_count: 0
    .symbol:         _ZL23rocblas_trmm_rTx_kernelILi16ELb1E19rocblas_complex_numIdEPKS1_KS3_KPS1_Ev13rocblas_fill_17rocblas_diagonal_iiT2_lPT3_llSB_llPT4_lli.kd
    .uniform_work_group_size: 1
    .uses_dynamic_stack: false
    .vgpr_count:     46
    .vgpr_spill_count: 0
    .wavefront_size: 32
    .workgroup_processor_mode: 1
  - .args:
      - .offset:         0
        .size:           4
        .value_kind:     by_value
      - .offset:         4
        .size:           4
        .value_kind:     by_value
      - .offset:         8
        .size:           4
        .value_kind:     by_value
      - .offset:         12
        .size:           4
        .value_kind:     by_value
      - .offset:         16
        .size:           16
        .value_kind:     by_value
      - .offset:         32
        .size:           8
        .value_kind:     by_value
      - .address_space:  global
        .offset:         40
        .size:           8
        .value_kind:     global_buffer
      - .offset:         48
        .size:           8
        .value_kind:     by_value
      - .offset:         56
        .size:           8
        .value_kind:     by_value
      - .address_space:  global
        .offset:         64
        .size:           8
        .value_kind:     global_buffer
      - .offset:         72
        .size:           8
        .value_kind:     by_value
      - .offset:         80
        .size:           8
        .value_kind:     by_value
      - .address_space:  global
        .offset:         88
        .size:           8
        .value_kind:     global_buffer
      - .offset:         96
        .size:           8
        .value_kind:     by_value
      - .offset:         104
        .size:           8
        .value_kind:     by_value
      - .offset:         112
        .size:           4
        .value_kind:     by_value
    .group_segment_fixed_size: 8192
    .kernarg_segment_align: 8
    .kernarg_segment_size: 116
    .language:       OpenCL C
    .language_version:
      - 2
      - 0
    .max_flat_workgroup_size: 256
    .name:           _ZL23rocblas_trmm_rTx_kernelILi16ELb1E19rocblas_complex_numIdES1_KPKS1_KPS1_Ev13rocblas_fill_17rocblas_diagonal_iiT2_lPT3_llSB_llPT4_lli
    .private_segment_fixed_size: 0
    .sgpr_count:     38
    .sgpr_spill_count: 0
    .symbol:         _ZL23rocblas_trmm_rTx_kernelILi16ELb1E19rocblas_complex_numIdES1_KPKS1_KPS1_Ev13rocblas_fill_17rocblas_diagonal_iiT2_lPT3_llSB_llPT4_lli.kd
    .uniform_work_group_size: 1
    .uses_dynamic_stack: false
    .vgpr_count:     46
    .vgpr_spill_count: 0
    .wavefront_size: 32
    .workgroup_processor_mode: 1
  - .args:
      - .offset:         0
        .size:           4
        .value_kind:     by_value
      - .offset:         4
        .size:           4
        .value_kind:     by_value
      - .address_space:  global
        .offset:         8
        .size:           8
        .value_kind:     global_buffer
      - .offset:         16
        .size:           8
        .value_kind:     by_value
      - .address_space:  global
        .offset:         24
        .size:           8
        .value_kind:     global_buffer
      - .offset:         32
        .size:           8
        .value_kind:     by_value
      - .offset:         40
        .size:           8
        .value_kind:     by_value
      - .offset:         48
        .size:           4
        .value_kind:     by_value
      - .offset:         56
        .size:           4
        .value_kind:     hidden_block_count_x
      - .offset:         60
        .size:           4
        .value_kind:     hidden_block_count_y
      - .offset:         64
        .size:           4
        .value_kind:     hidden_block_count_z
      - .offset:         68
        .size:           2
        .value_kind:     hidden_group_size_x
      - .offset:         70
        .size:           2
        .value_kind:     hidden_group_size_y
      - .offset:         72
        .size:           2
        .value_kind:     hidden_group_size_z
      - .offset:         74
        .size:           2
        .value_kind:     hidden_remainder_x
      - .offset:         76
        .size:           2
        .value_kind:     hidden_remainder_y
      - .offset:         78
        .size:           2
        .value_kind:     hidden_remainder_z
      - .offset:         96
        .size:           8
        .value_kind:     hidden_global_offset_x
      - .offset:         104
        .size:           8
        .value_kind:     hidden_global_offset_y
      - .offset:         112
        .size:           8
        .value_kind:     hidden_global_offset_z
      - .offset:         120
        .size:           2
        .value_kind:     hidden_grid_dims
    .group_segment_fixed_size: 0
    .kernarg_segment_align: 8
    .kernarg_segment_size: 312
    .language:       OpenCL C
    .language_version:
      - 2
      - 0
    .max_flat_workgroup_size: 256
    .name:           _ZL44rocblas_set_matrix_zero_if_alpha_zero_kernelILi16ELi16EPKfPKPfEviiT1_lT2_lli
    .private_segment_fixed_size: 0
    .sgpr_count:     22
    .sgpr_spill_count: 0
    .symbol:         _ZL44rocblas_set_matrix_zero_if_alpha_zero_kernelILi16ELi16EPKfPKPfEviiT1_lT2_lli.kd
    .uniform_work_group_size: 1
    .uses_dynamic_stack: false
    .vgpr_count:     8
    .vgpr_spill_count: 0
    .wavefront_size: 32
    .workgroup_processor_mode: 1
  - .args:
      - .offset:         0
        .size:           4
        .value_kind:     by_value
      - .offset:         4
        .size:           4
        .value_kind:     by_value
      - .offset:         8
        .size:           4
        .value_kind:     by_value
      - .offset:         16
        .size:           8
        .value_kind:     by_value
      - .address_space:  global
        .offset:         24
        .size:           8
        .value_kind:     global_buffer
      - .offset:         32
        .size:           8
        .value_kind:     by_value
      - .offset:         40
        .size:           8
        .value_kind:     by_value
      - .offset:         48
        .size:           4
        .value_kind:     by_value
      - .offset:         56
        .size:           4
        .value_kind:     hidden_block_count_x
      - .offset:         60
        .size:           4
        .value_kind:     hidden_block_count_y
      - .offset:         64
        .size:           4
        .value_kind:     hidden_block_count_z
      - .offset:         68
        .size:           2
        .value_kind:     hidden_group_size_x
      - .offset:         70
        .size:           2
        .value_kind:     hidden_group_size_y
      - .offset:         72
        .size:           2
        .value_kind:     hidden_group_size_z
      - .offset:         74
        .size:           2
        .value_kind:     hidden_remainder_x
      - .offset:         76
        .size:           2
        .value_kind:     hidden_remainder_y
      - .offset:         78
        .size:           2
        .value_kind:     hidden_remainder_z
      - .offset:         96
        .size:           8
        .value_kind:     hidden_global_offset_x
      - .offset:         104
        .size:           8
        .value_kind:     hidden_global_offset_y
      - .offset:         112
        .size:           8
        .value_kind:     hidden_global_offset_z
      - .offset:         120
        .size:           2
        .value_kind:     hidden_grid_dims
    .group_segment_fixed_size: 0
    .kernarg_segment_align: 8
    .kernarg_segment_size: 312
    .language:       OpenCL C
    .language_version:
      - 2
      - 0
    .max_flat_workgroup_size: 256
    .name:           _ZL44rocblas_set_matrix_zero_if_alpha_zero_kernelILi16ELi16EfPKPfEviiT1_lT2_lli
    .private_segment_fixed_size: 0
    .sgpr_count:     15
    .sgpr_spill_count: 0
    .symbol:         _ZL44rocblas_set_matrix_zero_if_alpha_zero_kernelILi16ELi16EfPKPfEviiT1_lT2_lli.kd
    .uniform_work_group_size: 1
    .uses_dynamic_stack: false
    .vgpr_count:     8
    .vgpr_spill_count: 0
    .wavefront_size: 32
    .workgroup_processor_mode: 1
  - .args:
      - .offset:         0
        .size:           4
        .value_kind:     by_value
      - .offset:         4
        .size:           4
        .value_kind:     by_value
      - .address_space:  global
        .offset:         8
        .size:           8
        .value_kind:     global_buffer
      - .offset:         16
        .size:           8
        .value_kind:     by_value
      - .address_space:  global
        .offset:         24
        .size:           8
        .value_kind:     global_buffer
      - .offset:         32
        .size:           8
        .value_kind:     by_value
      - .offset:         40
        .size:           8
        .value_kind:     by_value
      - .offset:         48
        .size:           4
        .value_kind:     by_value
      - .offset:         56
        .size:           4
        .value_kind:     hidden_block_count_x
      - .offset:         60
        .size:           4
        .value_kind:     hidden_block_count_y
      - .offset:         64
        .size:           4
        .value_kind:     hidden_block_count_z
      - .offset:         68
        .size:           2
        .value_kind:     hidden_group_size_x
      - .offset:         70
        .size:           2
        .value_kind:     hidden_group_size_y
      - .offset:         72
        .size:           2
        .value_kind:     hidden_group_size_z
      - .offset:         74
        .size:           2
        .value_kind:     hidden_remainder_x
      - .offset:         76
        .size:           2
        .value_kind:     hidden_remainder_y
      - .offset:         78
        .size:           2
        .value_kind:     hidden_remainder_z
      - .offset:         96
        .size:           8
        .value_kind:     hidden_global_offset_x
      - .offset:         104
        .size:           8
        .value_kind:     hidden_global_offset_y
      - .offset:         112
        .size:           8
        .value_kind:     hidden_global_offset_z
      - .offset:         120
        .size:           2
        .value_kind:     hidden_grid_dims
    .group_segment_fixed_size: 0
    .kernarg_segment_align: 8
    .kernarg_segment_size: 312
    .language:       OpenCL C
    .language_version:
      - 2
      - 0
    .max_flat_workgroup_size: 256
    .name:           _ZL44rocblas_set_matrix_zero_if_alpha_zero_kernelILi16ELi16EPKfPfEviiT1_lT2_lli
    .private_segment_fixed_size: 0
    .sgpr_count:     22
    .sgpr_spill_count: 0
    .symbol:         _ZL44rocblas_set_matrix_zero_if_alpha_zero_kernelILi16ELi16EPKfPfEviiT1_lT2_lli.kd
    .uniform_work_group_size: 1
    .uses_dynamic_stack: false
    .vgpr_count:     8
    .vgpr_spill_count: 0
    .wavefront_size: 32
    .workgroup_processor_mode: 1
  - .args:
      - .offset:         0
        .size:           4
        .value_kind:     by_value
      - .offset:         4
        .size:           4
        .value_kind:     by_value
      - .offset:         8
        .size:           4
        .value_kind:     by_value
      - .offset:         16
        .size:           8
        .value_kind:     by_value
      - .address_space:  global
        .offset:         24
        .size:           8
        .value_kind:     global_buffer
      - .offset:         32
        .size:           8
        .value_kind:     by_value
      - .offset:         40
        .size:           8
        .value_kind:     by_value
      - .offset:         48
        .size:           4
        .value_kind:     by_value
      - .offset:         56
        .size:           4
        .value_kind:     hidden_block_count_x
      - .offset:         60
        .size:           4
        .value_kind:     hidden_block_count_y
      - .offset:         64
        .size:           4
        .value_kind:     hidden_block_count_z
      - .offset:         68
        .size:           2
        .value_kind:     hidden_group_size_x
      - .offset:         70
        .size:           2
        .value_kind:     hidden_group_size_y
      - .offset:         72
        .size:           2
        .value_kind:     hidden_group_size_z
      - .offset:         74
        .size:           2
        .value_kind:     hidden_remainder_x
      - .offset:         76
        .size:           2
        .value_kind:     hidden_remainder_y
      - .offset:         78
        .size:           2
        .value_kind:     hidden_remainder_z
      - .offset:         96
        .size:           8
        .value_kind:     hidden_global_offset_x
      - .offset:         104
        .size:           8
        .value_kind:     hidden_global_offset_y
      - .offset:         112
        .size:           8
        .value_kind:     hidden_global_offset_z
      - .offset:         120
        .size:           2
        .value_kind:     hidden_grid_dims
    .group_segment_fixed_size: 0
    .kernarg_segment_align: 8
    .kernarg_segment_size: 312
    .language:       OpenCL C
    .language_version:
      - 2
      - 0
    .max_flat_workgroup_size: 256
    .name:           _ZL44rocblas_set_matrix_zero_if_alpha_zero_kernelILi16ELi16EfPfEviiT1_lT2_lli
    .private_segment_fixed_size: 0
    .sgpr_count:     18
    .sgpr_spill_count: 0
    .symbol:         _ZL44rocblas_set_matrix_zero_if_alpha_zero_kernelILi16ELi16EfPfEviiT1_lT2_lli.kd
    .uniform_work_group_size: 1
    .uses_dynamic_stack: false
    .vgpr_count:     8
    .vgpr_spill_count: 0
    .wavefront_size: 32
    .workgroup_processor_mode: 1
  - .args:
      - .offset:         0
        .size:           4
        .value_kind:     by_value
      - .offset:         4
        .size:           4
        .value_kind:     by_value
      - .address_space:  global
        .offset:         8
        .size:           8
        .value_kind:     global_buffer
      - .offset:         16
        .size:           8
        .value_kind:     by_value
      - .address_space:  global
        .offset:         24
        .size:           8
        .value_kind:     global_buffer
      - .offset:         32
        .size:           8
        .value_kind:     by_value
      - .offset:         40
        .size:           8
        .value_kind:     by_value
      - .offset:         48
        .size:           4
        .value_kind:     by_value
      - .offset:         56
        .size:           4
        .value_kind:     hidden_block_count_x
      - .offset:         60
        .size:           4
        .value_kind:     hidden_block_count_y
      - .offset:         64
        .size:           4
        .value_kind:     hidden_block_count_z
      - .offset:         68
        .size:           2
        .value_kind:     hidden_group_size_x
      - .offset:         70
        .size:           2
        .value_kind:     hidden_group_size_y
      - .offset:         72
        .size:           2
        .value_kind:     hidden_group_size_z
      - .offset:         74
        .size:           2
        .value_kind:     hidden_remainder_x
      - .offset:         76
        .size:           2
        .value_kind:     hidden_remainder_y
      - .offset:         78
        .size:           2
        .value_kind:     hidden_remainder_z
      - .offset:         96
        .size:           8
        .value_kind:     hidden_global_offset_x
      - .offset:         104
        .size:           8
        .value_kind:     hidden_global_offset_y
      - .offset:         112
        .size:           8
        .value_kind:     hidden_global_offset_z
      - .offset:         120
        .size:           2
        .value_kind:     hidden_grid_dims
    .group_segment_fixed_size: 0
    .kernarg_segment_align: 8
    .kernarg_segment_size: 312
    .language:       OpenCL C
    .language_version:
      - 2
      - 0
    .max_flat_workgroup_size: 256
    .name:           _ZL44rocblas_set_matrix_zero_if_alpha_zero_kernelILi16ELi16EPKdPdEviiT1_lT2_lli
    .private_segment_fixed_size: 0
    .sgpr_count:     22
    .sgpr_spill_count: 0
    .symbol:         _ZL44rocblas_set_matrix_zero_if_alpha_zero_kernelILi16ELi16EPKdPdEviiT1_lT2_lli.kd
    .uniform_work_group_size: 1
    .uses_dynamic_stack: false
    .vgpr_count:     8
    .vgpr_spill_count: 0
    .wavefront_size: 32
    .workgroup_processor_mode: 1
  - .args:
      - .offset:         0
        .size:           4
        .value_kind:     by_value
      - .offset:         4
        .size:           4
        .value_kind:     by_value
      - .offset:         8
        .size:           8
        .value_kind:     by_value
      - .offset:         16
        .size:           8
        .value_kind:     by_value
      - .address_space:  global
        .offset:         24
        .size:           8
        .value_kind:     global_buffer
      - .offset:         32
        .size:           8
        .value_kind:     by_value
      - .offset:         40
        .size:           8
        .value_kind:     by_value
      - .offset:         48
        .size:           4
        .value_kind:     by_value
      - .offset:         56
        .size:           4
        .value_kind:     hidden_block_count_x
      - .offset:         60
        .size:           4
        .value_kind:     hidden_block_count_y
      - .offset:         64
        .size:           4
        .value_kind:     hidden_block_count_z
      - .offset:         68
        .size:           2
        .value_kind:     hidden_group_size_x
      - .offset:         70
        .size:           2
        .value_kind:     hidden_group_size_y
      - .offset:         72
        .size:           2
        .value_kind:     hidden_group_size_z
      - .offset:         74
        .size:           2
        .value_kind:     hidden_remainder_x
      - .offset:         76
        .size:           2
        .value_kind:     hidden_remainder_y
      - .offset:         78
        .size:           2
        .value_kind:     hidden_remainder_z
      - .offset:         96
        .size:           8
        .value_kind:     hidden_global_offset_x
      - .offset:         104
        .size:           8
        .value_kind:     hidden_global_offset_y
      - .offset:         112
        .size:           8
        .value_kind:     hidden_global_offset_z
      - .offset:         120
        .size:           2
        .value_kind:     hidden_grid_dims
    .group_segment_fixed_size: 0
    .kernarg_segment_align: 8
    .kernarg_segment_size: 312
    .language:       OpenCL C
    .language_version:
      - 2
      - 0
    .max_flat_workgroup_size: 256
    .name:           _ZL44rocblas_set_matrix_zero_if_alpha_zero_kernelILi16ELi16EdPdEviiT1_lT2_lli
    .private_segment_fixed_size: 0
    .sgpr_count:     14
    .sgpr_spill_count: 0
    .symbol:         _ZL44rocblas_set_matrix_zero_if_alpha_zero_kernelILi16ELi16EdPdEviiT1_lT2_lli.kd
    .uniform_work_group_size: 1
    .uses_dynamic_stack: false
    .vgpr_count:     8
    .vgpr_spill_count: 0
    .wavefront_size: 32
    .workgroup_processor_mode: 1
  - .args:
      - .offset:         0
        .size:           4
        .value_kind:     by_value
      - .offset:         4
        .size:           4
        .value_kind:     by_value
      - .address_space:  global
        .offset:         8
        .size:           8
        .value_kind:     global_buffer
      - .offset:         16
        .size:           8
        .value_kind:     by_value
      - .address_space:  global
        .offset:         24
        .size:           8
        .value_kind:     global_buffer
      - .offset:         32
        .size:           8
        .value_kind:     by_value
      - .offset:         40
        .size:           8
        .value_kind:     by_value
      - .offset:         48
        .size:           4
        .value_kind:     by_value
      - .offset:         56
        .size:           4
        .value_kind:     hidden_block_count_x
      - .offset:         60
        .size:           4
        .value_kind:     hidden_block_count_y
      - .offset:         64
        .size:           4
        .value_kind:     hidden_block_count_z
      - .offset:         68
        .size:           2
        .value_kind:     hidden_group_size_x
      - .offset:         70
        .size:           2
        .value_kind:     hidden_group_size_y
      - .offset:         72
        .size:           2
        .value_kind:     hidden_group_size_z
      - .offset:         74
        .size:           2
        .value_kind:     hidden_remainder_x
      - .offset:         76
        .size:           2
        .value_kind:     hidden_remainder_y
      - .offset:         78
        .size:           2
        .value_kind:     hidden_remainder_z
      - .offset:         96
        .size:           8
        .value_kind:     hidden_global_offset_x
      - .offset:         104
        .size:           8
        .value_kind:     hidden_global_offset_y
      - .offset:         112
        .size:           8
        .value_kind:     hidden_global_offset_z
      - .offset:         120
        .size:           2
        .value_kind:     hidden_grid_dims
    .group_segment_fixed_size: 0
    .kernarg_segment_align: 8
    .kernarg_segment_size: 312
    .language:       OpenCL C
    .language_version:
      - 2
      - 0
    .max_flat_workgroup_size: 256
    .name:           _ZL44rocblas_set_matrix_zero_if_alpha_zero_kernelILi16ELi16EPKdPKPdEviiT1_lT2_lli
    .private_segment_fixed_size: 0
    .sgpr_count:     22
    .sgpr_spill_count: 0
    .symbol:         _ZL44rocblas_set_matrix_zero_if_alpha_zero_kernelILi16ELi16EPKdPKPdEviiT1_lT2_lli.kd
    .uniform_work_group_size: 1
    .uses_dynamic_stack: false
    .vgpr_count:     8
    .vgpr_spill_count: 0
    .wavefront_size: 32
    .workgroup_processor_mode: 1
  - .args:
      - .offset:         0
        .size:           4
        .value_kind:     by_value
      - .offset:         4
        .size:           4
        .value_kind:     by_value
      - .offset:         8
        .size:           8
        .value_kind:     by_value
      - .offset:         16
        .size:           8
        .value_kind:     by_value
      - .address_space:  global
        .offset:         24
        .size:           8
        .value_kind:     global_buffer
      - .offset:         32
        .size:           8
        .value_kind:     by_value
      - .offset:         40
        .size:           8
        .value_kind:     by_value
      - .offset:         48
        .size:           4
        .value_kind:     by_value
      - .offset:         56
        .size:           4
        .value_kind:     hidden_block_count_x
      - .offset:         60
        .size:           4
        .value_kind:     hidden_block_count_y
      - .offset:         64
        .size:           4
        .value_kind:     hidden_block_count_z
      - .offset:         68
        .size:           2
        .value_kind:     hidden_group_size_x
      - .offset:         70
        .size:           2
        .value_kind:     hidden_group_size_y
      - .offset:         72
        .size:           2
        .value_kind:     hidden_group_size_z
      - .offset:         74
        .size:           2
        .value_kind:     hidden_remainder_x
      - .offset:         76
        .size:           2
        .value_kind:     hidden_remainder_y
      - .offset:         78
        .size:           2
        .value_kind:     hidden_remainder_z
      - .offset:         96
        .size:           8
        .value_kind:     hidden_global_offset_x
      - .offset:         104
        .size:           8
        .value_kind:     hidden_global_offset_y
      - .offset:         112
        .size:           8
        .value_kind:     hidden_global_offset_z
      - .offset:         120
        .size:           2
        .value_kind:     hidden_grid_dims
    .group_segment_fixed_size: 0
    .kernarg_segment_align: 8
    .kernarg_segment_size: 312
    .language:       OpenCL C
    .language_version:
      - 2
      - 0
    .max_flat_workgroup_size: 256
    .name:           _ZL44rocblas_set_matrix_zero_if_alpha_zero_kernelILi16ELi16EdPKPdEviiT1_lT2_lli
    .private_segment_fixed_size: 0
    .sgpr_count:     15
    .sgpr_spill_count: 0
    .symbol:         _ZL44rocblas_set_matrix_zero_if_alpha_zero_kernelILi16ELi16EdPKPdEviiT1_lT2_lli.kd
    .uniform_work_group_size: 1
    .uses_dynamic_stack: false
    .vgpr_count:     8
    .vgpr_spill_count: 0
    .wavefront_size: 32
    .workgroup_processor_mode: 1
  - .args:
      - .offset:         0
        .size:           4
        .value_kind:     by_value
      - .offset:         4
        .size:           4
        .value_kind:     by_value
      - .address_space:  global
        .offset:         8
        .size:           8
        .value_kind:     global_buffer
      - .offset:         16
        .size:           8
        .value_kind:     by_value
      - .address_space:  global
        .offset:         24
        .size:           8
        .value_kind:     global_buffer
      - .offset:         32
        .size:           8
        .value_kind:     by_value
      - .offset:         40
        .size:           8
        .value_kind:     by_value
      - .offset:         48
        .size:           4
        .value_kind:     by_value
      - .offset:         56
        .size:           4
        .value_kind:     hidden_block_count_x
      - .offset:         60
        .size:           4
        .value_kind:     hidden_block_count_y
      - .offset:         64
        .size:           4
        .value_kind:     hidden_block_count_z
      - .offset:         68
        .size:           2
        .value_kind:     hidden_group_size_x
      - .offset:         70
        .size:           2
        .value_kind:     hidden_group_size_y
      - .offset:         72
        .size:           2
        .value_kind:     hidden_group_size_z
      - .offset:         74
        .size:           2
        .value_kind:     hidden_remainder_x
      - .offset:         76
        .size:           2
        .value_kind:     hidden_remainder_y
      - .offset:         78
        .size:           2
        .value_kind:     hidden_remainder_z
      - .offset:         96
        .size:           8
        .value_kind:     hidden_global_offset_x
      - .offset:         104
        .size:           8
        .value_kind:     hidden_global_offset_y
      - .offset:         112
        .size:           8
        .value_kind:     hidden_global_offset_z
      - .offset:         120
        .size:           2
        .value_kind:     hidden_grid_dims
    .group_segment_fixed_size: 0
    .kernarg_segment_align: 8
    .kernarg_segment_size: 312
    .language:       OpenCL C
    .language_version:
      - 2
      - 0
    .max_flat_workgroup_size: 256
    .name:           _ZL44rocblas_set_matrix_zero_if_alpha_zero_kernelILi16ELi16EPK19rocblas_complex_numIfEPKPS1_EviiT1_lT2_lli
    .private_segment_fixed_size: 0
    .sgpr_count:     22
    .sgpr_spill_count: 0
    .symbol:         _ZL44rocblas_set_matrix_zero_if_alpha_zero_kernelILi16ELi16EPK19rocblas_complex_numIfEPKPS1_EviiT1_lT2_lli.kd
    .uniform_work_group_size: 1
    .uses_dynamic_stack: false
    .vgpr_count:     8
    .vgpr_spill_count: 0
    .wavefront_size: 32
    .workgroup_processor_mode: 1
  - .args:
      - .offset:         0
        .size:           4
        .value_kind:     by_value
      - .offset:         4
        .size:           4
        .value_kind:     by_value
      - .offset:         8
        .size:           8
        .value_kind:     by_value
      - .offset:         16
        .size:           8
        .value_kind:     by_value
      - .address_space:  global
        .offset:         24
        .size:           8
        .value_kind:     global_buffer
      - .offset:         32
        .size:           8
        .value_kind:     by_value
      - .offset:         40
        .size:           8
        .value_kind:     by_value
      - .offset:         48
        .size:           4
        .value_kind:     by_value
      - .offset:         56
        .size:           4
        .value_kind:     hidden_block_count_x
      - .offset:         60
        .size:           4
        .value_kind:     hidden_block_count_y
      - .offset:         64
        .size:           4
        .value_kind:     hidden_block_count_z
      - .offset:         68
        .size:           2
        .value_kind:     hidden_group_size_x
      - .offset:         70
        .size:           2
        .value_kind:     hidden_group_size_y
      - .offset:         72
        .size:           2
        .value_kind:     hidden_group_size_z
      - .offset:         74
        .size:           2
        .value_kind:     hidden_remainder_x
      - .offset:         76
        .size:           2
        .value_kind:     hidden_remainder_y
      - .offset:         78
        .size:           2
        .value_kind:     hidden_remainder_z
      - .offset:         96
        .size:           8
        .value_kind:     hidden_global_offset_x
      - .offset:         104
        .size:           8
        .value_kind:     hidden_global_offset_y
      - .offset:         112
        .size:           8
        .value_kind:     hidden_global_offset_z
      - .offset:         120
        .size:           2
        .value_kind:     hidden_grid_dims
    .group_segment_fixed_size: 0
    .kernarg_segment_align: 8
    .kernarg_segment_size: 312
    .language:       OpenCL C
    .language_version:
      - 2
      - 0
    .max_flat_workgroup_size: 256
    .name:           _ZL44rocblas_set_matrix_zero_if_alpha_zero_kernelILi16ELi16E19rocblas_complex_numIfEPKPS1_EviiT1_lT2_lli
    .private_segment_fixed_size: 0
    .sgpr_count:     15
    .sgpr_spill_count: 0
    .symbol:         _ZL44rocblas_set_matrix_zero_if_alpha_zero_kernelILi16ELi16E19rocblas_complex_numIfEPKPS1_EviiT1_lT2_lli.kd
    .uniform_work_group_size: 1
    .uses_dynamic_stack: false
    .vgpr_count:     8
    .vgpr_spill_count: 0
    .wavefront_size: 32
    .workgroup_processor_mode: 1
  - .args:
      - .offset:         0
        .size:           4
        .value_kind:     by_value
      - .offset:         4
        .size:           4
        .value_kind:     by_value
      - .address_space:  global
        .offset:         8
        .size:           8
        .value_kind:     global_buffer
      - .offset:         16
        .size:           8
        .value_kind:     by_value
      - .address_space:  global
        .offset:         24
        .size:           8
        .value_kind:     global_buffer
      - .offset:         32
        .size:           8
        .value_kind:     by_value
      - .offset:         40
        .size:           8
        .value_kind:     by_value
      - .offset:         48
        .size:           4
        .value_kind:     by_value
      - .offset:         56
        .size:           4
        .value_kind:     hidden_block_count_x
      - .offset:         60
        .size:           4
        .value_kind:     hidden_block_count_y
      - .offset:         64
        .size:           4
        .value_kind:     hidden_block_count_z
      - .offset:         68
        .size:           2
        .value_kind:     hidden_group_size_x
      - .offset:         70
        .size:           2
        .value_kind:     hidden_group_size_y
      - .offset:         72
        .size:           2
        .value_kind:     hidden_group_size_z
      - .offset:         74
        .size:           2
        .value_kind:     hidden_remainder_x
      - .offset:         76
        .size:           2
        .value_kind:     hidden_remainder_y
      - .offset:         78
        .size:           2
        .value_kind:     hidden_remainder_z
      - .offset:         96
        .size:           8
        .value_kind:     hidden_global_offset_x
      - .offset:         104
        .size:           8
        .value_kind:     hidden_global_offset_y
      - .offset:         112
        .size:           8
        .value_kind:     hidden_global_offset_z
      - .offset:         120
        .size:           2
        .value_kind:     hidden_grid_dims
    .group_segment_fixed_size: 0
    .kernarg_segment_align: 8
    .kernarg_segment_size: 312
    .language:       OpenCL C
    .language_version:
      - 2
      - 0
    .max_flat_workgroup_size: 256
    .name:           _ZL44rocblas_set_matrix_zero_if_alpha_zero_kernelILi16ELi16EPK19rocblas_complex_numIfEPS1_EviiT1_lT2_lli
    .private_segment_fixed_size: 0
    .sgpr_count:     22
    .sgpr_spill_count: 0
    .symbol:         _ZL44rocblas_set_matrix_zero_if_alpha_zero_kernelILi16ELi16EPK19rocblas_complex_numIfEPS1_EviiT1_lT2_lli.kd
    .uniform_work_group_size: 1
    .uses_dynamic_stack: false
    .vgpr_count:     8
    .vgpr_spill_count: 0
    .wavefront_size: 32
    .workgroup_processor_mode: 1
  - .args:
      - .offset:         0
        .size:           4
        .value_kind:     by_value
      - .offset:         4
        .size:           4
        .value_kind:     by_value
      - .offset:         8
        .size:           8
        .value_kind:     by_value
      - .offset:         16
        .size:           8
        .value_kind:     by_value
      - .address_space:  global
        .offset:         24
        .size:           8
        .value_kind:     global_buffer
      - .offset:         32
        .size:           8
        .value_kind:     by_value
      - .offset:         40
        .size:           8
        .value_kind:     by_value
      - .offset:         48
        .size:           4
        .value_kind:     by_value
      - .offset:         56
        .size:           4
        .value_kind:     hidden_block_count_x
      - .offset:         60
        .size:           4
        .value_kind:     hidden_block_count_y
      - .offset:         64
        .size:           4
        .value_kind:     hidden_block_count_z
      - .offset:         68
        .size:           2
        .value_kind:     hidden_group_size_x
      - .offset:         70
        .size:           2
        .value_kind:     hidden_group_size_y
      - .offset:         72
        .size:           2
        .value_kind:     hidden_group_size_z
      - .offset:         74
        .size:           2
        .value_kind:     hidden_remainder_x
      - .offset:         76
        .size:           2
        .value_kind:     hidden_remainder_y
      - .offset:         78
        .size:           2
        .value_kind:     hidden_remainder_z
      - .offset:         96
        .size:           8
        .value_kind:     hidden_global_offset_x
      - .offset:         104
        .size:           8
        .value_kind:     hidden_global_offset_y
      - .offset:         112
        .size:           8
        .value_kind:     hidden_global_offset_z
      - .offset:         120
        .size:           2
        .value_kind:     hidden_grid_dims
    .group_segment_fixed_size: 0
    .kernarg_segment_align: 8
    .kernarg_segment_size: 312
    .language:       OpenCL C
    .language_version:
      - 2
      - 0
    .max_flat_workgroup_size: 256
    .name:           _ZL44rocblas_set_matrix_zero_if_alpha_zero_kernelILi16ELi16E19rocblas_complex_numIfEPS1_EviiT1_lT2_lli
    .private_segment_fixed_size: 0
    .sgpr_count:     14
    .sgpr_spill_count: 0
    .symbol:         _ZL44rocblas_set_matrix_zero_if_alpha_zero_kernelILi16ELi16E19rocblas_complex_numIfEPS1_EviiT1_lT2_lli.kd
    .uniform_work_group_size: 1
    .uses_dynamic_stack: false
    .vgpr_count:     8
    .vgpr_spill_count: 0
    .wavefront_size: 32
    .workgroup_processor_mode: 1
  - .args:
      - .offset:         0
        .size:           4
        .value_kind:     by_value
      - .offset:         4
        .size:           4
        .value_kind:     by_value
      - .address_space:  global
        .offset:         8
        .size:           8
        .value_kind:     global_buffer
      - .offset:         16
        .size:           8
        .value_kind:     by_value
      - .address_space:  global
        .offset:         24
        .size:           8
        .value_kind:     global_buffer
      - .offset:         32
        .size:           8
        .value_kind:     by_value
      - .offset:         40
        .size:           8
        .value_kind:     by_value
      - .offset:         48
        .size:           4
        .value_kind:     by_value
      - .offset:         56
        .size:           4
        .value_kind:     hidden_block_count_x
      - .offset:         60
        .size:           4
        .value_kind:     hidden_block_count_y
      - .offset:         64
        .size:           4
        .value_kind:     hidden_block_count_z
      - .offset:         68
        .size:           2
        .value_kind:     hidden_group_size_x
      - .offset:         70
        .size:           2
        .value_kind:     hidden_group_size_y
      - .offset:         72
        .size:           2
        .value_kind:     hidden_group_size_z
      - .offset:         74
        .size:           2
        .value_kind:     hidden_remainder_x
      - .offset:         76
        .size:           2
        .value_kind:     hidden_remainder_y
      - .offset:         78
        .size:           2
        .value_kind:     hidden_remainder_z
      - .offset:         96
        .size:           8
        .value_kind:     hidden_global_offset_x
      - .offset:         104
        .size:           8
        .value_kind:     hidden_global_offset_y
      - .offset:         112
        .size:           8
        .value_kind:     hidden_global_offset_z
      - .offset:         120
        .size:           2
        .value_kind:     hidden_grid_dims
    .group_segment_fixed_size: 0
    .kernarg_segment_align: 8
    .kernarg_segment_size: 312
    .language:       OpenCL C
    .language_version:
      - 2
      - 0
    .max_flat_workgroup_size: 256
    .name:           _ZL44rocblas_set_matrix_zero_if_alpha_zero_kernelILi16ELi16EPK19rocblas_complex_numIdEPKPS1_EviiT1_lT2_lli
    .private_segment_fixed_size: 0
    .sgpr_count:     22
    .sgpr_spill_count: 0
    .symbol:         _ZL44rocblas_set_matrix_zero_if_alpha_zero_kernelILi16ELi16EPK19rocblas_complex_numIdEPKPS1_EviiT1_lT2_lli.kd
    .uniform_work_group_size: 1
    .uses_dynamic_stack: false
    .vgpr_count:     10
    .vgpr_spill_count: 0
    .wavefront_size: 32
    .workgroup_processor_mode: 1
  - .args:
      - .offset:         0
        .size:           4
        .value_kind:     by_value
      - .offset:         4
        .size:           4
        .value_kind:     by_value
      - .offset:         8
        .size:           16
        .value_kind:     by_value
      - .offset:         24
        .size:           8
        .value_kind:     by_value
      - .address_space:  global
        .offset:         32
        .size:           8
        .value_kind:     global_buffer
      - .offset:         40
        .size:           8
        .value_kind:     by_value
      - .offset:         48
        .size:           8
        .value_kind:     by_value
      - .offset:         56
        .size:           4
        .value_kind:     by_value
      - .offset:         64
        .size:           4
        .value_kind:     hidden_block_count_x
      - .offset:         68
        .size:           4
        .value_kind:     hidden_block_count_y
      - .offset:         72
        .size:           4
        .value_kind:     hidden_block_count_z
      - .offset:         76
        .size:           2
        .value_kind:     hidden_group_size_x
      - .offset:         78
        .size:           2
        .value_kind:     hidden_group_size_y
      - .offset:         80
        .size:           2
        .value_kind:     hidden_group_size_z
      - .offset:         82
        .size:           2
        .value_kind:     hidden_remainder_x
      - .offset:         84
        .size:           2
        .value_kind:     hidden_remainder_y
      - .offset:         86
        .size:           2
        .value_kind:     hidden_remainder_z
      - .offset:         104
        .size:           8
        .value_kind:     hidden_global_offset_x
      - .offset:         112
        .size:           8
        .value_kind:     hidden_global_offset_y
      - .offset:         120
        .size:           8
        .value_kind:     hidden_global_offset_z
      - .offset:         128
        .size:           2
        .value_kind:     hidden_grid_dims
    .group_segment_fixed_size: 0
    .kernarg_segment_align: 8
    .kernarg_segment_size: 320
    .language:       OpenCL C
    .language_version:
      - 2
      - 0
    .max_flat_workgroup_size: 256
    .name:           _ZL44rocblas_set_matrix_zero_if_alpha_zero_kernelILi16ELi16E19rocblas_complex_numIdEPKPS1_EviiT1_lT2_lli
    .private_segment_fixed_size: 0
    .sgpr_count:     15
    .sgpr_spill_count: 0
    .symbol:         _ZL44rocblas_set_matrix_zero_if_alpha_zero_kernelILi16ELi16E19rocblas_complex_numIdEPKPS1_EviiT1_lT2_lli.kd
    .uniform_work_group_size: 1
    .uses_dynamic_stack: false
    .vgpr_count:     10
    .vgpr_spill_count: 0
    .wavefront_size: 32
    .workgroup_processor_mode: 1
  - .args:
      - .offset:         0
        .size:           4
        .value_kind:     by_value
      - .offset:         4
        .size:           4
        .value_kind:     by_value
      - .address_space:  global
        .offset:         8
        .size:           8
        .value_kind:     global_buffer
      - .offset:         16
        .size:           8
        .value_kind:     by_value
      - .address_space:  global
        .offset:         24
        .size:           8
        .value_kind:     global_buffer
      - .offset:         32
        .size:           8
        .value_kind:     by_value
      - .offset:         40
        .size:           8
        .value_kind:     by_value
      - .offset:         48
        .size:           4
        .value_kind:     by_value
      - .offset:         56
        .size:           4
        .value_kind:     hidden_block_count_x
      - .offset:         60
        .size:           4
        .value_kind:     hidden_block_count_y
      - .offset:         64
        .size:           4
        .value_kind:     hidden_block_count_z
      - .offset:         68
        .size:           2
        .value_kind:     hidden_group_size_x
      - .offset:         70
        .size:           2
        .value_kind:     hidden_group_size_y
      - .offset:         72
        .size:           2
        .value_kind:     hidden_group_size_z
      - .offset:         74
        .size:           2
        .value_kind:     hidden_remainder_x
      - .offset:         76
        .size:           2
        .value_kind:     hidden_remainder_y
      - .offset:         78
        .size:           2
        .value_kind:     hidden_remainder_z
      - .offset:         96
        .size:           8
        .value_kind:     hidden_global_offset_x
      - .offset:         104
        .size:           8
        .value_kind:     hidden_global_offset_y
      - .offset:         112
        .size:           8
        .value_kind:     hidden_global_offset_z
      - .offset:         120
        .size:           2
        .value_kind:     hidden_grid_dims
    .group_segment_fixed_size: 0
    .kernarg_segment_align: 8
    .kernarg_segment_size: 312
    .language:       OpenCL C
    .language_version:
      - 2
      - 0
    .max_flat_workgroup_size: 256
    .name:           _ZL44rocblas_set_matrix_zero_if_alpha_zero_kernelILi16ELi16EPK19rocblas_complex_numIdEPS1_EviiT1_lT2_lli
    .private_segment_fixed_size: 0
    .sgpr_count:     22
    .sgpr_spill_count: 0
    .symbol:         _ZL44rocblas_set_matrix_zero_if_alpha_zero_kernelILi16ELi16EPK19rocblas_complex_numIdEPS1_EviiT1_lT2_lli.kd
    .uniform_work_group_size: 1
    .uses_dynamic_stack: false
    .vgpr_count:     9
    .vgpr_spill_count: 0
    .wavefront_size: 32
    .workgroup_processor_mode: 1
  - .args:
      - .offset:         0
        .size:           4
        .value_kind:     by_value
      - .offset:         4
        .size:           4
        .value_kind:     by_value
      - .offset:         8
        .size:           16
        .value_kind:     by_value
      - .offset:         24
        .size:           8
        .value_kind:     by_value
      - .address_space:  global
        .offset:         32
        .size:           8
        .value_kind:     global_buffer
      - .offset:         40
        .size:           8
        .value_kind:     by_value
      - .offset:         48
        .size:           8
        .value_kind:     by_value
      - .offset:         56
        .size:           4
        .value_kind:     by_value
      - .offset:         64
        .size:           4
        .value_kind:     hidden_block_count_x
      - .offset:         68
        .size:           4
        .value_kind:     hidden_block_count_y
      - .offset:         72
        .size:           4
        .value_kind:     hidden_block_count_z
      - .offset:         76
        .size:           2
        .value_kind:     hidden_group_size_x
      - .offset:         78
        .size:           2
        .value_kind:     hidden_group_size_y
      - .offset:         80
        .size:           2
        .value_kind:     hidden_group_size_z
      - .offset:         82
        .size:           2
        .value_kind:     hidden_remainder_x
      - .offset:         84
        .size:           2
        .value_kind:     hidden_remainder_y
      - .offset:         86
        .size:           2
        .value_kind:     hidden_remainder_z
      - .offset:         104
        .size:           8
        .value_kind:     hidden_global_offset_x
      - .offset:         112
        .size:           8
        .value_kind:     hidden_global_offset_y
      - .offset:         120
        .size:           8
        .value_kind:     hidden_global_offset_z
      - .offset:         128
        .size:           2
        .value_kind:     hidden_grid_dims
    .group_segment_fixed_size: 0
    .kernarg_segment_align: 8
    .kernarg_segment_size: 320
    .language:       OpenCL C
    .language_version:
      - 2
      - 0
    .max_flat_workgroup_size: 256
    .name:           _ZL44rocblas_set_matrix_zero_if_alpha_zero_kernelILi16ELi16E19rocblas_complex_numIdEPS1_EviiT1_lT2_lli
    .private_segment_fixed_size: 0
    .sgpr_count:     14
    .sgpr_spill_count: 0
    .symbol:         _ZL44rocblas_set_matrix_zero_if_alpha_zero_kernelILi16ELi16E19rocblas_complex_numIdEPS1_EviiT1_lT2_lli.kd
    .uniform_work_group_size: 1
    .uses_dynamic_stack: false
    .vgpr_count:     9
    .vgpr_spill_count: 0
    .wavefront_size: 32
    .workgroup_processor_mode: 1
amdhsa.target:   amdgcn-amd-amdhsa--gfx1030
amdhsa.version:
  - 1
  - 2
...

	.end_amdgpu_metadata
